;; amdgpu-corpus repo=ROCm/rocSPARSE kind=compiled arch=gfx1250 opt=O3
	.amdgcn_target "amdgcn-amd-amdhsa--gfx1250"
	.amdhsa_code_object_version 6
	.section	.text._ZN9rocsparseL23bsric0_binsearch_kernelILj32ELj32ELb0EfEEv20rocsparse_direction_iiPKiS3_PT2_S3_PiS3_S6_21rocsparse_index_base_,"axG",@progbits,_ZN9rocsparseL23bsric0_binsearch_kernelILj32ELj32ELb0EfEEv20rocsparse_direction_iiPKiS3_PT2_S3_PiS3_S6_21rocsparse_index_base_,comdat
	.globl	_ZN9rocsparseL23bsric0_binsearch_kernelILj32ELj32ELb0EfEEv20rocsparse_direction_iiPKiS3_PT2_S3_PiS3_S6_21rocsparse_index_base_ ; -- Begin function _ZN9rocsparseL23bsric0_binsearch_kernelILj32ELj32ELb0EfEEv20rocsparse_direction_iiPKiS3_PT2_S3_PiS3_S6_21rocsparse_index_base_
	.p2align	8
	.type	_ZN9rocsparseL23bsric0_binsearch_kernelILj32ELj32ELb0EfEEv20rocsparse_direction_iiPKiS3_PT2_S3_PiS3_S6_21rocsparse_index_base_,@function
_ZN9rocsparseL23bsric0_binsearch_kernelILj32ELj32ELb0EfEEv20rocsparse_direction_iiPKiS3_PT2_S3_PiS3_S6_21rocsparse_index_base_: ; @_ZN9rocsparseL23bsric0_binsearch_kernelILj32ELj32ELb0EfEEv20rocsparse_direction_iiPKiS3_PT2_S3_PiS3_S6_21rocsparse_index_base_
; %bb.0:
	s_load_b256 s[8:15], s[0:1], 0x28
	s_bfe_u32 s2, ttmp6, 0x4000c
	s_and_b32 s3, ttmp6, 15
	s_add_co_i32 s2, s2, 1
	s_getreg_b32 s4, hwreg(HW_REG_IB_STS2, 6, 4)
	s_mul_i32 s2, ttmp9, s2
	s_load_b32 s7, s[0:1], 0x48
	s_add_co_i32 s3, s3, s2
	s_cmp_eq_u32 s4, 0
	s_cselect_b32 s2, ttmp9, s3
	s_delay_alu instid0(SALU_CYCLE_1)
	v_mov_b32_e32 v1, s2
	s_wait_kmcnt 0x0
	global_load_b32 v2, v1, s[12:13] scale_offset
	s_wait_loadcnt 0x0
	global_load_b32 v1, v2, s[8:9] scale_offset
	v_ashrrev_i32_e32 v3, 31, v2
	s_wait_loadcnt 0x0
	v_readfirstlane_b32 s2, v1
	s_cmp_lg_u32 s2, -1
	s_cselect_b32 s2, -1, 0
	s_delay_alu instid0(SALU_CYCLE_1) | instskip(NEXT) | instid1(SALU_CYCLE_1)
	s_and_saveexec_b32 s3, s2
	s_xor_b32 s20, exec_lo, s3
	s_cbranch_execz .LBB0_69
; %bb.1:
	s_load_b32 s21, s[0:1], 0x8
	s_mov_b32 s22, exec_lo
	s_wait_kmcnt 0x0
	v_cmpx_gt_i32_e64 s21, v0
	s_cbranch_execz .LBB0_66
; %bb.2:
	s_clause 0x2
	s_load_b128 s[16:19], s[0:1], 0x10
	s_load_b32 s5, s[0:1], 0x0
	s_load_b64 s[12:13], s[0:1], 0x20
	s_mul_i32 s23, s21, s21
	s_wait_xcnt 0x0
	v_cmp_ne_u32_e64 s0, 0, v0
	v_mul_lo_u32 v17, v1, s23
	s_mov_b32 s24, 0
	v_dual_mov_b32 v16, 0 :: v_dual_add_nc_u32 v15, s7, v2
	s_wait_kmcnt 0x0
	v_lshl_add_u64 v[4:5], v[2:3], 2, s[16:17]
	s_cmp_eq_u32 s5, 0
	s_cselect_b32 s1, -1, 0
	s_cmp_lg_u32 s5, 0
	global_load_b64 v[4:5], v[4:5], off
	s_cselect_b32 s25, -1, 0
	s_wait_loadcnt 0x0
	v_subrev_nc_u32_e32 v12, s7, v4
	v_xad_u32 v13, s7, -1, v5
	s_delay_alu instid0(VALU_DEP_2) | instskip(NEXT) | instid1(VALU_DEP_2)
	v_mul_lo_u32 v14, s23, v12
	v_add_nc_u32_e32 v4, v13, v12
	v_cmp_lt_i32_e64 s2, v12, v1
	v_cmp_ge_i32_e64 s3, v12, v1
	v_cmp_lt_i32_e64 s4, v12, v13
	s_delay_alu instid0(VALU_DEP_4) | instskip(NEXT) | instid1(VALU_DEP_1)
	v_ashrrev_i32_e32 v4, 1, v4
	v_ashrrev_i32_e32 v5, 31, v4
	v_add_nc_u32_e32 v18, v14, v0
	s_delay_alu instid0(VALU_DEP_2)
	v_lshl_add_u64 v[6:7], v[4:5], 2, s[18:19]
	v_mov_b32_e32 v5, v0
	s_branch .LBB0_4
.LBB0_3:                                ;   in Loop: Header=BB0_4 Depth=1
	v_dual_add_nc_u32 v5, 32, v5 :: v_dual_add_nc_u32 v18, 32, v18
	s_delay_alu instid0(VALU_DEP_1) | instskip(SKIP_1) | instid1(SALU_CYCLE_1)
	v_cmp_le_i32_e32 vcc_lo, s21, v5
	s_or_b32 s24, vcc_lo, s24
	s_and_not1_b32 exec_lo, exec_lo, s24
	s_cbranch_execz .LBB0_66
.LBB0_4:                                ; =>This Loop Header: Depth=1
                                        ;     Child Loop BB0_9 Depth 2
                                        ;       Child Loop BB0_12 Depth 3
                                        ;       Child Loop BB0_16 Depth 3
                                        ;         Child Loop BB0_18 Depth 4
                                        ;         Child Loop BB0_25 Depth 4
                                        ;           Child Loop BB0_27 Depth 5
                                        ;           Child Loop BB0_33 Depth 5
                                        ;     Child Loop BB0_40 Depth 2
                                        ;       Child Loop BB0_44 Depth 3
                                        ;       Child Loop BB0_52 Depth 3
                                        ;         Child Loop BB0_54 Depth 4
                                        ;       Child Loop BB0_62 Depth 3
	s_delay_alu instid0(VALU_DEP_1) | instskip(SKIP_1) | instid1(SALU_CYCLE_1)
	v_mul_lo_u32 v19, v5, s21
	s_and_saveexec_b32 s5, s3
	s_xor_b32 s5, exec_lo, s5
; %bb.5:                                ;   in Loop: Header=BB0_4 Depth=1
	v_mul_lo_u32 v19, v5, s21
; %bb.6:                                ;   in Loop: Header=BB0_4 Depth=1
	s_or_saveexec_b32 s26, s5
	v_mov_b32_e32 v20, 0
	s_xor_b32 exec_lo, exec_lo, s26
	s_cbranch_execz .LBB0_37
; %bb.7:                                ;   in Loop: Header=BB0_4 Depth=1
	v_dual_mov_b32 v20, 0 :: v_dual_mov_b32 v21, v12
	s_mov_b32 s27, 0
	s_branch .LBB0_9
.LBB0_8:                                ;   in Loop: Header=BB0_9 Depth=2
	s_wait_xcnt 0x0
	s_or_b32 exec_lo, exec_lo, s28
	v_add_nc_u32_e32 v21, 1, v21
	s_xor_b32 s5, s5, -1
	s_delay_alu instid0(VALU_DEP_1) | instskip(SKIP_1) | instid1(SALU_CYCLE_1)
	v_cmp_ge_i32_e32 vcc_lo, v21, v1
	s_or_b32 s5, s5, vcc_lo
	s_and_b32 s5, exec_lo, s5
	s_delay_alu instid0(SALU_CYCLE_1) | instskip(NEXT) | instid1(SALU_CYCLE_1)
	s_or_b32 s27, s5, s27
	s_and_not1_b32 exec_lo, exec_lo, s27
	s_cbranch_execz .LBB0_36
.LBB0_9:                                ;   Parent Loop BB0_4 Depth=1
                                        ; =>  This Loop Header: Depth=2
                                        ;       Child Loop BB0_12 Depth 3
                                        ;       Child Loop BB0_16 Depth 3
                                        ;         Child Loop BB0_18 Depth 4
                                        ;         Child Loop BB0_25 Depth 4
                                        ;           Child Loop BB0_27 Depth 5
                                        ;           Child Loop BB0_33 Depth 5
	global_load_b32 v22, v21, s[18:19] scale_offset
	s_wait_loadcnt 0x0
	v_subrev_nc_u32_e32 v8, s7, v22
	global_load_b32 v23, v8, s[8:9] scale_offset
	s_wait_loadcnt 0x0
	v_cmp_ne_u32_e64 s5, -1, v23
	s_wait_xcnt 0x0
	s_and_saveexec_b32 s28, s5
	s_cbranch_execz .LBB0_8
; %bb.10:                               ;   in Loop: Header=BB0_9 Depth=2
	v_ashrrev_i32_e32 v9, 31, v8
	s_mov_b32 s6, exec_lo
	s_delay_alu instid0(VALU_DEP_1) | instskip(NEXT) | instid1(VALU_DEP_1)
	v_lshlrev_b64_e32 v[10:11], 2, v[8:9]
	v_add_nc_u64_e32 v[24:25], s[16:17], v[10:11]
	v_add_nc_u64_e32 v[10:11], s[10:11], v[10:11]
	global_load_b32 v9, v[24:25], off
	global_load_b32 v26, v[10:11], off scope:SCOPE_DEV
	s_wait_loadcnt 0x0
	s_wait_xcnt 0x0
	v_cmpx_eq_u32_e32 0, v26
	s_cbranch_execz .LBB0_13
; %bb.11:                               ;   in Loop: Header=BB0_9 Depth=2
	s_mov_b32 s29, 0
.LBB0_12:                               ;   Parent Loop BB0_4 Depth=1
                                        ;     Parent Loop BB0_9 Depth=2
                                        ; =>    This Inner Loop Header: Depth=3
	global_load_b32 v24, v[10:11], off scope:SCOPE_DEV
	s_wait_loadcnt 0x0
	v_cmp_ne_u32_e32 vcc_lo, 0, v24
	s_or_b32 s29, vcc_lo, s29
	s_wait_xcnt 0x0
	s_and_not1_b32 exec_lo, exec_lo, s29
	s_cbranch_execnz .LBB0_12
.LBB0_13:                               ;   in Loop: Header=BB0_9 Depth=2
	s_or_b32 exec_lo, exec_lo, s6
	v_mul_lo_u32 v27, v21, s23
	v_subrev_nc_u32_e32 v10, s7, v9
	v_mul_lo_u32 v11, v8, s21
	v_mul_lo_u32 v24, v23, s23
	s_mov_b32 s29, 0
	global_inv scope:SCOPE_DEV
	v_mul_lo_u32 v25, s23, v10
	v_cmp_le_i32_e64 s6, v10, v23
	v_dual_add_nc_u32 v26, v27, v5 :: v_dual_add_nc_u32 v27, v27, v19
	s_branch .LBB0_16
.LBB0_14:                               ;   in Loop: Header=BB0_16 Depth=3
	s_or_b32 exec_lo, exec_lo, s33
.LBB0_15:                               ;   in Loop: Header=BB0_16 Depth=3
	s_delay_alu instid0(SALU_CYCLE_1)
	s_or_b32 exec_lo, exec_lo, s31
	s_wait_loadcnt 0x0
	v_dual_ashrrev_i32 v9, 31, v8 :: v_dual_sub_f32 v29, v29, v30
	s_add_co_i32 s29, s29, 1
	v_add_nc_u32_e32 v25, 1, v25
	s_cmp_eq_u32 s29, s21
	s_delay_alu instid0(VALU_DEP_2) | instskip(SKIP_2) | instid1(VALU_DEP_2)
	v_lshl_add_u64 v[8:9], v[8:9], 2, s[12:13]
	v_div_scale_f32 v30, null, v28, v28, v29
	v_div_scale_f32 v33, vcc_lo, v29, v28, v29
	v_rcp_f32_e32 v31, v30
	v_nop
	s_delay_alu instid0(TRANS32_DEP_1) | instskip(NEXT) | instid1(VALU_DEP_1)
	v_fma_f32 v32, -v30, v31, 1.0
	v_fmac_f32_e32 v31, v32, v31
	s_delay_alu instid0(VALU_DEP_1) | instskip(NEXT) | instid1(VALU_DEP_1)
	v_mul_f32_e32 v32, v33, v31
	v_fma_f32 v34, -v30, v32, v33
	s_delay_alu instid0(VALU_DEP_1) | instskip(NEXT) | instid1(VALU_DEP_1)
	v_fmac_f32_e32 v32, v34, v31
	v_fma_f32 v30, -v30, v32, v33
	s_delay_alu instid0(VALU_DEP_1) | instskip(NEXT) | instid1(VALU_DEP_1)
	v_div_fmas_f32 v30, v30, v31, v32
	v_div_fixup_f32 v28, v30, v28, v29
	s_delay_alu instid0(VALU_DEP_1)
	v_fmac_f32_e32 v20, v28, v28
	global_store_b32 v[8:9], v28, off
	s_cbranch_scc1 .LBB0_8
.LBB0_16:                               ;   Parent Loop BB0_4 Depth=1
                                        ;     Parent Loop BB0_9 Depth=2
                                        ; =>    This Loop Header: Depth=3
                                        ;         Child Loop BB0_18 Depth 4
                                        ;         Child Loop BB0_25 Depth 4
                                        ;           Child Loop BB0_27 Depth 5
                                        ;           Child Loop BB0_33 Depth 5
	s_mul_i32 s30, s29, s21
	s_wait_xcnt 0x0
	v_add3_u32 v8, s30, s29, v24
	global_load_b32 v8, v8, s[12:13] scale_offset
	s_wait_loadcnt 0x0
	v_cmp_neq_f32_e32 vcc_lo, 0, v8
	v_cndmask_b32_e32 v28, 1.0, v8, vcc_lo
	s_nor_b32 s33, vcc_lo, s0
	s_wait_xcnt 0x0
	s_and_saveexec_b32 s31, s33
	s_cbranch_execz .LBB0_22
; %bb.17:                               ;   in Loop: Header=BB0_16 Depth=3
	s_mov_b32 s34, exec_lo
	s_brev_b32 s33, -2
.LBB0_18:                               ;   Parent Loop BB0_4 Depth=1
                                        ;     Parent Loop BB0_9 Depth=2
                                        ;       Parent Loop BB0_16 Depth=3
                                        ; =>      This Inner Loop Header: Depth=4
	s_ctz_i32_b32 s35, s34
	s_delay_alu instid0(SALU_CYCLE_1) | instskip(SKIP_1) | instid1(SALU_CYCLE_1)
	v_readlane_b32 s36, v22, s35
	s_lshl_b32 s35, 1, s35
	s_and_not1_b32 s34, s34, s35
	s_min_i32 s33, s33, s36
	s_cmp_lg_u32 s34, 0
	s_cbranch_scc1 .LBB0_18
; %bb.19:                               ;   in Loop: Header=BB0_16 Depth=3
	v_mbcnt_lo_u32_b32 v8, exec_lo, 0
	s_mov_b32 s34, exec_lo
	s_delay_alu instid0(VALU_DEP_1)
	v_cmpx_eq_u32_e32 0, v8
	s_xor_b32 s34, exec_lo, s34
	s_cbranch_execz .LBB0_21
; %bb.20:                               ;   in Loop: Header=BB0_16 Depth=3
	v_mov_b32_e32 v8, s33
	global_atomic_min_i32 v16, v8, s[14:15] scope:SCOPE_DEV
.LBB0_21:                               ;   in Loop: Header=BB0_16 Depth=3
	s_wait_xcnt 0x0
	s_or_b32 exec_lo, exec_lo, s34
	v_mov_b32_e32 v28, 1.0
.LBB0_22:                               ;   in Loop: Header=BB0_16 Depth=3
	s_or_b32 exec_lo, exec_lo, s31
	v_dual_add_nc_u32 v8, s30, v26 :: v_dual_add_nc_u32 v9, s29, v27
	s_delay_alu instid0(VALU_DEP_1)
	v_dual_mov_b32 v30, 0 :: v_dual_cndmask_b32 v8, v8, v9, s1
	global_load_b32 v29, v8, s[12:13] scale_offset
	s_wait_xcnt 0x0
	s_and_saveexec_b32 s31, s6
	s_cbranch_execz .LBB0_15
; %bb.23:                               ;   in Loop: Header=BB0_16 Depth=3
	global_load_b32 v9, v[6:7], off
	v_dual_mov_b32 v30, 0 :: v_dual_add_nc_u32 v31, s29, v11
	v_dual_mov_b32 v32, v25 :: v_dual_mov_b32 v33, v10
	s_mov_b32 s33, 0
	s_branch .LBB0_25
.LBB0_24:                               ;   in Loop: Header=BB0_25 Depth=4
	s_or_b32 exec_lo, exec_lo, s34
	v_dual_add_nc_u32 v34, 1, v33 :: v_dual_add_nc_u32 v32, s23, v32
	v_cmp_ge_i32_e32 vcc_lo, v33, v23
	s_delay_alu instid0(VALU_DEP_2) | instskip(SKIP_1) | instid1(SALU_CYCLE_1)
	v_mov_b32_e32 v33, v34
	s_or_b32 s33, vcc_lo, s33
	s_and_not1_b32 exec_lo, exec_lo, s33
	s_cbranch_execz .LBB0_14
.LBB0_25:                               ;   Parent Loop BB0_4 Depth=1
                                        ;     Parent Loop BB0_9 Depth=2
                                        ;       Parent Loop BB0_16 Depth=3
                                        ; =>      This Loop Header: Depth=4
                                        ;           Child Loop BB0_27 Depth 5
                                        ;           Child Loop BB0_33 Depth 5
	global_load_b32 v34, v33, s[18:19] scale_offset
	s_wait_loadcnt 0x1
	v_dual_mov_b32 v36, v9 :: v_dual_mov_b32 v35, v4
	s_wait_xcnt 0x0
	s_and_saveexec_b32 s34, s4
	s_cbranch_execz .LBB0_29
; %bb.26:                               ;   in Loop: Header=BB0_25 Depth=4
	v_dual_mov_b32 v36, v9 :: v_dual_mov_b32 v35, v4
	v_dual_mov_b32 v37, v13 :: v_dual_mov_b32 v38, v12
	s_mov_b32 s35, 0
.LBB0_27:                               ;   Parent Loop BB0_4 Depth=1
                                        ;     Parent Loop BB0_9 Depth=2
                                        ;       Parent Loop BB0_16 Depth=3
                                        ;         Parent Loop BB0_25 Depth=4
                                        ; =>        This Inner Loop Header: Depth=5
	s_wait_loadcnt 0x0
	s_delay_alu instid0(VALU_DEP_2) | instskip(NEXT) | instid1(VALU_DEP_2)
	v_cmp_lt_i32_e32 vcc_lo, v36, v34
	v_dual_add_nc_u32 v39, 1, v35 :: v_dual_cndmask_b32 v37, v35, v37, vcc_lo
	s_delay_alu instid0(VALU_DEP_1) | instskip(NEXT) | instid1(VALU_DEP_1)
	v_cndmask_b32_e32 v38, v38, v39, vcc_lo
	v_add_nc_u32_e32 v35, v37, v38
	v_cmp_ge_i32_e32 vcc_lo, v38, v37
	s_delay_alu instid0(VALU_DEP_2)
	v_ashrrev_i32_e32 v35, 1, v35
	s_or_b32 s35, vcc_lo, s35
	global_load_b32 v36, v35, s[18:19] scale_offset
	s_wait_xcnt 0x0
	s_and_not1_b32 exec_lo, exec_lo, s35
	s_cbranch_execnz .LBB0_27
; %bb.28:                               ;   in Loop: Header=BB0_25 Depth=4
	s_or_b32 exec_lo, exec_lo, s35
.LBB0_29:                               ;   in Loop: Header=BB0_25 Depth=4
	s_delay_alu instid0(SALU_CYCLE_1) | instskip(NEXT) | instid1(SALU_CYCLE_1)
	s_or_b32 exec_lo, exec_lo, s34
	s_mov_b32 s34, exec_lo
	s_wait_loadcnt 0x0
	v_cmpx_eq_u32_e64 v36, v34
	s_cbranch_execz .LBB0_24
; %bb.30:                               ;   in Loop: Header=BB0_25 Depth=4
	v_mul_lo_u32 v37, v35, s23
	v_subrev_nc_u32_e32 v35, s7, v34
	v_mad_u32 v34, v33, s23, s30
	s_mov_b32 s35, 0
	v_mov_b32_e32 v38, v32
	s_delay_alu instid0(VALU_DEP_3)
	v_mul_lo_u32 v35, v35, s21
	v_add_nc_u32_e32 v36, v37, v19
	v_add_nc_u32_e32 v37, v5, v37
	s_branch .LBB0_33
.LBB0_31:                               ;   in Loop: Header=BB0_33 Depth=5
	s_clause 0x1
	global_load_b32 v41, v39, s[12:13] scale_offset
	global_load_b32 v42, v40, s[12:13] scale_offset
	s_wait_loadcnt 0x0
	v_fmac_f32_e32 v30, v41, v42
.LBB0_32:                               ;   in Loop: Header=BB0_33 Depth=5
	s_wait_xcnt 0x0
	s_or_b32 exec_lo, exec_lo, s36
	v_dual_add_nc_u32 v37, s21, v37 :: v_dual_add_nc_u32 v38, s21, v38
	s_add_co_i32 s35, s35, 1
	s_delay_alu instid0(SALU_CYCLE_1)
	s_cmp_lg_u32 s21, s35
	s_cbranch_scc0 .LBB0_24
.LBB0_33:                               ;   Parent Loop BB0_4 Depth=1
                                        ;     Parent Loop BB0_9 Depth=2
                                        ;       Parent Loop BB0_16 Depth=3
                                        ;         Parent Loop BB0_25 Depth=4
                                        ; =>        This Inner Loop Header: Depth=5
	s_delay_alu instid0(VALU_DEP_3) | instskip(SKIP_1) | instid1(VALU_DEP_1)
	v_add_nc_u32_e32 v39, s35, v35
	s_mov_b32 s36, exec_lo
	v_cmpx_lt_i32_e64 v39, v31
	s_cbranch_execz .LBB0_32
; %bb.34:                               ;   in Loop: Header=BB0_33 Depth=5
	v_dual_mov_b32 v40, v37 :: v_dual_mov_b32 v39, v38
	s_and_not1_b32 vcc_lo, exec_lo, s1
	s_cbranch_vccnz .LBB0_31
; %bb.35:                               ;   in Loop: Header=BB0_33 Depth=5
	v_dual_add_nc_u32 v39, s35, v34 :: v_dual_add_nc_u32 v40, s35, v36
	s_branch .LBB0_31
.LBB0_36:                               ;   in Loop: Header=BB0_4 Depth=1
	s_or_b32 exec_lo, exec_lo, s27
.LBB0_37:                               ;   in Loop: Header=BB0_4 Depth=1
	s_delay_alu instid0(SALU_CYCLE_1) | instskip(NEXT) | instid1(VALU_DEP_2)
	s_or_b32 exec_lo, exec_lo, s26
	v_dual_mov_b32 v11, v14 :: v_dual_add_nc_u32 v10, v19, v17
	s_mov_b32 s6, 0
	s_branch .LBB0_40
.LBB0_38:                               ;   in Loop: Header=BB0_40 Depth=2
	s_wait_loadcnt 0x0
	s_delay_alu instid0(VALU_DEP_1) | instskip(NEXT) | instid1(VALU_DEP_1)
	v_sub_f32_e32 v21, v23, v24
	v_div_scale_f32 v23, null, v22, v22, v21
	s_delay_alu instid0(VALU_DEP_1) | instskip(SKIP_1) | instid1(TRANS32_DEP_1)
	v_rcp_f32_e32 v24, v23
	v_nop
	v_fma_f32 v25, -v23, v24, 1.0
	s_delay_alu instid0(VALU_DEP_1) | instskip(SKIP_2) | instid1(VALU_DEP_1)
	v_fmac_f32_e32 v24, v25, v24
	v_div_scale_f32 v25, vcc_lo, v21, v22, v21
	s_wait_xcnt 0x1
	v_mul_f32_e32 v26, v25, v24
	s_wait_xcnt 0x0
	s_delay_alu instid0(VALU_DEP_1) | instskip(NEXT) | instid1(VALU_DEP_1)
	v_fma_f32 v27, -v23, v26, v25
	v_fmac_f32_e32 v26, v27, v24
	s_delay_alu instid0(VALU_DEP_1) | instskip(NEXT) | instid1(VALU_DEP_1)
	v_fma_f32 v23, -v23, v26, v25
	v_div_fmas_f32 v23, v23, v24, v26
	s_delay_alu instid0(VALU_DEP_1) | instskip(NEXT) | instid1(VALU_DEP_1)
	v_div_fixup_f32 v21, v23, v22, v21
	v_fmac_f32_e32 v20, v21, v21
	global_store_b32 v[8:9], v21, off
.LBB0_39:                               ;   in Loop: Header=BB0_40 Depth=2
	s_wait_xcnt 0x0
	s_or_b32 exec_lo, exec_lo, s5
	v_add_nc_u32_e32 v11, 1, v11
	s_add_co_i32 s6, s6, 1
	global_wb scope:SCOPE_DEV
	s_wait_storecnt 0x0
	global_inv scope:SCOPE_DEV
	s_cmp_eq_u32 s6, s21
	s_cbranch_scc1 .LBB0_3
.LBB0_40:                               ;   Parent Loop BB0_4 Depth=1
                                        ; =>  This Loop Header: Depth=2
                                        ;       Child Loop BB0_44 Depth 3
                                        ;       Child Loop BB0_52 Depth 3
                                        ;         Child Loop BB0_54 Depth 4
                                        ;       Child Loop BB0_62 Depth 3
	s_mul_i32 s26, s6, s21
	s_mov_b32 s27, exec_lo
	v_add_nc_u32_e32 v21, s26, v17
	s_delay_alu instid0(VALU_DEP_1) | instskip(NEXT) | instid1(VALU_DEP_1)
	v_add_nc_u32_e32 v8, s6, v21
	v_ashrrev_i32_e32 v9, 31, v8
	s_delay_alu instid0(VALU_DEP_1)
	v_lshl_add_u64 v[8:9], v[8:9], 2, s[12:13]
	v_cmpx_eq_u32_e64 s6, v5
	s_cbranch_execz .LBB0_42
; %bb.41:                               ;   in Loop: Header=BB0_40 Depth=2
	global_load_b32 v22, v[8:9], off
	s_wait_loadcnt 0x0
	v_sub_f32_e32 v22, v22, v20
	s_delay_alu instid0(VALU_DEP_1) | instskip(SKIP_1) | instid1(VALU_DEP_1)
	v_cmp_gt_f32_e32 vcc_lo, 0, v22
	v_cndmask_b32_e64 v22, v22, -v22, vcc_lo
	v_mul_f32_e32 v23, 0x4f800000, v22
	v_cmp_gt_f32_e32 vcc_lo, 0xf800000, v22
	s_delay_alu instid0(VALU_DEP_2) | instskip(NEXT) | instid1(VALU_DEP_1)
	v_cndmask_b32_e32 v22, v22, v23, vcc_lo
	v_sqrt_f32_e32 v23, v22
	v_nop
	s_delay_alu instid0(TRANS32_DEP_1) | instskip(NEXT) | instid1(VALU_DEP_1)
	v_dual_add_nc_u32 v24, -1, v23 :: v_dual_add_nc_u32 v25, 1, v23
	v_dual_fma_f32 v26, -v24, v23, v22 :: v_dual_fma_f32 v27, -v25, v23, v22
	s_delay_alu instid0(VALU_DEP_1) | instskip(NEXT) | instid1(VALU_DEP_1)
	v_cmp_ge_f32_e64 s5, 0, v26
	v_cndmask_b32_e64 v23, v23, v24, s5
	s_delay_alu instid0(VALU_DEP_3) | instskip(NEXT) | instid1(VALU_DEP_1)
	v_cmp_lt_f32_e64 s5, 0, v27
	v_cndmask_b32_e64 v23, v23, v25, s5
	s_delay_alu instid0(VALU_DEP_1) | instskip(NEXT) | instid1(VALU_DEP_1)
	v_mul_f32_e32 v24, 0x37800000, v23
	v_cndmask_b32_e32 v23, v23, v24, vcc_lo
	v_cmp_class_f32_e64 vcc_lo, v22, 0x260
	s_delay_alu instid0(VALU_DEP_2)
	v_cndmask_b32_e32 v22, v23, v22, vcc_lo
	global_store_b32 v[8:9], v22, off
.LBB0_42:                               ;   in Loop: Header=BB0_40 Depth=2
	s_wait_xcnt 0x0
	s_or_b32 exec_lo, exec_lo, s27
	global_wb scope:SCOPE_DEV
	s_wait_storecnt 0x0
	global_inv scope:SCOPE_DEV
	global_load_b32 v8, v[8:9], off
	s_wait_loadcnt 0x0
	v_cmp_neq_f32_e32 vcc_lo, 0, v8
	v_cndmask_b32_e32 v22, 1.0, v8, vcc_lo
	s_nor_b32 s27, vcc_lo, s0
	s_wait_xcnt 0x0
	s_and_saveexec_b32 s5, s27
	s_cbranch_execz .LBB0_48
; %bb.43:                               ;   in Loop: Header=BB0_40 Depth=2
	s_mov_b32 s28, exec_lo
	s_brev_b32 s27, -2
.LBB0_44:                               ;   Parent Loop BB0_4 Depth=1
                                        ;     Parent Loop BB0_40 Depth=2
                                        ; =>    This Inner Loop Header: Depth=3
	s_ctz_i32_b32 s29, s28
	s_delay_alu instid0(SALU_CYCLE_1) | instskip(SKIP_1) | instid1(SALU_CYCLE_1)
	v_readlane_b32 s30, v15, s29
	s_lshl_b32 s29, 1, s29
	s_and_not1_b32 s28, s28, s29
	s_min_i32 s27, s27, s30
	s_cmp_lg_u32 s28, 0
	s_cbranch_scc1 .LBB0_44
; %bb.45:                               ;   in Loop: Header=BB0_40 Depth=2
	v_mbcnt_lo_u32_b32 v8, exec_lo, 0
	s_mov_b32 s28, exec_lo
	s_delay_alu instid0(VALU_DEP_1)
	v_cmpx_eq_u32_e32 0, v8
	s_xor_b32 s28, exec_lo, s28
	s_cbranch_execz .LBB0_47
; %bb.46:                               ;   in Loop: Header=BB0_40 Depth=2
	v_mov_b32_e32 v8, s27
	global_atomic_min_i32 v16, v8, s[14:15] scope:SCOPE_DEV
.LBB0_47:                               ;   in Loop: Header=BB0_40 Depth=2
	s_wait_xcnt 0x0
	s_or_b32 exec_lo, exec_lo, s28
	v_mov_b32_e32 v22, 1.0
.LBB0_48:                               ;   in Loop: Header=BB0_40 Depth=2
	s_or_b32 exec_lo, exec_lo, s5
	s_delay_alu instid0(SALU_CYCLE_1)
	s_mov_b32 s5, exec_lo
	v_cmpx_lt_i32_e64 s6, v5
	s_cbranch_execz .LBB0_39
; %bb.49:                               ;   in Loop: Header=BB0_40 Depth=2
	v_dual_add_nc_u32 v8, v21, v5 :: v_dual_add_nc_u32 v9, s6, v10
	s_delay_alu instid0(VALU_DEP_1)
	v_dual_mov_b32 v24, 0 :: v_dual_cndmask_b32 v8, v8, v9, s1
	global_load_b32 v23, v8, s[12:13] scale_offset
	s_wait_xcnt 0x0
	s_and_saveexec_b32 s27, s2
	s_cbranch_execz .LBB0_59
; %bb.50:                               ;   in Loop: Header=BB0_40 Depth=2
	v_dual_mov_b32 v24, 0 :: v_dual_mov_b32 v9, v11
	v_dual_mov_b32 v25, v18 :: v_dual_mov_b32 v26, v12
	s_mov_b32 s28, 0
	s_branch .LBB0_52
.LBB0_51:                               ;   in Loop: Header=BB0_52 Depth=3
	v_dual_add_nc_u32 v26, 1, v26 :: v_dual_add_nc_u32 v25, s23, v25
	v_add_nc_u32_e32 v9, s23, v9
	s_delay_alu instid0(VALU_DEP_2)
	v_cmp_ge_i32_e32 vcc_lo, v26, v1
	s_or_b32 s28, vcc_lo, s28
	s_wait_xcnt 0x0
	s_and_not1_b32 exec_lo, exec_lo, s28
	s_cbranch_execz .LBB0_58
.LBB0_52:                               ;   Parent Loop BB0_4 Depth=1
                                        ;     Parent Loop BB0_40 Depth=2
                                        ; =>    This Loop Header: Depth=3
                                        ;         Child Loop BB0_54 Depth 4
	s_delay_alu instid0(VALU_DEP_1) | instskip(SKIP_3) | instid1(VALU_DEP_1)
	v_mul_lo_u32 v28, v26, s23
	s_mov_b32 s29, s21
	s_mov_b32 s30, 0
	;; [unrolled: 1-line block ×3, first 2 shown]
	v_dual_add_nc_u32 v27, s26, v28 :: v_dual_add_nc_u32 v28, v28, v19
	s_branch .LBB0_54
.LBB0_53:                               ;   in Loop: Header=BB0_54 Depth=4
	s_clause 0x1
	global_load_b32 v31, v29, s[12:13] scale_offset
	global_load_b32 v32, v30, s[12:13] scale_offset
	s_add_co_i32 s29, s29, -1
	s_add_co_i32 s31, s31, 1
	s_add_co_i32 s30, s30, s21
	s_cmp_eq_u32 s29, 0
	s_wait_loadcnt 0x0
	v_fmac_f32_e32 v24, v31, v32
	s_cbranch_scc1 .LBB0_51
.LBB0_54:                               ;   Parent Loop BB0_4 Depth=1
                                        ;     Parent Loop BB0_40 Depth=2
                                        ;       Parent Loop BB0_52 Depth=3
                                        ; =>      This Inner Loop Header: Depth=4
	s_and_b32 vcc_lo, exec_lo, s25
	s_mov_b32 s33, -1
                                        ; implicit-def: $vgpr29
                                        ; implicit-def: $vgpr30
	s_cbranch_vccz .LBB0_56
; %bb.55:                               ;   in Loop: Header=BB0_54 Depth=4
	s_wait_xcnt 0x1
	v_add_nc_u32_e32 v29, s30, v9
	s_wait_xcnt 0x0
	v_add_nc_u32_e32 v30, s30, v25
	s_mov_b32 s33, 0
.LBB0_56:                               ;   in Loop: Header=BB0_54 Depth=4
	s_delay_alu instid0(SALU_CYCLE_1)
	s_and_not1_b32 vcc_lo, exec_lo, s33
	s_cbranch_vccnz .LBB0_53
; %bb.57:                               ;   in Loop: Header=BB0_54 Depth=4
	s_wait_xcnt 0x0
	v_dual_add_nc_u32 v29, s31, v27 :: v_dual_add_nc_u32 v30, s31, v28
	s_branch .LBB0_53
.LBB0_58:                               ;   in Loop: Header=BB0_40 Depth=2
	s_or_b32 exec_lo, exec_lo, s28
.LBB0_59:                               ;   in Loop: Header=BB0_40 Depth=2
	s_delay_alu instid0(SALU_CYCLE_1) | instskip(SKIP_2) | instid1(VALU_DEP_1)
	s_or_b32 exec_lo, exec_lo, s27
	v_ashrrev_i32_e32 v9, 31, v8
	s_cmp_eq_u32 s6, 0
	v_lshl_add_u64 v[8:9], v[8:9], 2, s[12:13]
	s_cbranch_scc1 .LBB0_38
; %bb.60:                               ;   in Loop: Header=BB0_40 Depth=2
	v_mov_b32_e32 v25, v17
	s_mov_b32 s26, 0
	s_branch .LBB0_62
.LBB0_61:                               ;   in Loop: Header=BB0_62 Depth=3
	s_clause 0x1
	global_load_b32 v28, v26, s[12:13] scale_offset
	global_load_b32 v29, v27, s[12:13] scale_offset
	v_add_nc_u32_e32 v25, s21, v25
	s_add_co_i32 s26, s26, 1
	s_delay_alu instid0(SALU_CYCLE_1)
	s_cmp_eq_u32 s6, s26
	s_wait_loadcnt 0x0
	v_fmac_f32_e32 v24, v28, v29
	s_cbranch_scc1 .LBB0_38
.LBB0_62:                               ;   Parent Loop BB0_4 Depth=1
                                        ;     Parent Loop BB0_40 Depth=2
                                        ; =>    This Inner Loop Header: Depth=3
	s_and_b32 vcc_lo, exec_lo, s25
	s_mov_b32 s27, -1
                                        ; implicit-def: $vgpr26
                                        ; implicit-def: $vgpr27
	s_cbranch_vccz .LBB0_64
; %bb.63:                               ;   in Loop: Header=BB0_62 Depth=3
	s_wait_xcnt 0x0
	v_dual_add_nc_u32 v26, s6, v25 :: v_dual_add_nc_u32 v27, v5, v25
	s_mov_b32 s27, 0
.LBB0_64:                               ;   in Loop: Header=BB0_62 Depth=3
	s_delay_alu instid0(SALU_CYCLE_1)
	s_and_not1_b32 vcc_lo, exec_lo, s27
	s_cbranch_vccnz .LBB0_61
; %bb.65:                               ;   in Loop: Header=BB0_62 Depth=3
	s_wait_xcnt 0x0
	v_dual_add_nc_u32 v26, s26, v21 :: v_dual_add_nc_u32 v27, s26, v10
	s_branch .LBB0_61
.LBB0_66:
	s_or_b32 exec_lo, exec_lo, s22
	s_delay_alu instid0(SALU_CYCLE_1)
	s_mov_b32 s0, exec_lo
	v_cmpx_eq_u32_e32 31, v0
	s_cbranch_execz .LBB0_68
; %bb.67:
	v_lshl_add_u64 v[0:1], v[2:3], 2, s[10:11]
	v_mov_b32_e32 v2, 1
	global_wb scope:SCOPE_DEV
	s_wait_loadcnt 0x0
	s_wait_storecnt 0x0
	global_store_b32 v[0:1], v2, off scope:SCOPE_DEV
.LBB0_68:
	s_wait_xcnt 0x0
	s_or_b32 exec_lo, exec_lo, s0
                                        ; implicit-def: $vgpr0
                                        ; implicit-def: $vgpr2_vgpr3
.LBB0_69:
	s_and_not1_saveexec_b32 s0, s20
	s_cbranch_execz .LBB0_76
; %bb.70:
	s_mov_b32 s0, exec_lo
	v_cmpx_eq_u32_e32 31, v0
	s_cbranch_execz .LBB0_76
; %bb.71:
	v_add_nc_u32_e32 v0, s7, v2
	s_mov_b32 s1, exec_lo
	s_brev_b32 s0, -2
.LBB0_72:                               ; =>This Inner Loop Header: Depth=1
	s_ctz_i32_b32 s2, s1
	s_delay_alu instid0(VALU_DEP_1) | instid1(SALU_CYCLE_1)
	v_readlane_b32 s3, v0, s2
	s_lshl_b32 s2, 1, s2
	s_delay_alu instid0(SALU_CYCLE_1)
	s_and_not1_b32 s1, s1, s2
	s_min_i32 s0, s0, s3
	s_cmp_lg_u32 s1, 0
	s_cbranch_scc1 .LBB0_72
; %bb.73:
	v_mbcnt_lo_u32_b32 v0, exec_lo, 0
	s_mov_b32 s1, exec_lo
	s_delay_alu instid0(VALU_DEP_1)
	v_cmpx_eq_u32_e32 0, v0
	s_xor_b32 s1, exec_lo, s1
	s_cbranch_execz .LBB0_75
; %bb.74:
	v_dual_mov_b32 v0, 0 :: v_dual_mov_b32 v1, s0
	global_atomic_min_i32 v0, v1, s[14:15] scope:SCOPE_DEV
.LBB0_75:
	s_wait_xcnt 0x0
	s_or_b32 exec_lo, exec_lo, s1
	v_lshl_add_u64 v[0:1], v[2:3], 2, s[10:11]
	v_mov_b32_e32 v2, 1
	global_wb scope:SCOPE_DEV
	s_wait_loadcnt 0x0
	s_wait_storecnt 0x0
	global_store_b32 v[0:1], v2, off scope:SCOPE_DEV
.LBB0_76:
	s_endpgm
	.section	.rodata,"a",@progbits
	.p2align	6, 0x0
	.amdhsa_kernel _ZN9rocsparseL23bsric0_binsearch_kernelILj32ELj32ELb0EfEEv20rocsparse_direction_iiPKiS3_PT2_S3_PiS3_S6_21rocsparse_index_base_
		.amdhsa_group_segment_fixed_size 0
		.amdhsa_private_segment_fixed_size 0
		.amdhsa_kernarg_size 76
		.amdhsa_user_sgpr_count 2
		.amdhsa_user_sgpr_dispatch_ptr 0
		.amdhsa_user_sgpr_queue_ptr 0
		.amdhsa_user_sgpr_kernarg_segment_ptr 1
		.amdhsa_user_sgpr_dispatch_id 0
		.amdhsa_user_sgpr_kernarg_preload_length 0
		.amdhsa_user_sgpr_kernarg_preload_offset 0
		.amdhsa_user_sgpr_private_segment_size 0
		.amdhsa_wavefront_size32 1
		.amdhsa_uses_dynamic_stack 0
		.amdhsa_enable_private_segment 0
		.amdhsa_system_sgpr_workgroup_id_x 1
		.amdhsa_system_sgpr_workgroup_id_y 0
		.amdhsa_system_sgpr_workgroup_id_z 0
		.amdhsa_system_sgpr_workgroup_info 0
		.amdhsa_system_vgpr_workitem_id 0
		.amdhsa_next_free_vgpr 43
		.amdhsa_next_free_sgpr 37
		.amdhsa_named_barrier_count 0
		.amdhsa_reserve_vcc 1
		.amdhsa_float_round_mode_32 0
		.amdhsa_float_round_mode_16_64 0
		.amdhsa_float_denorm_mode_32 3
		.amdhsa_float_denorm_mode_16_64 3
		.amdhsa_fp16_overflow 0
		.amdhsa_memory_ordered 1
		.amdhsa_forward_progress 1
		.amdhsa_inst_pref_size 23
		.amdhsa_round_robin_scheduling 0
		.amdhsa_exception_fp_ieee_invalid_op 0
		.amdhsa_exception_fp_denorm_src 0
		.amdhsa_exception_fp_ieee_div_zero 0
		.amdhsa_exception_fp_ieee_overflow 0
		.amdhsa_exception_fp_ieee_underflow 0
		.amdhsa_exception_fp_ieee_inexact 0
		.amdhsa_exception_int_div_zero 0
	.end_amdhsa_kernel
	.section	.text._ZN9rocsparseL23bsric0_binsearch_kernelILj32ELj32ELb0EfEEv20rocsparse_direction_iiPKiS3_PT2_S3_PiS3_S6_21rocsparse_index_base_,"axG",@progbits,_ZN9rocsparseL23bsric0_binsearch_kernelILj32ELj32ELb0EfEEv20rocsparse_direction_iiPKiS3_PT2_S3_PiS3_S6_21rocsparse_index_base_,comdat
.Lfunc_end0:
	.size	_ZN9rocsparseL23bsric0_binsearch_kernelILj32ELj32ELb0EfEEv20rocsparse_direction_iiPKiS3_PT2_S3_PiS3_S6_21rocsparse_index_base_, .Lfunc_end0-_ZN9rocsparseL23bsric0_binsearch_kernelILj32ELj32ELb0EfEEv20rocsparse_direction_iiPKiS3_PT2_S3_PiS3_S6_21rocsparse_index_base_
                                        ; -- End function
	.set _ZN9rocsparseL23bsric0_binsearch_kernelILj32ELj32ELb0EfEEv20rocsparse_direction_iiPKiS3_PT2_S3_PiS3_S6_21rocsparse_index_base_.num_vgpr, 43
	.set _ZN9rocsparseL23bsric0_binsearch_kernelILj32ELj32ELb0EfEEv20rocsparse_direction_iiPKiS3_PT2_S3_PiS3_S6_21rocsparse_index_base_.num_agpr, 0
	.set _ZN9rocsparseL23bsric0_binsearch_kernelILj32ELj32ELb0EfEEv20rocsparse_direction_iiPKiS3_PT2_S3_PiS3_S6_21rocsparse_index_base_.numbered_sgpr, 37
	.set _ZN9rocsparseL23bsric0_binsearch_kernelILj32ELj32ELb0EfEEv20rocsparse_direction_iiPKiS3_PT2_S3_PiS3_S6_21rocsparse_index_base_.num_named_barrier, 0
	.set _ZN9rocsparseL23bsric0_binsearch_kernelILj32ELj32ELb0EfEEv20rocsparse_direction_iiPKiS3_PT2_S3_PiS3_S6_21rocsparse_index_base_.private_seg_size, 0
	.set _ZN9rocsparseL23bsric0_binsearch_kernelILj32ELj32ELb0EfEEv20rocsparse_direction_iiPKiS3_PT2_S3_PiS3_S6_21rocsparse_index_base_.uses_vcc, 1
	.set _ZN9rocsparseL23bsric0_binsearch_kernelILj32ELj32ELb0EfEEv20rocsparse_direction_iiPKiS3_PT2_S3_PiS3_S6_21rocsparse_index_base_.uses_flat_scratch, 0
	.set _ZN9rocsparseL23bsric0_binsearch_kernelILj32ELj32ELb0EfEEv20rocsparse_direction_iiPKiS3_PT2_S3_PiS3_S6_21rocsparse_index_base_.has_dyn_sized_stack, 0
	.set _ZN9rocsparseL23bsric0_binsearch_kernelILj32ELj32ELb0EfEEv20rocsparse_direction_iiPKiS3_PT2_S3_PiS3_S6_21rocsparse_index_base_.has_recursion, 0
	.set _ZN9rocsparseL23bsric0_binsearch_kernelILj32ELj32ELb0EfEEv20rocsparse_direction_iiPKiS3_PT2_S3_PiS3_S6_21rocsparse_index_base_.has_indirect_call, 0
	.section	.AMDGPU.csdata,"",@progbits
; Kernel info:
; codeLenInByte = 2864
; TotalNumSgprs: 39
; NumVgprs: 43
; ScratchSize: 0
; MemoryBound: 0
; FloatMode: 240
; IeeeMode: 1
; LDSByteSize: 0 bytes/workgroup (compile time only)
; SGPRBlocks: 0
; VGPRBlocks: 2
; NumSGPRsForWavesPerEU: 39
; NumVGPRsForWavesPerEU: 43
; NamedBarCnt: 0
; Occupancy: 16
; WaveLimiterHint : 1
; COMPUTE_PGM_RSRC2:SCRATCH_EN: 0
; COMPUTE_PGM_RSRC2:USER_SGPR: 2
; COMPUTE_PGM_RSRC2:TRAP_HANDLER: 0
; COMPUTE_PGM_RSRC2:TGID_X_EN: 1
; COMPUTE_PGM_RSRC2:TGID_Y_EN: 0
; COMPUTE_PGM_RSRC2:TGID_Z_EN: 0
; COMPUTE_PGM_RSRC2:TIDIG_COMP_CNT: 0
	.section	.text._ZN9rocsparseL23bsric0_binsearch_kernelILj64ELj64ELb1EfEEv20rocsparse_direction_iiPKiS3_PT2_S3_PiS3_S6_21rocsparse_index_base_,"axG",@progbits,_ZN9rocsparseL23bsric0_binsearch_kernelILj64ELj64ELb1EfEEv20rocsparse_direction_iiPKiS3_PT2_S3_PiS3_S6_21rocsparse_index_base_,comdat
	.globl	_ZN9rocsparseL23bsric0_binsearch_kernelILj64ELj64ELb1EfEEv20rocsparse_direction_iiPKiS3_PT2_S3_PiS3_S6_21rocsparse_index_base_ ; -- Begin function _ZN9rocsparseL23bsric0_binsearch_kernelILj64ELj64ELb1EfEEv20rocsparse_direction_iiPKiS3_PT2_S3_PiS3_S6_21rocsparse_index_base_
	.p2align	8
	.type	_ZN9rocsparseL23bsric0_binsearch_kernelILj64ELj64ELb1EfEEv20rocsparse_direction_iiPKiS3_PT2_S3_PiS3_S6_21rocsparse_index_base_,@function
_ZN9rocsparseL23bsric0_binsearch_kernelILj64ELj64ELb1EfEEv20rocsparse_direction_iiPKiS3_PT2_S3_PiS3_S6_21rocsparse_index_base_: ; @_ZN9rocsparseL23bsric0_binsearch_kernelILj64ELj64ELb1EfEEv20rocsparse_direction_iiPKiS3_PT2_S3_PiS3_S6_21rocsparse_index_base_
; %bb.0:
	s_load_b256 s[8:15], s[0:1], 0x28
	s_bfe_u32 s2, ttmp6, 0x4000c
	s_and_b32 s3, ttmp6, 15
	s_add_co_i32 s2, s2, 1
	s_getreg_b32 s4, hwreg(HW_REG_IB_STS2, 6, 4)
	s_mul_i32 s2, ttmp9, s2
	s_load_b32 s7, s[0:1], 0x48
	s_add_co_i32 s3, s3, s2
	s_cmp_eq_u32 s4, 0
	s_cselect_b32 s2, ttmp9, s3
	s_delay_alu instid0(SALU_CYCLE_1)
	v_mov_b32_e32 v1, s2
	s_wait_kmcnt 0x0
	global_load_b32 v2, v1, s[12:13] scale_offset
	s_wait_loadcnt 0x0
	global_load_b32 v1, v2, s[8:9] scale_offset
	v_ashrrev_i32_e32 v3, 31, v2
	s_wait_loadcnt 0x0
	v_readfirstlane_b32 s2, v1
	s_cmp_lg_u32 s2, -1
	s_cselect_b32 s2, -1, 0
	s_delay_alu instid0(SALU_CYCLE_1) | instskip(NEXT) | instid1(SALU_CYCLE_1)
	s_and_saveexec_b32 s3, s2
	s_xor_b32 s20, exec_lo, s3
	s_cbranch_execz .LBB1_71
; %bb.1:
	s_load_b32 s21, s[0:1], 0x8
	s_mov_b32 s22, exec_lo
	s_wait_kmcnt 0x0
	v_cmpx_gt_i32_e64 s21, v0
	s_cbranch_execz .LBB1_68
; %bb.2:
	s_clause 0x2
	s_load_b128 s[16:19], s[0:1], 0x10
	s_load_b32 s5, s[0:1], 0x0
	s_load_b64 s[12:13], s[0:1], 0x20
	s_mul_i32 s23, s21, s21
	s_wait_xcnt 0x0
	v_cmp_ne_u32_e64 s0, 0, v0
	v_mul_lo_u32 v17, v1, s23
	s_mov_b32 s24, 0
	v_add_nc_u32_e32 v14, s7, v2
	s_wait_kmcnt 0x0
	v_lshl_add_u64 v[4:5], v[2:3], 2, s[16:17]
	s_cmp_eq_u32 s5, 0
	s_cselect_b32 s1, -1, 0
	s_cmp_lg_u32 s5, 0
	global_load_b64 v[4:5], v[4:5], off
	s_cselect_b32 s25, -1, 0
	s_wait_loadcnt 0x0
	v_subrev_nc_u32_e32 v12, s7, v4
	v_xad_u32 v13, s7, -1, v5
	s_delay_alu instid0(VALU_DEP_2) | instskip(NEXT) | instid1(VALU_DEP_2)
	v_mul_lo_u32 v15, s23, v12
	v_dual_add_nc_u32 v4, v13, v12 :: v_dual_mov_b32 v16, 0
	v_cmp_lt_i32_e64 s2, v12, v1
	v_cmp_ge_i32_e64 s3, v12, v1
	v_cmp_lt_i32_e64 s4, v12, v13
	s_delay_alu instid0(VALU_DEP_4) | instskip(NEXT) | instid1(VALU_DEP_1)
	v_ashrrev_i32_e32 v4, 1, v4
	v_ashrrev_i32_e32 v5, 31, v4
	v_add_nc_u32_e32 v18, v15, v0
	s_delay_alu instid0(VALU_DEP_2)
	v_lshl_add_u64 v[6:7], v[4:5], 2, s[18:19]
	v_mov_b32_e32 v5, v0
	s_branch .LBB1_4
.LBB1_3:                                ;   in Loop: Header=BB1_4 Depth=1
	v_dual_add_nc_u32 v5, 64, v5 :: v_dual_add_nc_u32 v18, 64, v18
	s_delay_alu instid0(VALU_DEP_1) | instskip(SKIP_1) | instid1(SALU_CYCLE_1)
	v_cmp_le_i32_e32 vcc_lo, s21, v5
	s_or_b32 s24, vcc_lo, s24
	s_and_not1_b32 exec_lo, exec_lo, s24
	s_cbranch_execz .LBB1_68
.LBB1_4:                                ; =>This Loop Header: Depth=1
                                        ;     Child Loop BB1_9 Depth 2
                                        ;       Child Loop BB1_13 Depth 3
                                        ;         Child Loop BB1_14 Depth 4
                                        ;       Child Loop BB1_18 Depth 3
                                        ;         Child Loop BB1_20 Depth 4
                                        ;         Child Loop BB1_27 Depth 4
                                        ;           Child Loop BB1_29 Depth 5
                                        ;           Child Loop BB1_35 Depth 5
                                        ;     Child Loop BB1_42 Depth 2
                                        ;       Child Loop BB1_46 Depth 3
                                        ;       Child Loop BB1_54 Depth 3
                                        ;         Child Loop BB1_56 Depth 4
                                        ;       Child Loop BB1_64 Depth 3
	s_delay_alu instid0(VALU_DEP_1) | instskip(SKIP_1) | instid1(SALU_CYCLE_1)
	v_mul_lo_u32 v19, v5, s21
	s_and_saveexec_b32 s5, s3
	s_xor_b32 s5, exec_lo, s5
; %bb.5:                                ;   in Loop: Header=BB1_4 Depth=1
	v_mul_lo_u32 v19, v5, s21
; %bb.6:                                ;   in Loop: Header=BB1_4 Depth=1
	s_or_saveexec_b32 s26, s5
	v_mov_b32_e32 v20, 0
	s_xor_b32 exec_lo, exec_lo, s26
	s_cbranch_execz .LBB1_39
; %bb.7:                                ;   in Loop: Header=BB1_4 Depth=1
	v_dual_mov_b32 v20, 0 :: v_dual_mov_b32 v21, v12
	s_mov_b32 s27, 0
	s_branch .LBB1_9
.LBB1_8:                                ;   in Loop: Header=BB1_9 Depth=2
	s_wait_xcnt 0x0
	s_or_b32 exec_lo, exec_lo, s28
	v_add_nc_u32_e32 v21, 1, v21
	s_xor_b32 s5, s5, -1
	s_delay_alu instid0(VALU_DEP_1) | instskip(SKIP_1) | instid1(SALU_CYCLE_1)
	v_cmp_ge_i32_e32 vcc_lo, v21, v1
	s_or_b32 s5, s5, vcc_lo
	s_and_b32 s5, exec_lo, s5
	s_delay_alu instid0(SALU_CYCLE_1) | instskip(NEXT) | instid1(SALU_CYCLE_1)
	s_or_b32 s27, s5, s27
	s_and_not1_b32 exec_lo, exec_lo, s27
	s_cbranch_execz .LBB1_38
.LBB1_9:                                ;   Parent Loop BB1_4 Depth=1
                                        ; =>  This Loop Header: Depth=2
                                        ;       Child Loop BB1_13 Depth 3
                                        ;         Child Loop BB1_14 Depth 4
                                        ;       Child Loop BB1_18 Depth 3
                                        ;         Child Loop BB1_20 Depth 4
                                        ;         Child Loop BB1_27 Depth 4
                                        ;           Child Loop BB1_29 Depth 5
                                        ;           Child Loop BB1_35 Depth 5
	global_load_b32 v22, v21, s[18:19] scale_offset
	s_wait_loadcnt 0x0
	v_subrev_nc_u32_e32 v8, s7, v22
	global_load_b32 v23, v8, s[8:9] scale_offset
	s_wait_loadcnt 0x0
	v_cmp_ne_u32_e64 s5, -1, v23
	s_wait_xcnt 0x0
	s_and_saveexec_b32 s28, s5
	s_cbranch_execz .LBB1_8
; %bb.10:                               ;   in Loop: Header=BB1_9 Depth=2
	v_ashrrev_i32_e32 v9, 31, v8
	s_mov_b32 s6, exec_lo
	s_delay_alu instid0(VALU_DEP_1) | instskip(NEXT) | instid1(VALU_DEP_1)
	v_lshlrev_b64_e32 v[10:11], 2, v[8:9]
	v_add_nc_u64_e32 v[24:25], s[16:17], v[10:11]
	v_add_nc_u64_e32 v[10:11], s[10:11], v[10:11]
	global_load_b32 v9, v[24:25], off
	global_load_b32 v26, v[10:11], off scope:SCOPE_DEV
	s_wait_loadcnt 0x0
	s_wait_xcnt 0x0
	v_cmpx_eq_u32_e32 0, v26
	s_cbranch_execz .LBB1_15
; %bb.11:                               ;   in Loop: Header=BB1_9 Depth=2
	s_mov_b32 s29, 0
	s_mov_b32 s30, 0
	s_branch .LBB1_13
.LBB1_12:                               ;   in Loop: Header=BB1_13 Depth=3
	global_load_b32 v24, v[10:11], off scope:SCOPE_DEV
	s_cmp_lt_u32 s30, 0xf43
	s_cselect_b32 s31, -1, 0
	s_delay_alu instid0(SALU_CYCLE_1)
	s_cmp_lg_u32 s31, 0
	s_add_co_ci_u32 s30, s30, 0
	s_wait_loadcnt 0x0
	v_cmp_ne_u32_e32 vcc_lo, 0, v24
	s_or_b32 s29, vcc_lo, s29
	s_wait_xcnt 0x0
	s_and_not1_b32 exec_lo, exec_lo, s29
	s_cbranch_execz .LBB1_15
.LBB1_13:                               ;   Parent Loop BB1_4 Depth=1
                                        ;     Parent Loop BB1_9 Depth=2
                                        ; =>    This Loop Header: Depth=3
                                        ;         Child Loop BB1_14 Depth 4
	s_cmp_eq_u32 s30, 0
	s_mov_b32 s31, s30
	s_cbranch_scc1 .LBB1_12
.LBB1_14:                               ;   Parent Loop BB1_4 Depth=1
                                        ;     Parent Loop BB1_9 Depth=2
                                        ;       Parent Loop BB1_13 Depth=3
                                        ; =>      This Inner Loop Header: Depth=4
	s_add_co_i32 s31, s31, -1
	s_sleep 1
	s_cmp_eq_u32 s31, 0
	s_cbranch_scc0 .LBB1_14
	s_branch .LBB1_12
.LBB1_15:                               ;   in Loop: Header=BB1_9 Depth=2
	s_or_b32 exec_lo, exec_lo, s6
	v_mul_lo_u32 v27, v21, s23
	v_subrev_nc_u32_e32 v10, s7, v9
	v_mul_lo_u32 v11, v8, s21
	v_mul_lo_u32 v24, v23, s23
	s_mov_b32 s29, 0
	global_inv scope:SCOPE_DEV
	v_mul_lo_u32 v25, s23, v10
	v_cmp_le_i32_e64 s6, v10, v23
	v_dual_add_nc_u32 v26, v27, v5 :: v_dual_add_nc_u32 v27, v27, v19
	s_branch .LBB1_18
.LBB1_16:                               ;   in Loop: Header=BB1_18 Depth=3
	s_or_b32 exec_lo, exec_lo, s33
.LBB1_17:                               ;   in Loop: Header=BB1_18 Depth=3
	s_delay_alu instid0(SALU_CYCLE_1)
	s_or_b32 exec_lo, exec_lo, s31
	s_wait_loadcnt 0x0
	v_dual_ashrrev_i32 v9, 31, v8 :: v_dual_sub_f32 v29, v29, v30
	s_add_co_i32 s29, s29, 1
	v_add_nc_u32_e32 v25, 1, v25
	s_cmp_eq_u32 s29, s21
	s_delay_alu instid0(VALU_DEP_2) | instskip(SKIP_2) | instid1(VALU_DEP_2)
	v_lshl_add_u64 v[8:9], v[8:9], 2, s[12:13]
	v_div_scale_f32 v30, null, v28, v28, v29
	v_div_scale_f32 v33, vcc_lo, v29, v28, v29
	v_rcp_f32_e32 v31, v30
	v_nop
	s_delay_alu instid0(TRANS32_DEP_1) | instskip(NEXT) | instid1(VALU_DEP_1)
	v_fma_f32 v32, -v30, v31, 1.0
	v_fmac_f32_e32 v31, v32, v31
	s_delay_alu instid0(VALU_DEP_1) | instskip(NEXT) | instid1(VALU_DEP_1)
	v_mul_f32_e32 v32, v33, v31
	v_fma_f32 v34, -v30, v32, v33
	s_delay_alu instid0(VALU_DEP_1) | instskip(NEXT) | instid1(VALU_DEP_1)
	v_fmac_f32_e32 v32, v34, v31
	v_fma_f32 v30, -v30, v32, v33
	s_delay_alu instid0(VALU_DEP_1) | instskip(NEXT) | instid1(VALU_DEP_1)
	v_div_fmas_f32 v30, v30, v31, v32
	v_div_fixup_f32 v28, v30, v28, v29
	s_delay_alu instid0(VALU_DEP_1)
	v_fmac_f32_e32 v20, v28, v28
	global_store_b32 v[8:9], v28, off
	s_cbranch_scc1 .LBB1_8
.LBB1_18:                               ;   Parent Loop BB1_4 Depth=1
                                        ;     Parent Loop BB1_9 Depth=2
                                        ; =>    This Loop Header: Depth=3
                                        ;         Child Loop BB1_20 Depth 4
                                        ;         Child Loop BB1_27 Depth 4
                                        ;           Child Loop BB1_29 Depth 5
                                        ;           Child Loop BB1_35 Depth 5
	s_mul_i32 s30, s29, s21
	s_wait_xcnt 0x0
	v_add3_u32 v8, s30, s29, v24
	global_load_b32 v8, v8, s[12:13] scale_offset
	s_wait_loadcnt 0x0
	v_cmp_neq_f32_e32 vcc_lo, 0, v8
	v_cndmask_b32_e32 v28, 1.0, v8, vcc_lo
	s_nor_b32 s33, vcc_lo, s0
	s_wait_xcnt 0x0
	s_and_saveexec_b32 s31, s33
	s_cbranch_execz .LBB1_24
; %bb.19:                               ;   in Loop: Header=BB1_18 Depth=3
	s_mov_b32 s34, exec_lo
	s_brev_b32 s33, -2
.LBB1_20:                               ;   Parent Loop BB1_4 Depth=1
                                        ;     Parent Loop BB1_9 Depth=2
                                        ;       Parent Loop BB1_18 Depth=3
                                        ; =>      This Inner Loop Header: Depth=4
	s_ctz_i32_b32 s35, s34
	s_delay_alu instid0(SALU_CYCLE_1) | instskip(SKIP_1) | instid1(SALU_CYCLE_1)
	v_readlane_b32 s36, v22, s35
	s_lshl_b32 s35, 1, s35
	s_and_not1_b32 s34, s34, s35
	s_min_i32 s33, s33, s36
	s_cmp_lg_u32 s34, 0
	s_cbranch_scc1 .LBB1_20
; %bb.21:                               ;   in Loop: Header=BB1_18 Depth=3
	v_mbcnt_lo_u32_b32 v8, exec_lo, 0
	s_mov_b32 s34, exec_lo
	s_delay_alu instid0(VALU_DEP_1)
	v_cmpx_eq_u32_e32 0, v8
	s_xor_b32 s34, exec_lo, s34
	s_cbranch_execz .LBB1_23
; %bb.22:                               ;   in Loop: Header=BB1_18 Depth=3
	v_mov_b32_e32 v8, s33
	global_atomic_min_i32 v16, v8, s[14:15] scope:SCOPE_DEV
.LBB1_23:                               ;   in Loop: Header=BB1_18 Depth=3
	s_wait_xcnt 0x0
	s_or_b32 exec_lo, exec_lo, s34
	v_mov_b32_e32 v28, 1.0
.LBB1_24:                               ;   in Loop: Header=BB1_18 Depth=3
	s_or_b32 exec_lo, exec_lo, s31
	v_dual_add_nc_u32 v8, s30, v26 :: v_dual_add_nc_u32 v9, s29, v27
	s_delay_alu instid0(VALU_DEP_1)
	v_dual_mov_b32 v30, 0 :: v_dual_cndmask_b32 v8, v8, v9, s1
	global_load_b32 v29, v8, s[12:13] scale_offset
	s_wait_xcnt 0x0
	s_and_saveexec_b32 s31, s6
	s_cbranch_execz .LBB1_17
; %bb.25:                               ;   in Loop: Header=BB1_18 Depth=3
	global_load_b32 v9, v[6:7], off
	v_dual_mov_b32 v30, 0 :: v_dual_add_nc_u32 v31, s29, v11
	v_dual_mov_b32 v32, v25 :: v_dual_mov_b32 v33, v10
	s_mov_b32 s33, 0
	s_branch .LBB1_27
.LBB1_26:                               ;   in Loop: Header=BB1_27 Depth=4
	s_or_b32 exec_lo, exec_lo, s34
	v_dual_add_nc_u32 v34, 1, v33 :: v_dual_add_nc_u32 v32, s23, v32
	v_cmp_ge_i32_e32 vcc_lo, v33, v23
	s_delay_alu instid0(VALU_DEP_2) | instskip(SKIP_1) | instid1(SALU_CYCLE_1)
	v_mov_b32_e32 v33, v34
	s_or_b32 s33, vcc_lo, s33
	s_and_not1_b32 exec_lo, exec_lo, s33
	s_cbranch_execz .LBB1_16
.LBB1_27:                               ;   Parent Loop BB1_4 Depth=1
                                        ;     Parent Loop BB1_9 Depth=2
                                        ;       Parent Loop BB1_18 Depth=3
                                        ; =>      This Loop Header: Depth=4
                                        ;           Child Loop BB1_29 Depth 5
                                        ;           Child Loop BB1_35 Depth 5
	global_load_b32 v34, v33, s[18:19] scale_offset
	s_wait_loadcnt 0x1
	v_dual_mov_b32 v36, v9 :: v_dual_mov_b32 v35, v4
	s_wait_xcnt 0x0
	s_and_saveexec_b32 s34, s4
	s_cbranch_execz .LBB1_31
; %bb.28:                               ;   in Loop: Header=BB1_27 Depth=4
	v_dual_mov_b32 v36, v9 :: v_dual_mov_b32 v35, v4
	v_dual_mov_b32 v37, v13 :: v_dual_mov_b32 v38, v12
	s_mov_b32 s35, 0
.LBB1_29:                               ;   Parent Loop BB1_4 Depth=1
                                        ;     Parent Loop BB1_9 Depth=2
                                        ;       Parent Loop BB1_18 Depth=3
                                        ;         Parent Loop BB1_27 Depth=4
                                        ; =>        This Inner Loop Header: Depth=5
	s_wait_loadcnt 0x0
	s_delay_alu instid0(VALU_DEP_2) | instskip(NEXT) | instid1(VALU_DEP_2)
	v_cmp_lt_i32_e32 vcc_lo, v36, v34
	v_dual_add_nc_u32 v39, 1, v35 :: v_dual_cndmask_b32 v37, v35, v37, vcc_lo
	s_delay_alu instid0(VALU_DEP_1) | instskip(NEXT) | instid1(VALU_DEP_1)
	v_cndmask_b32_e32 v38, v38, v39, vcc_lo
	v_add_nc_u32_e32 v35, v37, v38
	v_cmp_ge_i32_e32 vcc_lo, v38, v37
	s_delay_alu instid0(VALU_DEP_2)
	v_ashrrev_i32_e32 v35, 1, v35
	s_or_b32 s35, vcc_lo, s35
	global_load_b32 v36, v35, s[18:19] scale_offset
	s_wait_xcnt 0x0
	s_and_not1_b32 exec_lo, exec_lo, s35
	s_cbranch_execnz .LBB1_29
; %bb.30:                               ;   in Loop: Header=BB1_27 Depth=4
	s_or_b32 exec_lo, exec_lo, s35
.LBB1_31:                               ;   in Loop: Header=BB1_27 Depth=4
	s_delay_alu instid0(SALU_CYCLE_1) | instskip(NEXT) | instid1(SALU_CYCLE_1)
	s_or_b32 exec_lo, exec_lo, s34
	s_mov_b32 s34, exec_lo
	s_wait_loadcnt 0x0
	v_cmpx_eq_u32_e64 v36, v34
	s_cbranch_execz .LBB1_26
; %bb.32:                               ;   in Loop: Header=BB1_27 Depth=4
	v_mul_lo_u32 v37, v35, s23
	v_subrev_nc_u32_e32 v35, s7, v34
	v_mad_u32 v34, v33, s23, s30
	s_mov_b32 s35, 0
	v_mov_b32_e32 v38, v32
	s_delay_alu instid0(VALU_DEP_3)
	v_mul_lo_u32 v35, v35, s21
	v_add_nc_u32_e32 v36, v37, v19
	v_add_nc_u32_e32 v37, v5, v37
	s_branch .LBB1_35
.LBB1_33:                               ;   in Loop: Header=BB1_35 Depth=5
	s_clause 0x1
	global_load_b32 v41, v39, s[12:13] scale_offset
	global_load_b32 v42, v40, s[12:13] scale_offset
	s_wait_loadcnt 0x0
	v_fmac_f32_e32 v30, v41, v42
.LBB1_34:                               ;   in Loop: Header=BB1_35 Depth=5
	s_wait_xcnt 0x0
	s_or_b32 exec_lo, exec_lo, s36
	v_dual_add_nc_u32 v37, s21, v37 :: v_dual_add_nc_u32 v38, s21, v38
	s_add_co_i32 s35, s35, 1
	s_delay_alu instid0(SALU_CYCLE_1)
	s_cmp_lg_u32 s21, s35
	s_cbranch_scc0 .LBB1_26
.LBB1_35:                               ;   Parent Loop BB1_4 Depth=1
                                        ;     Parent Loop BB1_9 Depth=2
                                        ;       Parent Loop BB1_18 Depth=3
                                        ;         Parent Loop BB1_27 Depth=4
                                        ; =>        This Inner Loop Header: Depth=5
	s_delay_alu instid0(VALU_DEP_3) | instskip(SKIP_1) | instid1(VALU_DEP_1)
	v_add_nc_u32_e32 v39, s35, v35
	s_mov_b32 s36, exec_lo
	v_cmpx_lt_i32_e64 v39, v31
	s_cbranch_execz .LBB1_34
; %bb.36:                               ;   in Loop: Header=BB1_35 Depth=5
	v_dual_mov_b32 v40, v37 :: v_dual_mov_b32 v39, v38
	s_and_not1_b32 vcc_lo, exec_lo, s1
	s_cbranch_vccnz .LBB1_33
; %bb.37:                               ;   in Loop: Header=BB1_35 Depth=5
	v_dual_add_nc_u32 v39, s35, v34 :: v_dual_add_nc_u32 v40, s35, v36
	s_branch .LBB1_33
.LBB1_38:                               ;   in Loop: Header=BB1_4 Depth=1
	s_or_b32 exec_lo, exec_lo, s27
.LBB1_39:                               ;   in Loop: Header=BB1_4 Depth=1
	s_delay_alu instid0(SALU_CYCLE_1) | instskip(NEXT) | instid1(VALU_DEP_2)
	s_or_b32 exec_lo, exec_lo, s26
	v_add_nc_u32_e32 v10, v19, v17
	v_mov_b32_e32 v11, v15
	s_mov_b32 s6, 0
	s_branch .LBB1_42
.LBB1_40:                               ;   in Loop: Header=BB1_42 Depth=2
	s_wait_loadcnt 0x0
	s_delay_alu instid0(VALU_DEP_1) | instskip(NEXT) | instid1(VALU_DEP_1)
	v_sub_f32_e32 v21, v23, v24
	v_div_scale_f32 v23, null, v22, v22, v21
	s_delay_alu instid0(VALU_DEP_1) | instskip(SKIP_1) | instid1(TRANS32_DEP_1)
	v_rcp_f32_e32 v24, v23
	v_nop
	v_fma_f32 v25, -v23, v24, 1.0
	s_delay_alu instid0(VALU_DEP_1) | instskip(SKIP_2) | instid1(VALU_DEP_1)
	v_fmac_f32_e32 v24, v25, v24
	v_div_scale_f32 v25, vcc_lo, v21, v22, v21
	s_wait_xcnt 0x1
	v_mul_f32_e32 v26, v25, v24
	s_wait_xcnt 0x0
	s_delay_alu instid0(VALU_DEP_1) | instskip(NEXT) | instid1(VALU_DEP_1)
	v_fma_f32 v27, -v23, v26, v25
	v_fmac_f32_e32 v26, v27, v24
	s_delay_alu instid0(VALU_DEP_1) | instskip(NEXT) | instid1(VALU_DEP_1)
	v_fma_f32 v23, -v23, v26, v25
	v_div_fmas_f32 v23, v23, v24, v26
	s_delay_alu instid0(VALU_DEP_1) | instskip(NEXT) | instid1(VALU_DEP_1)
	v_div_fixup_f32 v21, v23, v22, v21
	v_fmac_f32_e32 v20, v21, v21
	global_store_b32 v[8:9], v21, off
.LBB1_41:                               ;   in Loop: Header=BB1_42 Depth=2
	s_wait_xcnt 0x0
	s_or_b32 exec_lo, exec_lo, s5
	v_add_nc_u32_e32 v11, 1, v11
	s_add_co_i32 s6, s6, 1
	global_wb scope:SCOPE_DEV
	s_wait_storecnt 0x0
	global_inv scope:SCOPE_DEV
	s_cmp_eq_u32 s6, s21
	s_cbranch_scc1 .LBB1_3
.LBB1_42:                               ;   Parent Loop BB1_4 Depth=1
                                        ; =>  This Loop Header: Depth=2
                                        ;       Child Loop BB1_46 Depth 3
                                        ;       Child Loop BB1_54 Depth 3
                                        ;         Child Loop BB1_56 Depth 4
                                        ;       Child Loop BB1_64 Depth 3
	s_mul_i32 s26, s6, s21
	s_mov_b32 s27, exec_lo
	v_add_nc_u32_e32 v21, s26, v17
	s_delay_alu instid0(VALU_DEP_1) | instskip(NEXT) | instid1(VALU_DEP_1)
	v_add_nc_u32_e32 v8, s6, v21
	v_ashrrev_i32_e32 v9, 31, v8
	s_delay_alu instid0(VALU_DEP_1)
	v_lshl_add_u64 v[8:9], v[8:9], 2, s[12:13]
	v_cmpx_eq_u32_e64 s6, v5
	s_cbranch_execz .LBB1_44
; %bb.43:                               ;   in Loop: Header=BB1_42 Depth=2
	global_load_b32 v22, v[8:9], off
	s_wait_loadcnt 0x0
	v_sub_f32_e32 v22, v22, v20
	s_delay_alu instid0(VALU_DEP_1) | instskip(SKIP_1) | instid1(VALU_DEP_1)
	v_cmp_gt_f32_e32 vcc_lo, 0, v22
	v_cndmask_b32_e64 v22, v22, -v22, vcc_lo
	v_mul_f32_e32 v23, 0x4f800000, v22
	v_cmp_gt_f32_e32 vcc_lo, 0xf800000, v22
	s_delay_alu instid0(VALU_DEP_2) | instskip(NEXT) | instid1(VALU_DEP_1)
	v_cndmask_b32_e32 v22, v22, v23, vcc_lo
	v_sqrt_f32_e32 v23, v22
	v_nop
	s_delay_alu instid0(TRANS32_DEP_1) | instskip(NEXT) | instid1(VALU_DEP_1)
	v_dual_add_nc_u32 v24, -1, v23 :: v_dual_add_nc_u32 v25, 1, v23
	v_dual_fma_f32 v26, -v24, v23, v22 :: v_dual_fma_f32 v27, -v25, v23, v22
	s_delay_alu instid0(VALU_DEP_1) | instskip(NEXT) | instid1(VALU_DEP_1)
	v_cmp_ge_f32_e64 s5, 0, v26
	v_cndmask_b32_e64 v23, v23, v24, s5
	s_delay_alu instid0(VALU_DEP_3) | instskip(NEXT) | instid1(VALU_DEP_1)
	v_cmp_lt_f32_e64 s5, 0, v27
	v_cndmask_b32_e64 v23, v23, v25, s5
	s_delay_alu instid0(VALU_DEP_1) | instskip(NEXT) | instid1(VALU_DEP_1)
	v_mul_f32_e32 v24, 0x37800000, v23
	v_cndmask_b32_e32 v23, v23, v24, vcc_lo
	v_cmp_class_f32_e64 vcc_lo, v22, 0x260
	s_delay_alu instid0(VALU_DEP_2)
	v_cndmask_b32_e32 v22, v23, v22, vcc_lo
	global_store_b32 v[8:9], v22, off
.LBB1_44:                               ;   in Loop: Header=BB1_42 Depth=2
	s_wait_xcnt 0x0
	s_or_b32 exec_lo, exec_lo, s27
	global_wb scope:SCOPE_DEV
	s_wait_storecnt 0x0
	global_inv scope:SCOPE_DEV
	global_load_b32 v8, v[8:9], off
	s_wait_loadcnt 0x0
	v_cmp_neq_f32_e32 vcc_lo, 0, v8
	v_cndmask_b32_e32 v22, 1.0, v8, vcc_lo
	s_nor_b32 s27, vcc_lo, s0
	s_wait_xcnt 0x0
	s_and_saveexec_b32 s5, s27
	s_cbranch_execz .LBB1_50
; %bb.45:                               ;   in Loop: Header=BB1_42 Depth=2
	s_mov_b32 s28, exec_lo
	s_brev_b32 s27, -2
.LBB1_46:                               ;   Parent Loop BB1_4 Depth=1
                                        ;     Parent Loop BB1_42 Depth=2
                                        ; =>    This Inner Loop Header: Depth=3
	s_ctz_i32_b32 s29, s28
	s_delay_alu instid0(SALU_CYCLE_1) | instskip(SKIP_1) | instid1(SALU_CYCLE_1)
	v_readlane_b32 s30, v14, s29
	s_lshl_b32 s29, 1, s29
	s_and_not1_b32 s28, s28, s29
	s_min_i32 s27, s27, s30
	s_cmp_lg_u32 s28, 0
	s_cbranch_scc1 .LBB1_46
; %bb.47:                               ;   in Loop: Header=BB1_42 Depth=2
	v_mbcnt_lo_u32_b32 v8, exec_lo, 0
	s_mov_b32 s28, exec_lo
	s_delay_alu instid0(VALU_DEP_1)
	v_cmpx_eq_u32_e32 0, v8
	s_xor_b32 s28, exec_lo, s28
	s_cbranch_execz .LBB1_49
; %bb.48:                               ;   in Loop: Header=BB1_42 Depth=2
	v_mov_b32_e32 v8, s27
	global_atomic_min_i32 v16, v8, s[14:15] scope:SCOPE_DEV
.LBB1_49:                               ;   in Loop: Header=BB1_42 Depth=2
	s_wait_xcnt 0x0
	s_or_b32 exec_lo, exec_lo, s28
	v_mov_b32_e32 v22, 1.0
.LBB1_50:                               ;   in Loop: Header=BB1_42 Depth=2
	s_or_b32 exec_lo, exec_lo, s5
	s_delay_alu instid0(SALU_CYCLE_1)
	s_mov_b32 s5, exec_lo
	v_cmpx_lt_i32_e64 s6, v5
	s_cbranch_execz .LBB1_41
; %bb.51:                               ;   in Loop: Header=BB1_42 Depth=2
	v_dual_add_nc_u32 v8, v21, v5 :: v_dual_add_nc_u32 v9, s6, v10
	s_delay_alu instid0(VALU_DEP_1)
	v_dual_mov_b32 v24, 0 :: v_dual_cndmask_b32 v8, v8, v9, s1
	global_load_b32 v23, v8, s[12:13] scale_offset
	s_wait_xcnt 0x0
	s_and_saveexec_b32 s27, s2
	s_cbranch_execz .LBB1_61
; %bb.52:                               ;   in Loop: Header=BB1_42 Depth=2
	v_dual_mov_b32 v24, 0 :: v_dual_mov_b32 v9, v11
	v_dual_mov_b32 v25, v18 :: v_dual_mov_b32 v26, v12
	s_mov_b32 s28, 0
	s_branch .LBB1_54
.LBB1_53:                               ;   in Loop: Header=BB1_54 Depth=3
	v_dual_add_nc_u32 v26, 1, v26 :: v_dual_add_nc_u32 v25, s23, v25
	v_add_nc_u32_e32 v9, s23, v9
	s_delay_alu instid0(VALU_DEP_2)
	v_cmp_ge_i32_e32 vcc_lo, v26, v1
	s_or_b32 s28, vcc_lo, s28
	s_wait_xcnt 0x0
	s_and_not1_b32 exec_lo, exec_lo, s28
	s_cbranch_execz .LBB1_60
.LBB1_54:                               ;   Parent Loop BB1_4 Depth=1
                                        ;     Parent Loop BB1_42 Depth=2
                                        ; =>    This Loop Header: Depth=3
                                        ;         Child Loop BB1_56 Depth 4
	s_delay_alu instid0(VALU_DEP_1) | instskip(SKIP_3) | instid1(VALU_DEP_1)
	v_mul_lo_u32 v28, v26, s23
	s_mov_b32 s29, s21
	s_mov_b32 s30, 0
	;; [unrolled: 1-line block ×3, first 2 shown]
	v_dual_add_nc_u32 v27, s26, v28 :: v_dual_add_nc_u32 v28, v28, v19
	s_branch .LBB1_56
.LBB1_55:                               ;   in Loop: Header=BB1_56 Depth=4
	s_clause 0x1
	global_load_b32 v31, v29, s[12:13] scale_offset
	global_load_b32 v32, v30, s[12:13] scale_offset
	s_add_co_i32 s29, s29, -1
	s_add_co_i32 s31, s31, 1
	s_add_co_i32 s30, s30, s21
	s_cmp_eq_u32 s29, 0
	s_wait_loadcnt 0x0
	v_fmac_f32_e32 v24, v31, v32
	s_cbranch_scc1 .LBB1_53
.LBB1_56:                               ;   Parent Loop BB1_4 Depth=1
                                        ;     Parent Loop BB1_42 Depth=2
                                        ;       Parent Loop BB1_54 Depth=3
                                        ; =>      This Inner Loop Header: Depth=4
	s_and_b32 vcc_lo, exec_lo, s25
	s_mov_b32 s33, -1
                                        ; implicit-def: $vgpr29
                                        ; implicit-def: $vgpr30
	s_cbranch_vccz .LBB1_58
; %bb.57:                               ;   in Loop: Header=BB1_56 Depth=4
	s_wait_xcnt 0x1
	v_add_nc_u32_e32 v29, s30, v9
	s_wait_xcnt 0x0
	v_add_nc_u32_e32 v30, s30, v25
	s_mov_b32 s33, 0
.LBB1_58:                               ;   in Loop: Header=BB1_56 Depth=4
	s_delay_alu instid0(SALU_CYCLE_1)
	s_and_not1_b32 vcc_lo, exec_lo, s33
	s_cbranch_vccnz .LBB1_55
; %bb.59:                               ;   in Loop: Header=BB1_56 Depth=4
	s_wait_xcnt 0x0
	v_dual_add_nc_u32 v29, s31, v27 :: v_dual_add_nc_u32 v30, s31, v28
	s_branch .LBB1_55
.LBB1_60:                               ;   in Loop: Header=BB1_42 Depth=2
	s_or_b32 exec_lo, exec_lo, s28
.LBB1_61:                               ;   in Loop: Header=BB1_42 Depth=2
	s_delay_alu instid0(SALU_CYCLE_1) | instskip(SKIP_2) | instid1(VALU_DEP_1)
	s_or_b32 exec_lo, exec_lo, s27
	v_ashrrev_i32_e32 v9, 31, v8
	s_cmp_eq_u32 s6, 0
	v_lshl_add_u64 v[8:9], v[8:9], 2, s[12:13]
	s_cbranch_scc1 .LBB1_40
; %bb.62:                               ;   in Loop: Header=BB1_42 Depth=2
	v_mov_b32_e32 v25, v17
	s_mov_b32 s26, 0
	s_branch .LBB1_64
.LBB1_63:                               ;   in Loop: Header=BB1_64 Depth=3
	s_clause 0x1
	global_load_b32 v28, v26, s[12:13] scale_offset
	global_load_b32 v29, v27, s[12:13] scale_offset
	v_add_nc_u32_e32 v25, s21, v25
	s_add_co_i32 s26, s26, 1
	s_delay_alu instid0(SALU_CYCLE_1)
	s_cmp_eq_u32 s6, s26
	s_wait_loadcnt 0x0
	v_fmac_f32_e32 v24, v28, v29
	s_cbranch_scc1 .LBB1_40
.LBB1_64:                               ;   Parent Loop BB1_4 Depth=1
                                        ;     Parent Loop BB1_42 Depth=2
                                        ; =>    This Inner Loop Header: Depth=3
	s_and_b32 vcc_lo, exec_lo, s25
	s_mov_b32 s27, -1
                                        ; implicit-def: $vgpr26
                                        ; implicit-def: $vgpr27
	s_cbranch_vccz .LBB1_66
; %bb.65:                               ;   in Loop: Header=BB1_64 Depth=3
	s_wait_xcnt 0x0
	v_dual_add_nc_u32 v26, s6, v25 :: v_dual_add_nc_u32 v27, v5, v25
	s_mov_b32 s27, 0
.LBB1_66:                               ;   in Loop: Header=BB1_64 Depth=3
	s_delay_alu instid0(SALU_CYCLE_1)
	s_and_not1_b32 vcc_lo, exec_lo, s27
	s_cbranch_vccnz .LBB1_63
; %bb.67:                               ;   in Loop: Header=BB1_64 Depth=3
	s_wait_xcnt 0x0
	v_dual_add_nc_u32 v26, s26, v21 :: v_dual_add_nc_u32 v27, s26, v10
	s_branch .LBB1_63
.LBB1_68:
	s_or_b32 exec_lo, exec_lo, s22
	s_delay_alu instid0(SALU_CYCLE_1)
	s_mov_b32 s0, exec_lo
	v_cmpx_eq_u32_e32 63, v0
	s_cbranch_execz .LBB1_70
; %bb.69:
	v_lshl_add_u64 v[0:1], v[2:3], 2, s[10:11]
	v_mov_b32_e32 v2, 1
	global_wb scope:SCOPE_DEV
	s_wait_loadcnt 0x0
	s_wait_storecnt 0x0
	global_store_b32 v[0:1], v2, off scope:SCOPE_DEV
.LBB1_70:
	s_wait_xcnt 0x0
	s_or_b32 exec_lo, exec_lo, s0
                                        ; implicit-def: $vgpr0
                                        ; implicit-def: $vgpr2_vgpr3
.LBB1_71:
	s_and_not1_saveexec_b32 s0, s20
	s_cbranch_execz .LBB1_78
; %bb.72:
	s_mov_b32 s0, exec_lo
	v_cmpx_eq_u32_e32 63, v0
	s_cbranch_execz .LBB1_78
; %bb.73:
	v_add_nc_u32_e32 v0, s7, v2
	s_mov_b32 s1, exec_lo
	s_brev_b32 s0, -2
.LBB1_74:                               ; =>This Inner Loop Header: Depth=1
	s_ctz_i32_b32 s2, s1
	s_delay_alu instid0(VALU_DEP_1) | instid1(SALU_CYCLE_1)
	v_readlane_b32 s3, v0, s2
	s_lshl_b32 s2, 1, s2
	s_delay_alu instid0(SALU_CYCLE_1)
	s_and_not1_b32 s1, s1, s2
	s_min_i32 s0, s0, s3
	s_cmp_lg_u32 s1, 0
	s_cbranch_scc1 .LBB1_74
; %bb.75:
	v_mbcnt_lo_u32_b32 v0, exec_lo, 0
	s_mov_b32 s1, exec_lo
	s_delay_alu instid0(VALU_DEP_1)
	v_cmpx_eq_u32_e32 0, v0
	s_xor_b32 s1, exec_lo, s1
	s_cbranch_execz .LBB1_77
; %bb.76:
	v_dual_mov_b32 v0, 0 :: v_dual_mov_b32 v1, s0
	global_atomic_min_i32 v0, v1, s[14:15] scope:SCOPE_DEV
.LBB1_77:
	s_wait_xcnt 0x0
	s_or_b32 exec_lo, exec_lo, s1
	v_lshl_add_u64 v[0:1], v[2:3], 2, s[10:11]
	v_mov_b32_e32 v2, 1
	global_wb scope:SCOPE_DEV
	s_wait_loadcnt 0x0
	s_wait_storecnt 0x0
	global_store_b32 v[0:1], v2, off scope:SCOPE_DEV
.LBB1_78:
	s_endpgm
	.section	.rodata,"a",@progbits
	.p2align	6, 0x0
	.amdhsa_kernel _ZN9rocsparseL23bsric0_binsearch_kernelILj64ELj64ELb1EfEEv20rocsparse_direction_iiPKiS3_PT2_S3_PiS3_S6_21rocsparse_index_base_
		.amdhsa_group_segment_fixed_size 0
		.amdhsa_private_segment_fixed_size 0
		.amdhsa_kernarg_size 76
		.amdhsa_user_sgpr_count 2
		.amdhsa_user_sgpr_dispatch_ptr 0
		.amdhsa_user_sgpr_queue_ptr 0
		.amdhsa_user_sgpr_kernarg_segment_ptr 1
		.amdhsa_user_sgpr_dispatch_id 0
		.amdhsa_user_sgpr_kernarg_preload_length 0
		.amdhsa_user_sgpr_kernarg_preload_offset 0
		.amdhsa_user_sgpr_private_segment_size 0
		.amdhsa_wavefront_size32 1
		.amdhsa_uses_dynamic_stack 0
		.amdhsa_enable_private_segment 0
		.amdhsa_system_sgpr_workgroup_id_x 1
		.amdhsa_system_sgpr_workgroup_id_y 0
		.amdhsa_system_sgpr_workgroup_id_z 0
		.amdhsa_system_sgpr_workgroup_info 0
		.amdhsa_system_vgpr_workitem_id 0
		.amdhsa_next_free_vgpr 43
		.amdhsa_next_free_sgpr 37
		.amdhsa_named_barrier_count 0
		.amdhsa_reserve_vcc 1
		.amdhsa_float_round_mode_32 0
		.amdhsa_float_round_mode_16_64 0
		.amdhsa_float_denorm_mode_32 3
		.amdhsa_float_denorm_mode_16_64 3
		.amdhsa_fp16_overflow 0
		.amdhsa_memory_ordered 1
		.amdhsa_forward_progress 1
		.amdhsa_inst_pref_size 23
		.amdhsa_round_robin_scheduling 0
		.amdhsa_exception_fp_ieee_invalid_op 0
		.amdhsa_exception_fp_denorm_src 0
		.amdhsa_exception_fp_ieee_div_zero 0
		.amdhsa_exception_fp_ieee_overflow 0
		.amdhsa_exception_fp_ieee_underflow 0
		.amdhsa_exception_fp_ieee_inexact 0
		.amdhsa_exception_int_div_zero 0
	.end_amdhsa_kernel
	.section	.text._ZN9rocsparseL23bsric0_binsearch_kernelILj64ELj64ELb1EfEEv20rocsparse_direction_iiPKiS3_PT2_S3_PiS3_S6_21rocsparse_index_base_,"axG",@progbits,_ZN9rocsparseL23bsric0_binsearch_kernelILj64ELj64ELb1EfEEv20rocsparse_direction_iiPKiS3_PT2_S3_PiS3_S6_21rocsparse_index_base_,comdat
.Lfunc_end1:
	.size	_ZN9rocsparseL23bsric0_binsearch_kernelILj64ELj64ELb1EfEEv20rocsparse_direction_iiPKiS3_PT2_S3_PiS3_S6_21rocsparse_index_base_, .Lfunc_end1-_ZN9rocsparseL23bsric0_binsearch_kernelILj64ELj64ELb1EfEEv20rocsparse_direction_iiPKiS3_PT2_S3_PiS3_S6_21rocsparse_index_base_
                                        ; -- End function
	.set _ZN9rocsparseL23bsric0_binsearch_kernelILj64ELj64ELb1EfEEv20rocsparse_direction_iiPKiS3_PT2_S3_PiS3_S6_21rocsparse_index_base_.num_vgpr, 43
	.set _ZN9rocsparseL23bsric0_binsearch_kernelILj64ELj64ELb1EfEEv20rocsparse_direction_iiPKiS3_PT2_S3_PiS3_S6_21rocsparse_index_base_.num_agpr, 0
	.set _ZN9rocsparseL23bsric0_binsearch_kernelILj64ELj64ELb1EfEEv20rocsparse_direction_iiPKiS3_PT2_S3_PiS3_S6_21rocsparse_index_base_.numbered_sgpr, 37
	.set _ZN9rocsparseL23bsric0_binsearch_kernelILj64ELj64ELb1EfEEv20rocsparse_direction_iiPKiS3_PT2_S3_PiS3_S6_21rocsparse_index_base_.num_named_barrier, 0
	.set _ZN9rocsparseL23bsric0_binsearch_kernelILj64ELj64ELb1EfEEv20rocsparse_direction_iiPKiS3_PT2_S3_PiS3_S6_21rocsparse_index_base_.private_seg_size, 0
	.set _ZN9rocsparseL23bsric0_binsearch_kernelILj64ELj64ELb1EfEEv20rocsparse_direction_iiPKiS3_PT2_S3_PiS3_S6_21rocsparse_index_base_.uses_vcc, 1
	.set _ZN9rocsparseL23bsric0_binsearch_kernelILj64ELj64ELb1EfEEv20rocsparse_direction_iiPKiS3_PT2_S3_PiS3_S6_21rocsparse_index_base_.uses_flat_scratch, 0
	.set _ZN9rocsparseL23bsric0_binsearch_kernelILj64ELj64ELb1EfEEv20rocsparse_direction_iiPKiS3_PT2_S3_PiS3_S6_21rocsparse_index_base_.has_dyn_sized_stack, 0
	.set _ZN9rocsparseL23bsric0_binsearch_kernelILj64ELj64ELb1EfEEv20rocsparse_direction_iiPKiS3_PT2_S3_PiS3_S6_21rocsparse_index_base_.has_recursion, 0
	.set _ZN9rocsparseL23bsric0_binsearch_kernelILj64ELj64ELb1EfEEv20rocsparse_direction_iiPKiS3_PT2_S3_PiS3_S6_21rocsparse_index_base_.has_indirect_call, 0
	.section	.AMDGPU.csdata,"",@progbits
; Kernel info:
; codeLenInByte = 2932
; TotalNumSgprs: 39
; NumVgprs: 43
; ScratchSize: 0
; MemoryBound: 0
; FloatMode: 240
; IeeeMode: 1
; LDSByteSize: 0 bytes/workgroup (compile time only)
; SGPRBlocks: 0
; VGPRBlocks: 2
; NumSGPRsForWavesPerEU: 39
; NumVGPRsForWavesPerEU: 43
; NamedBarCnt: 0
; Occupancy: 16
; WaveLimiterHint : 1
; COMPUTE_PGM_RSRC2:SCRATCH_EN: 0
; COMPUTE_PGM_RSRC2:USER_SGPR: 2
; COMPUTE_PGM_RSRC2:TRAP_HANDLER: 0
; COMPUTE_PGM_RSRC2:TGID_X_EN: 1
; COMPUTE_PGM_RSRC2:TGID_Y_EN: 0
; COMPUTE_PGM_RSRC2:TGID_Z_EN: 0
; COMPUTE_PGM_RSRC2:TIDIG_COMP_CNT: 0
	.section	.text._ZN9rocsparseL26bsric0_2_8_unrolled_kernelILi1ELi32ELi1EfEEv20rocsparse_direction_iiPKiS3_PT2_S3_PiS3_S6_21rocsparse_index_base_,"axG",@progbits,_ZN9rocsparseL26bsric0_2_8_unrolled_kernelILi1ELi32ELi1EfEEv20rocsparse_direction_iiPKiS3_PT2_S3_PiS3_S6_21rocsparse_index_base_,comdat
	.globl	_ZN9rocsparseL26bsric0_2_8_unrolled_kernelILi1ELi32ELi1EfEEv20rocsparse_direction_iiPKiS3_PT2_S3_PiS3_S6_21rocsparse_index_base_ ; -- Begin function _ZN9rocsparseL26bsric0_2_8_unrolled_kernelILi1ELi32ELi1EfEEv20rocsparse_direction_iiPKiS3_PT2_S3_PiS3_S6_21rocsparse_index_base_
	.p2align	8
	.type	_ZN9rocsparseL26bsric0_2_8_unrolled_kernelILi1ELi32ELi1EfEEv20rocsparse_direction_iiPKiS3_PT2_S3_PiS3_S6_21rocsparse_index_base_,@function
_ZN9rocsparseL26bsric0_2_8_unrolled_kernelILi1ELi32ELi1EfEEv20rocsparse_direction_iiPKiS3_PT2_S3_PiS3_S6_21rocsparse_index_base_: ; @_ZN9rocsparseL26bsric0_2_8_unrolled_kernelILi1ELi32ELi1EfEEv20rocsparse_direction_iiPKiS3_PT2_S3_PiS3_S6_21rocsparse_index_base_
; %bb.0:
	s_load_b256 s[4:11], s[0:1], 0x28
	s_bfe_u32 s2, ttmp6, 0x4000c
	s_and_b32 s3, ttmp6, 15
	s_add_co_i32 s2, s2, 1
	s_getreg_b32 s12, hwreg(HW_REG_IB_STS2, 6, 4)
	s_mul_i32 s2, ttmp9, s2
	s_delay_alu instid0(SALU_CYCLE_1)
	s_add_co_i32 s3, s3, s2
	s_cmp_eq_u32 s12, 0
	s_cselect_b32 s2, ttmp9, s3
	s_wait_kmcnt 0x0
	s_load_b32 s8, s[8:9], s2 offset:0x0 scale_offset
	s_wait_kmcnt 0x0
	s_ashr_i32 s9, s8, 31
	s_delay_alu instid0(SALU_CYCLE_1) | instskip(NEXT) | instid1(SALU_CYCLE_1)
	s_lshl_b64 s[2:3], s[8:9], 2
	s_add_nc_u64 s[12:13], s[4:5], s[2:3]
	s_load_b32 s16, s[12:13], 0x0
	s_load_b32 s9, s[0:1], 0x48
	s_wait_xcnt 0x0
	s_mov_b32 s12, 0
	s_wait_kmcnt 0x0
	s_cmp_lg_u32 s16, -1
	s_cbranch_scc0 .LBB2_15
; %bb.1:
	s_load_b128 s[12:15], s[0:1], 0x10
	s_wait_kmcnt 0x0
	s_add_nc_u64 s[18:19], s[12:13], s[2:3]
	s_load_b32 s20, s[18:19], 0x0
	s_wait_kmcnt 0x0
	s_sub_co_i32 s17, s20, s9
	s_delay_alu instid0(SALU_CYCLE_1)
	s_cmp_gt_i32 s17, s16
	s_cbranch_scc1 .LBB2_13
; %bb.2:
	s_add_co_i32 s18, s16, s9
	s_mov_b32 s19, -1
	s_sub_co_i32 s21, s18, s20
	s_mov_b32 s18, s17
	s_add_co_i32 s21, s21, 1
	s_delay_alu instid0(SALU_CYCLE_1)
	s_cmp_lt_u32 s21, 2
	s_cbranch_scc1 .LBB2_10
; %bb.3:
	s_add_co_i32 s18, s21, -2
	s_mov_b32 s22, 0
	s_lshr_b32 s23, s18, 1
	s_delay_alu instid0(SALU_CYCLE_1)
	s_add_co_i32 s23, s23, 1
	s_cmp_lt_u32 s18, 14
	s_cbranch_scc1 .LBB2_6
; %bb.4:
	s_and_b32 s24, s23, -8
	s_movk_i32 s25, 0x100
.LBB2_5:                                ; =>This Inner Loop Header: Depth=1
	s_add_co_i32 s18, s17, s22
	s_add_co_i32 s24, s24, -8
	s_ashr_i32 s19, s18, 31
	s_add_co_i32 s26, s18, 2
	s_add_co_i32 s28, s18, 4
	;; [unrolled: 1-line block ×7, first 2 shown]
	s_lshl_b64 s[18:19], s[18:19], 2
	s_ashr_i32 s27, s26, 31
	s_add_nc_u64 s[18:19], s[14:15], s[18:19]
	s_ashr_i32 s29, s28, 31
	s_load_b64 s[42:43], s[18:19], 0x0
	s_ashr_i32 s31, s30, 31
	s_ashr_i32 s35, s34, 31
	;; [unrolled: 1-line block ×5, first 2 shown]
	s_lshl_b64 s[26:27], s[26:27], 2
	s_lshl_b64 s[28:29], s[28:29], 2
	s_lshl_b64 s[30:31], s[30:31], 2
	s_lshl_b64 s[34:35], s[34:35], 2
	s_lshl_b64 s[36:37], s[36:37], 2
	s_lshl_b64 s[38:39], s[38:39], 2
	s_lshl_b64 s[40:41], s[40:41], 2
	s_wait_xcnt 0x0
	s_add_nc_u64 s[18:19], s[14:15], s[26:27]
	s_add_nc_u64 s[26:27], s[14:15], s[28:29]
	;; [unrolled: 1-line block ×7, first 2 shown]
	s_clause 0x5
	s_load_b64 s[40:41], s[18:19], 0x0
	s_load_b64 s[44:45], s[26:27], 0x0
	s_load_b64 s[46:47], s[28:29], 0x0
	s_load_b64 s[48:49], s[30:31], 0x0
	s_load_b64 s[50:51], s[34:35], 0x0
	s_load_b64 s[52:53], s[36:37], 0x0
                                        ; kill: killed $sgpr34_sgpr35
                                        ; kill: killed $sgpr26_sgpr27
                                        ; kill: killed $sgpr30_sgpr31
                                        ; kill: killed $sgpr36_sgpr37
                                        ; kill: killed $sgpr18_sgpr19
                                        ; kill: killed $sgpr28_sgpr29
	s_wait_xcnt 0x0
	s_load_b64 s[18:19], s[38:39], 0x0
	s_wait_kmcnt 0x0
	s_sub_co_i32 s26, s42, s9
	s_sub_co_i32 s27, s43, s9
	v_dual_mov_b32 v0, s25 :: v_dual_mov_b32 v1, s26
	v_mov_b32_e32 v2, s27
	s_add_co_i32 s22, s22, 16
	s_add_co_i32 s25, s25, 64
	s_sub_co_i32 s26, s41, s9
	s_sub_co_i32 s27, s40, s9
	;; [unrolled: 1-line block ×6, first 2 shown]
	v_dual_mov_b32 v3, s27 :: v_dual_mov_b32 v4, s26
	v_mov_b32_e32 v5, s29
	s_sub_co_i32 s33, s49, s9
	s_sub_co_i32 s34, s48, s9
	;; [unrolled: 1-line block ×5, first 2 shown]
	s_wait_xcnt 0x0
	s_sub_co_i32 s38, s52, s9
	s_sub_co_i32 s19, s19, s9
	;; [unrolled: 1-line block ×3, first 2 shown]
	v_dual_mov_b32 v6, s28 :: v_dual_mov_b32 v7, s31
	s_cmp_lg_u32 s24, 0
	v_dual_mov_b32 v8, s30 :: v_dual_mov_b32 v9, s34
	v_dual_mov_b32 v10, s33 :: v_dual_mov_b32 v11, s36
	;; [unrolled: 1-line block ×4, first 2 shown]
	v_mov_b32_e32 v16, s19
	ds_store_2addr_b32 v0, v1, v2 offset1:1
	ds_store_2addr_b32 v0, v3, v4 offset0:2 offset1:3
	ds_store_2addr_b32 v0, v5, v6 offset0:4 offset1:5
	;; [unrolled: 1-line block ×7, first 2 shown]
	s_cbranch_scc1 .LBB2_5
.LBB2_6:
	s_and_b32 s23, s23, 7
	s_delay_alu instid0(SALU_CYCLE_1)
	s_cmp_eq_u32 s23, 0
	s_cbranch_scc1 .LBB2_9
; %bb.7:
	s_lshl_b32 s18, s22, 2
	s_add_co_i32 s19, s22, s20
	s_add_co_i32 s22, s18, 0x100
	s_sub_co_i32 s18, s19, s9
.LBB2_8:                                ; =>This Inner Loop Header: Depth=1
	s_delay_alu instid0(SALU_CYCLE_1)
	s_ashr_i32 s19, s18, 31
	s_add_co_i32 s23, s23, -1
	s_lshl_b64 s[24:25], s[18:19], 2
	s_add_co_i32 s18, s18, 2
	s_add_nc_u64 s[24:25], s[14:15], s[24:25]
	s_load_b64 s[26:27], s[24:25], 0x0
	s_wait_kmcnt 0x0
	s_sub_co_i32 s19, s26, s9
	s_sub_co_i32 s24, s27, s9
	v_dual_mov_b32 v0, s22 :: v_dual_mov_b32 v1, s19
	v_mov_b32_e32 v2, s24
	s_add_co_i32 s22, s22, 8
	s_cmp_lg_u32 s23, 0
	ds_store_2addr_b32 v0, v1, v2 offset1:1
	s_cbranch_scc1 .LBB2_8
.LBB2_9:
	s_and_b32 s19, s21, -2
	s_delay_alu instid0(SALU_CYCLE_1)
	s_add_co_i32 s18, s17, s19
	s_cmp_lg_u32 s21, s19
	s_cselect_b32 s19, -1, 0
.LBB2_10:
	s_delay_alu instid0(SALU_CYCLE_1)
	s_and_b32 vcc_lo, exec_lo, s19
	s_cbranch_vccz .LBB2_13
; %bb.11:
	s_add_co_i32 s19, s18, s9
	s_add_co_i32 s21, s18, -1
	s_sub_co_i32 s20, s19, s20
	s_ashr_i32 s19, s18, 31
	s_lshl_b32 s20, s20, 2
	s_lshl_b64 s[18:19], s[18:19], 2
	s_addk_co_i32 s20, 0x100
	s_add_nc_u64 s[18:19], s[14:15], s[18:19]
.LBB2_12:                               ; =>This Inner Loop Header: Depth=1
	s_load_b32 s22, s[18:19], 0x0
	s_add_co_i32 s21, s21, 1
	s_wait_xcnt 0x0
	s_add_nc_u64 s[18:19], s[18:19], 4
	s_wait_kmcnt 0x0
	s_sub_co_i32 s22, s22, s9
	s_delay_alu instid0(SALU_CYCLE_1)
	v_dual_mov_b32 v0, s20 :: v_dual_mov_b32 v1, s22
	s_add_co_i32 s20, s20, 4
	s_cmp_ge_i32 s21, s16
	ds_store_b32 v0, v1
	s_cbranch_scc0 .LBB2_12
.LBB2_13:
	s_load_b64 s[18:19], s[0:1], 0x20
	v_mov_b32_e32 v0, 0
	s_cmp_lt_i32 s17, s16
	ds_store_b32 v0, v0 offset:408
	s_wait_dscnt 0x0
	s_cbranch_scc1 .LBB2_16
; %bb.14:
	s_wait_xcnt 0x0
	s_mov_b32 s28, 0
	s_cbranch_execz .LBB2_17
	s_branch .LBB2_48
.LBB2_15:
	s_cbranch_execnz .LBB2_60
	s_branch .LBB2_61
.LBB2_16:
	s_wait_xcnt 0x0
                                        ; implicit-def: $sgpr28
.LBB2_17:
	v_dual_mov_b32 v0, 0 :: v_dual_mov_b32 v1, 0x190
	v_mov_b32_e32 v2, 0x188
	v_mov_b32_e32 v3, 0x180
	;; [unrolled: 1-line block ×3, first 2 shown]
	s_mov_b32 s28, 0
	s_mov_b32 s0, s17
	s_branch .LBB2_21
.LBB2_18:                               ;   in Loop: Header=BB2_21 Depth=1
	v_cmp_neq_f32_e32 vcc_lo, 0, v5
	v_cndmask_b32_e32 v5, 1.0, v5, vcc_lo
.LBB2_19:                               ;   in Loop: Header=BB2_21 Depth=1
	ds_load_b32 v7, v2
	s_add_co_i32 s0, s0, 1
	s_delay_alu instid0(SALU_CYCLE_1) | instskip(SKIP_3) | instid1(VALU_DEP_1)
	s_cmp_ge_i32 s0, s16
	s_cselect_b32 s26, -1, 0
	s_wait_dscnt 0x0
	v_sub_f32_e32 v6, v6, v7
	v_div_scale_f32 v7, null, v5, v5, v6
	s_delay_alu instid0(VALU_DEP_1)
	v_rcp_f32_e32 v8, v7
	v_nop
	v_xor_b32_e32 v7, 0x80000000, v7
	s_delay_alu instid0(TRANS32_DEP_1) | instid1(VALU_DEP_1)
	v_fma_f32 v9, v7, v8, 1.0
	s_delay_alu instid0(VALU_DEP_1) | instskip(SKIP_1) | instid1(VALU_DEP_1)
	v_fmac_f32_e32 v8, v9, v8
	v_div_scale_f32 v10, vcc_lo, v6, v5, v6
	v_mul_f32_e32 v9, v10, v8
	s_delay_alu instid0(VALU_DEP_1) | instskip(NEXT) | instid1(VALU_DEP_1)
	v_fma_f32 v11, v7, v9, v10
	v_fmac_f32_e32 v9, v11, v8
	s_delay_alu instid0(VALU_DEP_1) | instskip(NEXT) | instid1(VALU_DEP_1)
	v_fmac_f32_e32 v10, v7, v9
	v_div_fmas_f32 v7, v10, v8, v9
	s_delay_alu instid0(VALU_DEP_1)
	v_div_fixup_f32 v5, v7, v5, v6
	ds_store_b32 v1, v5
	s_wait_storecnt_dscnt 0x0
	ds_load_b32 v6, v1
	ds_load_b32 v7, v4
	s_wait_dscnt 0x0
	v_fmac_f32_e32 v7, v5, v6
	ds_store_b32 v4, v7
	s_wait_dscnt 0x0
	ds_load_b32 v5, v1
	s_wait_dscnt 0x0
	global_store_b32 v0, v5, s[20:21]
	global_wb scope:SCOPE_DEV
	s_wait_storecnt 0x0
	global_inv scope:SCOPE_DEV
.LBB2_20:                               ;   in Loop: Header=BB2_21 Depth=1
	s_and_b32 vcc_lo, exec_lo, s26
	s_cbranch_vccnz .LBB2_48
.LBB2_21:                               ; =>This Loop Header: Depth=1
                                        ;     Child Loop BB2_24 Depth 2
                                        ;     Child Loop BB2_35 Depth 2
	;; [unrolled: 1-line block ×4, first 2 shown]
	s_ashr_i32 s1, s0, 31
	s_wait_xcnt 0x0
	s_lshl_b64 s[20:21], s[0:1], 2
	s_delay_alu instid0(SALU_CYCLE_1) | instskip(SKIP_3) | instid1(SALU_CYCLE_1)
	s_add_nc_u64 s[22:23], s[14:15], s[20:21]
	s_load_b32 s1, s[22:23], 0x0
	s_wait_kmcnt 0x0
	s_sub_co_i32 s24, s1, s9
	s_ashr_i32 s25, s24, 31
	s_wait_xcnt 0x0
	s_lshl_b64 s[22:23], s[24:25], 2
	s_delay_alu instid0(SALU_CYCLE_1)
	s_add_nc_u64 s[26:27], s[4:5], s[22:23]
	s_load_b32 s25, s[26:27], 0x0
	s_wait_xcnt 0x0
	s_mov_b32 s26, -1
	s_wait_kmcnt 0x0
	s_cmp_eq_u32 s25, -1
	s_cbranch_scc1 .LBB2_20
; %bb.22:                               ;   in Loop: Header=BB2_21 Depth=1
	v_mov_b32_e32 v5, s0
	s_add_nc_u64 s[26:27], s[12:13], s[22:23]
	ds_load_b32 v6, v0 offset:256
	s_load_b32 s26, s[26:27], 0x0
	global_load_b32 v5, v5, s[18:19] scale_offset
	s_wait_dscnt 0x0
	v_cmp_ge_i32_e32 vcc_lo, s24, v6
	s_wait_kmcnt 0x0
	s_sub_co_i32 s26, s26, s9
	s_delay_alu instid0(SALU_CYCLE_1) | instskip(SKIP_1) | instid1(SALU_CYCLE_1)
	s_cmp_le_i32 s26, s25
	s_cselect_b32 s27, -1, 0
	s_and_b32 s27, s27, vcc_lo
	s_delay_alu instid0(SALU_CYCLE_1)
	s_and_not1_b32 vcc_lo, exec_lo, s27
	s_mov_b32 s27, 0
	s_wait_loadcnt 0x0
	ds_store_b32 v1, v5
	s_cbranch_vccnz .LBB2_34
; %bb.23:                               ;   in Loop: Header=BB2_21 Depth=1
	s_mov_b32 s29, 0
	s_mov_b32 s30, 0
.LBB2_24:                               ;   Parent Loop BB2_21 Depth=1
                                        ; =>  This Inner Loop Header: Depth=2
	s_ashr_i32 s27, s26, 31
	s_lshl_b32 s31, s30, 2
	s_lshl_b64 s[34:35], s[26:27], 2
	s_wait_xcnt 0x0
	v_mov_b32_e32 v5, s31
	s_add_nc_u64 s[34:35], s[14:15], s[34:35]
                                        ; implicit-def: $sgpr33
	s_load_b32 s27, s[34:35], 0x0
	s_wait_xcnt 0x0
	s_mov_b32 s35, -1
	ds_load_b32 v5, v5 offset:256
                                        ; implicit-def: $sgpr34
	s_wait_kmcnt 0x0
	s_sub_co_i32 s36, s27, s9
                                        ; implicit-def: $sgpr27
	s_wait_dscnt 0x0
	v_readfirstlane_b32 s31, v5
	v_cmp_ge_i32_e32 vcc_lo, s36, v5
	s_cbranch_vccz .LBB2_30
; %bb.25:                               ;   in Loop: Header=BB2_24 Depth=2
	s_cmp_le_i32 s36, s31
                                        ; implicit-def: $sgpr27
                                        ; implicit-def: $sgpr34
                                        ; implicit-def: $sgpr33
	s_cbranch_scc0 .LBB2_27
; %bb.26:                               ;   in Loop: Header=BB2_24 Depth=2
	s_lshl_b32 s27, s29, 2
	s_add_co_i32 s33, s30, s17
	s_delay_alu instid0(SALU_CYCLE_1)
	v_dual_mov_b32 v5, s27 :: v_dual_mov_b32 v6, s33
	v_mov_b32_e32 v7, s26
	s_add_co_i32 s33, s30, 1
	s_add_co_i32 s34, s26, 1
	;; [unrolled: 1-line block ×3, first 2 shown]
	s_mov_b32 s35, 0
	ds_store_2addr_b32 v5, v7, v6 offset1:32
.LBB2_27:                               ;   in Loop: Header=BB2_24 Depth=2
	s_and_not1_b32 vcc_lo, exec_lo, s35
	s_cbranch_vccnz .LBB2_29
; %bb.28:                               ;   in Loop: Header=BB2_24 Depth=2
	s_add_co_i32 s33, s30, 1
	s_mov_b32 s27, s29
	s_mov_b32 s34, s26
.LBB2_29:                               ;   in Loop: Header=BB2_24 Depth=2
	s_mov_b32 s35, 0
.LBB2_30:                               ;   in Loop: Header=BB2_24 Depth=2
	s_delay_alu instid0(SALU_CYCLE_1)
	s_and_not1_b32 vcc_lo, exec_lo, s35
	s_cbranch_vccnz .LBB2_32
; %bb.31:                               ;   in Loop: Header=BB2_24 Depth=2
	s_add_co_i32 s34, s26, 1
	s_mov_b32 s33, s30
	s_mov_b32 s27, s29
.LBB2_32:                               ;   in Loop: Header=BB2_24 Depth=2
	s_cmp_le_i32 s34, s25
	s_cselect_b32 s26, -1, 0
	s_cmp_le_i32 s31, s24
	s_cselect_b32 s29, -1, 0
	s_delay_alu instid0(SALU_CYCLE_1) | instskip(NEXT) | instid1(SALU_CYCLE_1)
	s_and_b32 s26, s26, s29
	s_and_b32 vcc_lo, exec_lo, s26
	s_cbranch_vccz .LBB2_34
; %bb.33:                               ;   in Loop: Header=BB2_24 Depth=2
	s_mov_b32 s29, s27
	s_mov_b32 s26, s34
	;; [unrolled: 1-line block ×3, first 2 shown]
	s_branch .LBB2_24
.LBB2_34:                               ;   in Loop: Header=BB2_21 Depth=1
	s_add_nc_u64 s[20:21], s[18:19], s[20:21]
	s_add_nc_u64 s[22:23], s[6:7], s[22:23]
	s_wait_dscnt 0x0
.LBB2_35:                               ;   Parent Loop BB2_21 Depth=1
                                        ; =>  This Inner Loop Header: Depth=2
	global_load_b32 v5, v0, s[22:23] scope:SCOPE_DEV
	s_wait_loadcnt 0x0
	v_cmp_eq_u32_e32 vcc_lo, 0, v5
	s_cbranch_vccnz .LBB2_35
; %bb.36:                               ;   in Loop: Header=BB2_21 Depth=1
	v_mov_b32_e32 v5, s25
	global_inv scope:SCOPE_DEV
	s_cmp_lt_i32 s27, 2
	global_load_b32 v6, v5, s[18:19] scale_offset
	s_wait_xcnt 0x0
	v_mov_b32_e32 v5, 0
	s_wait_loadcnt 0x0
	ds_store_b32 v3, v6
	s_wait_dscnt 0x0
	s_cbranch_scc1 .LBB2_44
; %bb.37:                               ;   in Loop: Header=BB2_21 Depth=1
	v_mov_b32_e32 v5, 0
	s_add_co_i32 s23, s27, -2
	s_add_co_i32 s22, s27, -1
	s_cmp_lt_u32 s23, 7
	s_cbranch_scc1 .LBB2_41
; %bb.38:                               ;   in Loop: Header=BB2_21 Depth=1
	s_and_b32 s23, s22, -8
	s_mov_b32 s24, 0
	s_mov_b32 s25, 0
.LBB2_39:                               ;   Parent Loop BB2_21 Depth=1
                                        ; =>  This Inner Loop Header: Depth=2
	v_mov_b32_e32 v18, s24
	s_add_co_i32 s25, s25, 8
	s_add_co_i32 s24, s24, 32
	s_cmp_eq_u32 s23, s25
	ds_load_b128 v[6:9], v18 offset:128
	ds_load_b128 v[10:13], v18
	ds_load_b128 v[14:17], v18 offset:16
	ds_load_b128 v[18:21], v18 offset:144
	s_wait_dscnt 0x3
	global_load_b32 v22, v6, s[18:19] scale_offset
	s_wait_dscnt 0x2
	s_clause 0x6
	global_load_b32 v23, v10, s[18:19] scale_offset
	global_load_b32 v24, v11, s[18:19] scale_offset
	;; [unrolled: 1-line block ×7, first 2 shown]
	s_wait_dscnt 0x0
	s_clause 0x7
	global_load_b32 v30, v18, s[18:19] scale_offset
	global_load_b32 v31, v14, s[18:19] scale_offset
	;; [unrolled: 1-line block ×7, first 2 shown]
	; meta instruction
	; meta instruction
	;; [unrolled: 1-line block ×4, first 2 shown]
	global_load_b32 v6, v21, s[18:19] scale_offset
	s_wait_loadcnt 0xe
	v_fmac_f32_e32 v5, v23, v22
	s_wait_loadcnt 0xc
	s_delay_alu instid0(VALU_DEP_1) | instskip(SKIP_1) | instid1(VALU_DEP_1)
	v_fmac_f32_e32 v5, v24, v25
	s_wait_loadcnt 0xa
	v_fmac_f32_e32 v5, v27, v26
	s_wait_loadcnt 0x8
	s_delay_alu instid0(VALU_DEP_1) | instskip(SKIP_1) | instid1(VALU_DEP_1)
	v_fmac_f32_e32 v5, v28, v29
	s_wait_loadcnt 0x6
	v_fmac_f32_e32 v5, v31, v30
	s_wait_loadcnt 0x4
	s_delay_alu instid0(VALU_DEP_1) | instskip(SKIP_1) | instid1(VALU_DEP_1)
	v_fmac_f32_e32 v5, v32, v33
	s_wait_loadcnt 0x2
	v_fmac_f32_e32 v5, v35, v34
	s_wait_loadcnt 0x0
	s_delay_alu instid0(VALU_DEP_1)
	v_fmac_f32_e32 v5, v36, v6
	s_cbranch_scc0 .LBB2_39
; %bb.40:                               ;   in Loop: Header=BB2_21 Depth=1
	s_and_b32 s22, s22, 7
	s_delay_alu instid0(SALU_CYCLE_1)
	s_cmp_eq_u32 s22, 0
	s_cbranch_scc0 .LBB2_42
	s_branch .LBB2_44
.LBB2_41:                               ;   in Loop: Header=BB2_21 Depth=1
	s_mov_b32 s23, 0
	s_and_b32 s22, s22, 7
	s_delay_alu instid0(SALU_CYCLE_1)
	s_cmp_eq_u32 s22, 0
	s_cbranch_scc1 .LBB2_44
.LBB2_42:                               ;   in Loop: Header=BB2_21 Depth=1
	s_lshl_b32 s23, s23, 2
.LBB2_43:                               ;   Parent Loop BB2_21 Depth=1
                                        ; =>  This Inner Loop Header: Depth=2
	s_delay_alu instid0(SALU_CYCLE_1)
	v_mov_b32_e32 v6, s23
	s_add_co_i32 s22, s22, -1
	s_add_co_i32 s23, s23, 4
	s_cmp_lg_u32 s22, 0
	ds_load_2addr_b32 v[6:7], v6 offset1:32
	s_wait_dscnt 0x0
	s_clause 0x1
	global_load_b32 v8, v6, s[18:19] scale_offset
	global_load_b32 v9, v7, s[18:19] scale_offset
	s_wait_loadcnt 0x0
	v_fmac_f32_e32 v5, v8, v9
	s_cbranch_scc1 .LBB2_43
.LBB2_44:                               ;   in Loop: Header=BB2_21 Depth=1
	ds_store_b32 v2, v5
	s_wait_dscnt 0x0
	ds_load_b32 v5, v0 offset:384
	ds_load_b32 v6, v1
	s_wait_dscnt 0x1
	v_cmp_eq_f32_e32 vcc_lo, 0, v5
	s_cbranch_vccz .LBB2_18
; %bb.45:                               ;   in Loop: Header=BB2_21 Depth=1
	v_mbcnt_lo_u32_b32 v5, exec_lo, 0
	s_delay_alu instid0(VALU_DEP_1)
	v_cmp_ne_u32_e32 vcc_lo, 0, v5
	s_and_b32 s22, vcc_lo, exec_lo
	s_cbranch_scc1 .LBB2_47
; %bb.46:                               ;   in Loop: Header=BB2_21 Depth=1
	v_mov_b32_e32 v5, s1
	global_atomic_min_i32 v0, v5, s[10:11] scope:SCOPE_DEV
.LBB2_47:                               ;   in Loop: Header=BB2_21 Depth=1
	s_wait_xcnt 0x0
	v_mov_b32_e32 v5, 1.0
	s_branch .LBB2_19
.LBB2_48:
	s_wait_xcnt 0x0
	v_mov_b32_e32 v0, s16
	s_ashr_i32 s17, s16, 31
	s_mov_b32 vcc_lo, 0
	s_lshl_b64 s[4:5], s[16:17], 2
	s_cmp_lg_u32 s28, 0
	s_wait_kmcnt 0x0
	global_load_b32 v1, v0, s[18:19] scale_offset
	s_wait_xcnt 0x0
	v_mov_b32_e32 v0, 0
	s_cselect_b32 s13, -1, 0
	s_add_co_i32 s12, s8, s9
	s_wait_loadcnt 0x0
	ds_store_b32 v0, v1 offset:400
	s_wait_dscnt 0x0
	s_cbranch_vccz .LBB2_53
; %bb.49:
	ds_load_b32 v0, v0 offset:400
	s_wait_dscnt 0x0
	v_cmp_neq_f32_e64 s0, 0, v0
	s_or_b32 s1, s0, s13
	s_delay_alu instid0(SALU_CYCLE_1)
	s_and_b32 vcc_lo, exec_lo, s1
	s_cbranch_vccnz .LBB2_54
; %bb.50:
	v_mbcnt_lo_u32_b32 v0, exec_lo, 0
	s_delay_alu instid0(VALU_DEP_1)
	v_cmp_ne_u32_e32 vcc_lo, 0, v0
	s_and_b32 s0, vcc_lo, exec_lo
	s_cbranch_scc1 .LBB2_52
; %bb.51:
	v_dual_mov_b32 v0, 0 :: v_dual_mov_b32 v1, s12
	global_atomic_min_i32 v0, v1, s[10:11] scope:SCOPE_DEV
.LBB2_52:
	s_wait_xcnt 0x0
	v_mov_b32_e32 v0, 1.0
	s_branch .LBB2_55
.LBB2_53:
	s_add_nc_u64 s[0:1], s[18:19], s[4:5]
	s_cbranch_execnz .LBB2_56
	s_branch .LBB2_59
.LBB2_54:
	v_cndmask_b32_e64 v0, 1.0, v0, s0
.LBB2_55:
	v_mov_b32_e32 v1, 0x190
	v_mov_b32_e32 v2, 0x198
	ds_load_b32 v3, v1
	ds_load_b32 v4, v2
	s_wait_dscnt 0x0
	v_sub_f32_e32 v3, v3, v4
	s_delay_alu instid0(VALU_DEP_1) | instskip(SKIP_1) | instid1(VALU_DEP_2)
	v_div_scale_f32 v4, null, v0, v0, v3
	v_div_scale_f32 v7, vcc_lo, v3, v0, v3
	v_rcp_f32_e32 v5, v4
	v_nop
	v_xor_b32_e32 v4, 0x80000000, v4
	s_delay_alu instid0(TRANS32_DEP_1) | instid1(VALU_DEP_1)
	v_fma_f32 v6, v4, v5, 1.0
	s_delay_alu instid0(VALU_DEP_1) | instskip(NEXT) | instid1(VALU_DEP_1)
	v_fmac_f32_e32 v5, v6, v5
	v_mul_f32_e32 v6, v7, v5
	s_delay_alu instid0(VALU_DEP_1) | instskip(NEXT) | instid1(VALU_DEP_1)
	v_fma_f32 v8, v4, v6, v7
	v_fmac_f32_e32 v6, v8, v5
	s_delay_alu instid0(VALU_DEP_1) | instskip(NEXT) | instid1(VALU_DEP_1)
	v_fmac_f32_e32 v7, v4, v6
	v_div_fmas_f32 v4, v7, v5, v6
	s_delay_alu instid0(VALU_DEP_1)
	v_div_fixup_f32 v0, v4, v0, v3
	v_mov_b32_e32 v3, 0
	ds_store_b32 v1, v0
	s_wait_storecnt_dscnt 0x0
	ds_load_b32 v1, v3 offset:400
	ds_load_b32 v3, v2
	s_wait_dscnt 0x0
	v_fmac_f32_e32 v3, v0, v1
	ds_store_b32 v2, v3
	s_add_nc_u64 s[0:1], s[18:19], s[4:5]
	s_branch .LBB2_59
.LBB2_56:
	v_mov_b32_e32 v2, 0
	ds_load_2addr_b32 v[0:1], v2 offset0:100 offset1:102
	s_wait_dscnt 0x0
	v_readfirstlane_b32 s4, v0
	v_readfirstlane_b32 s5, v1
	s_sub_f32 s4, s4, s5
	s_delay_alu instid0(SALU_CYCLE_3) | instskip(SKIP_2) | instid1(SALU_CYCLE_1)
	s_xor_b32 s5, s4, 0x80000000
	s_cmp_lt_f32 s4, 0
	s_cselect_b32 s4, s5, s4
	s_mul_f32 s5, s4, 0x4f800000
	s_cmp_lt_f32 s4, 0xf800000
	s_delay_alu instid0(SALU_CYCLE_2) | instskip(NEXT) | instid1(SALU_CYCLE_1)
	s_cselect_b32 s5, s5, s4
	v_s_sqrt_f32 s14, s5
	s_mov_b32 s16, s5
	s_delay_alu instid0(TRANS32_DEP_1) | instskip(NEXT) | instid1(SALU_CYCLE_1)
	s_add_co_i32 s15, s14, -1
	s_xor_b32 s17, s15, 0x80000000
	s_delay_alu instid0(SALU_CYCLE_1) | instskip(SKIP_1) | instid1(SALU_CYCLE_2)
	s_fmac_f32 s16, s17, s14
	s_mov_b32 s17, s5
	s_cmp_le_f32 s16, 0
	s_cselect_b32 s15, s15, s14
	s_add_co_i32 s16, s14, 1
	s_delay_alu instid0(SALU_CYCLE_1) | instskip(NEXT) | instid1(SALU_CYCLE_1)
	s_xor_b32 s18, s16, 0x80000000
	s_fmac_f32 s17, s18, s14
	v_cmp_class_f32_e64 s14, s5, 0x260
	s_delay_alu instid0(SALU_CYCLE_2) | instskip(SKIP_3) | instid1(SALU_CYCLE_3)
	s_cmp_gt_f32 s17, 0
	s_cselect_b32 s15, s16, s15
	s_cmp_lt_f32 s4, 0xf800000
	s_mul_f32 s4, s15, 0x37800000
	s_cselect_b32 s4, s4, s15
	s_and_b32 s14, s14, exec_lo
	s_cselect_b32 s4, s5, s4
	s_delay_alu instid0(SALU_CYCLE_1)
	v_mov_b32_e32 v0, s4
	ds_store_b32 v2, v0 offset:400
	s_wait_dscnt 0x0
	ds_load_b32 v0, v2 offset:400
	s_wait_dscnt 0x0
	v_cmp_neq_f32_e32 vcc_lo, 0, v0
	s_or_b32 s4, vcc_lo, s13
	s_delay_alu instid0(SALU_CYCLE_1)
	s_and_b32 vcc_lo, exec_lo, s4
	s_cbranch_vccnz .LBB2_59
; %bb.57:
	v_mbcnt_lo_u32_b32 v0, exec_lo, 0
	s_delay_alu instid0(VALU_DEP_1)
	v_cmp_ne_u32_e32 vcc_lo, 0, v0
	s_and_b32 s4, vcc_lo, exec_lo
	s_cbranch_scc1 .LBB2_59
; %bb.58:
	v_dual_mov_b32 v0, 0 :: v_dual_mov_b32 v1, s12
	global_atomic_min_i32 v0, v1, s[10:11] scope:SCOPE_DEV
.LBB2_59:
	s_wait_xcnt 0x0
	v_dual_mov_b32 v0, 0x190 :: v_dual_mov_b32 v1, 0
	s_wait_storecnt_dscnt 0x0
	s_cmp_eq_u32 s28, 0
	ds_load_b32 v0, v0
	s_cselect_b32 s12, -1, 0
	s_wait_dscnt 0x0
	global_store_b32 v1, v0, s[0:1]
	s_branch .LBB2_61
.LBB2_60:
	s_mov_b32 vcc_lo, exec_lo
	s_cbranch_vccnz .LBB2_64
.LBB2_61:
	s_and_b32 vcc_lo, exec_lo, s12
	s_cbranch_vccz .LBB2_63
.LBB2_62:
	s_wait_xcnt 0x0
	v_dual_mov_b32 v0, 0 :: v_dual_mov_b32 v1, 1
	s_add_nc_u64 s[0:1], s[6:7], s[2:3]
	global_wb scope:SCOPE_DEV
	s_wait_storecnt 0x0
	global_store_b32 v0, v1, s[0:1] scope:SCOPE_DEV
.LBB2_63:
	s_endpgm
.LBB2_64:
	s_wait_xcnt 0x0
	v_mbcnt_lo_u32_b32 v0, exec_lo, 0
	s_delay_alu instid0(VALU_DEP_1)
	v_cmp_ne_u32_e32 vcc_lo, 0, v0
	s_and_b32 s0, vcc_lo, exec_lo
	s_cbranch_scc0 .LBB2_66
; %bb.65:
	s_cbranch_execnz .LBB2_62
	s_branch .LBB2_63
.LBB2_66:
	s_add_co_i32 s0, s8, s9
	s_delay_alu instid0(SALU_CYCLE_1)
	v_dual_mov_b32 v0, 0 :: v_dual_mov_b32 v1, s0
	global_atomic_min_i32 v0, v1, s[10:11] scope:SCOPE_DEV
	s_cbranch_execnz .LBB2_62
	s_branch .LBB2_63
	.section	.rodata,"a",@progbits
	.p2align	6, 0x0
	.amdhsa_kernel _ZN9rocsparseL26bsric0_2_8_unrolled_kernelILi1ELi32ELi1EfEEv20rocsparse_direction_iiPKiS3_PT2_S3_PiS3_S6_21rocsparse_index_base_
		.amdhsa_group_segment_fixed_size 416
		.amdhsa_private_segment_fixed_size 0
		.amdhsa_kernarg_size 76
		.amdhsa_user_sgpr_count 2
		.amdhsa_user_sgpr_dispatch_ptr 0
		.amdhsa_user_sgpr_queue_ptr 0
		.amdhsa_user_sgpr_kernarg_segment_ptr 1
		.amdhsa_user_sgpr_dispatch_id 0
		.amdhsa_user_sgpr_kernarg_preload_length 0
		.amdhsa_user_sgpr_kernarg_preload_offset 0
		.amdhsa_user_sgpr_private_segment_size 0
		.amdhsa_wavefront_size32 1
		.amdhsa_uses_dynamic_stack 0
		.amdhsa_enable_private_segment 0
		.amdhsa_system_sgpr_workgroup_id_x 1
		.amdhsa_system_sgpr_workgroup_id_y 0
		.amdhsa_system_sgpr_workgroup_id_z 0
		.amdhsa_system_sgpr_workgroup_info 0
		.amdhsa_system_vgpr_workitem_id 0
		.amdhsa_next_free_vgpr 37
		.amdhsa_next_free_sgpr 54
		.amdhsa_named_barrier_count 0
		.amdhsa_reserve_vcc 1
		.amdhsa_float_round_mode_32 0
		.amdhsa_float_round_mode_16_64 0
		.amdhsa_float_denorm_mode_32 3
		.amdhsa_float_denorm_mode_16_64 3
		.amdhsa_fp16_overflow 0
		.amdhsa_memory_ordered 1
		.amdhsa_forward_progress 1
		.amdhsa_inst_pref_size 26
		.amdhsa_round_robin_scheduling 0
		.amdhsa_exception_fp_ieee_invalid_op 0
		.amdhsa_exception_fp_denorm_src 0
		.amdhsa_exception_fp_ieee_div_zero 0
		.amdhsa_exception_fp_ieee_overflow 0
		.amdhsa_exception_fp_ieee_underflow 0
		.amdhsa_exception_fp_ieee_inexact 0
		.amdhsa_exception_int_div_zero 0
	.end_amdhsa_kernel
	.section	.text._ZN9rocsparseL26bsric0_2_8_unrolled_kernelILi1ELi32ELi1EfEEv20rocsparse_direction_iiPKiS3_PT2_S3_PiS3_S6_21rocsparse_index_base_,"axG",@progbits,_ZN9rocsparseL26bsric0_2_8_unrolled_kernelILi1ELi32ELi1EfEEv20rocsparse_direction_iiPKiS3_PT2_S3_PiS3_S6_21rocsparse_index_base_,comdat
.Lfunc_end2:
	.size	_ZN9rocsparseL26bsric0_2_8_unrolled_kernelILi1ELi32ELi1EfEEv20rocsparse_direction_iiPKiS3_PT2_S3_PiS3_S6_21rocsparse_index_base_, .Lfunc_end2-_ZN9rocsparseL26bsric0_2_8_unrolled_kernelILi1ELi32ELi1EfEEv20rocsparse_direction_iiPKiS3_PT2_S3_PiS3_S6_21rocsparse_index_base_
                                        ; -- End function
	.set _ZN9rocsparseL26bsric0_2_8_unrolled_kernelILi1ELi32ELi1EfEEv20rocsparse_direction_iiPKiS3_PT2_S3_PiS3_S6_21rocsparse_index_base_.num_vgpr, 37
	.set _ZN9rocsparseL26bsric0_2_8_unrolled_kernelILi1ELi32ELi1EfEEv20rocsparse_direction_iiPKiS3_PT2_S3_PiS3_S6_21rocsparse_index_base_.num_agpr, 0
	.set _ZN9rocsparseL26bsric0_2_8_unrolled_kernelILi1ELi32ELi1EfEEv20rocsparse_direction_iiPKiS3_PT2_S3_PiS3_S6_21rocsparse_index_base_.numbered_sgpr, 54
	.set _ZN9rocsparseL26bsric0_2_8_unrolled_kernelILi1ELi32ELi1EfEEv20rocsparse_direction_iiPKiS3_PT2_S3_PiS3_S6_21rocsparse_index_base_.num_named_barrier, 0
	.set _ZN9rocsparseL26bsric0_2_8_unrolled_kernelILi1ELi32ELi1EfEEv20rocsparse_direction_iiPKiS3_PT2_S3_PiS3_S6_21rocsparse_index_base_.private_seg_size, 0
	.set _ZN9rocsparseL26bsric0_2_8_unrolled_kernelILi1ELi32ELi1EfEEv20rocsparse_direction_iiPKiS3_PT2_S3_PiS3_S6_21rocsparse_index_base_.uses_vcc, 1
	.set _ZN9rocsparseL26bsric0_2_8_unrolled_kernelILi1ELi32ELi1EfEEv20rocsparse_direction_iiPKiS3_PT2_S3_PiS3_S6_21rocsparse_index_base_.uses_flat_scratch, 0
	.set _ZN9rocsparseL26bsric0_2_8_unrolled_kernelILi1ELi32ELi1EfEEv20rocsparse_direction_iiPKiS3_PT2_S3_PiS3_S6_21rocsparse_index_base_.has_dyn_sized_stack, 0
	.set _ZN9rocsparseL26bsric0_2_8_unrolled_kernelILi1ELi32ELi1EfEEv20rocsparse_direction_iiPKiS3_PT2_S3_PiS3_S6_21rocsparse_index_base_.has_recursion, 0
	.set _ZN9rocsparseL26bsric0_2_8_unrolled_kernelILi1ELi32ELi1EfEEv20rocsparse_direction_iiPKiS3_PT2_S3_PiS3_S6_21rocsparse_index_base_.has_indirect_call, 0
	.section	.AMDGPU.csdata,"",@progbits
; Kernel info:
; codeLenInByte = 3212
; TotalNumSgprs: 56
; NumVgprs: 37
; ScratchSize: 0
; MemoryBound: 0
; FloatMode: 240
; IeeeMode: 1
; LDSByteSize: 416 bytes/workgroup (compile time only)
; SGPRBlocks: 0
; VGPRBlocks: 2
; NumSGPRsForWavesPerEU: 56
; NumVGPRsForWavesPerEU: 37
; NamedBarCnt: 0
; Occupancy: 16
; WaveLimiterHint : 1
; COMPUTE_PGM_RSRC2:SCRATCH_EN: 0
; COMPUTE_PGM_RSRC2:USER_SGPR: 2
; COMPUTE_PGM_RSRC2:TRAP_HANDLER: 0
; COMPUTE_PGM_RSRC2:TGID_X_EN: 1
; COMPUTE_PGM_RSRC2:TGID_Y_EN: 0
; COMPUTE_PGM_RSRC2:TGID_Z_EN: 0
; COMPUTE_PGM_RSRC2:TIDIG_COMP_CNT: 0
	.section	.text._ZN9rocsparseL26bsric0_2_8_unrolled_kernelILi4ELi32ELi2EfEEv20rocsparse_direction_iiPKiS3_PT2_S3_PiS3_S6_21rocsparse_index_base_,"axG",@progbits,_ZN9rocsparseL26bsric0_2_8_unrolled_kernelILi4ELi32ELi2EfEEv20rocsparse_direction_iiPKiS3_PT2_S3_PiS3_S6_21rocsparse_index_base_,comdat
	.globl	_ZN9rocsparseL26bsric0_2_8_unrolled_kernelILi4ELi32ELi2EfEEv20rocsparse_direction_iiPKiS3_PT2_S3_PiS3_S6_21rocsparse_index_base_ ; -- Begin function _ZN9rocsparseL26bsric0_2_8_unrolled_kernelILi4ELi32ELi2EfEEv20rocsparse_direction_iiPKiS3_PT2_S3_PiS3_S6_21rocsparse_index_base_
	.p2align	8
	.type	_ZN9rocsparseL26bsric0_2_8_unrolled_kernelILi4ELi32ELi2EfEEv20rocsparse_direction_iiPKiS3_PT2_S3_PiS3_S6_21rocsparse_index_base_,@function
_ZN9rocsparseL26bsric0_2_8_unrolled_kernelILi4ELi32ELi2EfEEv20rocsparse_direction_iiPKiS3_PT2_S3_PiS3_S6_21rocsparse_index_base_: ; @_ZN9rocsparseL26bsric0_2_8_unrolled_kernelILi4ELi32ELi2EfEEv20rocsparse_direction_iiPKiS3_PT2_S3_PiS3_S6_21rocsparse_index_base_
; %bb.0:
	s_load_b256 s[4:11], s[0:1], 0x28
	s_bfe_u32 s2, ttmp6, 0x4000c
	s_and_b32 s3, ttmp6, 15
	s_add_co_i32 s2, s2, 1
	s_getreg_b32 s12, hwreg(HW_REG_IB_STS2, 6, 4)
	s_mul_i32 s2, ttmp9, s2
	v_and_b32_e32 v4, 0x3ff, v0
	s_add_co_i32 s3, s3, s2
	s_cmp_eq_u32 s12, 0
	v_bfe_u32 v5, v0, 10, 10
	s_cselect_b32 s2, ttmp9, s3
	s_wait_kmcnt 0x0
	s_load_b32 s8, s[8:9], s2 offset:0x0 scale_offset
	s_wait_kmcnt 0x0
	s_ashr_i32 s9, s8, 31
	s_delay_alu instid0(SALU_CYCLE_1) | instskip(NEXT) | instid1(SALU_CYCLE_1)
	s_lshl_b64 s[2:3], s[8:9], 2
	s_add_nc_u64 s[12:13], s[4:5], s[2:3]
	s_load_b32 s26, s[12:13], 0x0
	s_load_b32 s9, s[0:1], 0x48
	s_wait_kmcnt 0x0
	s_cmp_lg_u32 s26, -1
	s_cbranch_scc0 .LBB3_15
; %bb.1:
	s_load_b128 s[12:15], s[0:1], 0x10
	s_wait_kmcnt 0x0
	s_add_nc_u64 s[16:17], s[12:13], s[2:3]
	s_load_b32 s17, s[16:17], 0x0
	s_wait_xcnt 0x0
	s_mov_b32 s16, exec_lo
	s_wait_kmcnt 0x0
	s_sub_co_i32 s27, s17, s9
	v_lshlrev_b32_e32 v7, 1, v5
	s_delay_alu instid0(VALU_DEP_1) | instskip(NEXT) | instid1(VALU_DEP_1)
	v_add_nc_u32_e32 v6, v7, v4
	v_add_nc_u32_e32 v0, s27, v6
	s_delay_alu instid0(VALU_DEP_1)
	v_cmpx_ge_i32_e64 s26, v0
	s_cbranch_execz .LBB3_13
; %bb.2:
	v_add_nc_u32_e32 v1, s17, v6
	s_add_co_i32 s18, s26, 1
	v_not_b32_e32 v2, v4
	s_mov_b32 s19, -1
	s_delay_alu instid0(VALU_DEP_2) | instskip(NEXT) | instid1(VALU_DEP_1)
	v_subrev_nc_u32_e32 v1, s9, v1
	v_add_max_i32_e64 v1, v1, 4, s18
	s_mov_b32 s18, exec_lo
	s_delay_alu instid0(VALU_DEP_1) | instskip(SKIP_1) | instid1(VALU_DEP_1)
	v_add3_u32 v1, s9, v1, v2
	v_add_nc_u32_e32 v2, s17, v7
	v_sub_nc_u32_e32 v1, v1, v2
	s_delay_alu instid0(VALU_DEP_1)
	v_cmpx_lt_u32_e32 3, v1
	s_cbranch_execz .LBB3_10
; %bb.3:
	v_dual_lshrrev_b32 v8, 2, v1 :: v_dual_add_nc_u32 v1, 4, v0
	s_delay_alu instid0(VALU_DEP_1) | instskip(NEXT) | instid1(VALU_DEP_1)
	v_add_nc_u32_e32 v2, -1, v8
	v_lshrrev_b32_e32 v3, 1, v2
	s_delay_alu instid0(VALU_DEP_1)
	v_add_nc_u32_e32 v9, 1, v3
	v_cmp_lt_u32_e32 vcc_lo, 13, v2
	v_mov_b64_e32 v[2:3], v[0:1]
	s_and_saveexec_b32 s19, vcc_lo
	s_cbranch_execz .LBB3_7
; %bb.4:
	v_mov_b64_e32 v[2:3], v[0:1]
	v_and_b32_e32 v10, -8, v9
	s_mov_b32 s20, 0
.LBB3_5:                                ; =>This Inner Loop Header: Depth=1
	s_clause 0x1
	global_load_b32 v1, v2, s[14:15] scale_offset
	global_load_b32 v11, v3, s[14:15] scale_offset
	v_dual_add_nc_u32 v18, 32, v3 :: v_dual_add_nc_u32 v19, 32, v2
	v_dual_add_nc_u32 v16, 24, v3 :: v_dual_add_nc_u32 v17, 24, v2
	;; [unrolled: 1-line block ×7, first 2 shown]
	s_clause 0xd
	global_load_b32 v26, v18, s[14:15] scale_offset
	global_load_b32 v27, v16, s[14:15] scale_offset
	;; [unrolled: 1-line block ×14, first 2 shown]
	v_subrev_nc_u32_e32 v40, s27, v2
	v_subrev_nc_u32_e32 v41, s27, v3
	s_wait_xcnt 0xe
	v_dual_add_nc_u32 v3, 64, v3 :: v_dual_add_nc_u32 v10, -8, v10
	s_wait_xcnt 0x9
	v_subrev_nc_u32_e32 v13, s27, v13
	v_dual_lshlrev_b32 v40, 2, v40 :: v_dual_lshlrev_b32 v41, 2, v41
	v_subrev_nc_u32_e32 v12, s27, v12
	s_wait_xcnt 0x8
	v_subrev_nc_u32_e32 v15, s27, v15
	v_subrev_nc_u32_e32 v14, s27, v14
	v_cmp_eq_u32_e32 vcc_lo, 0, v10
	s_wait_xcnt 0x7
	v_subrev_nc_u32_e32 v17, s27, v17
	v_subrev_nc_u32_e32 v16, s27, v16
	;; [unrolled: 1-line block ×3, first 2 shown]
	s_wait_xcnt 0x6
	v_subrev_nc_u32_e32 v19, s27, v19
	s_wait_xcnt 0x3
	v_subrev_nc_u32_e32 v20, s27, v20
	;; [unrolled: 2-line block ×3, first 2 shown]
	v_subrev_nc_u32_e32 v22, s27, v22
	s_wait_xcnt 0x1
	v_subrev_nc_u32_e32 v23, s27, v23
	v_subrev_nc_u32_e32 v24, s27, v24
	s_wait_xcnt 0x0
	v_subrev_nc_u32_e32 v25, s27, v25
	v_dual_add_nc_u32 v2, 64, v2 :: v_dual_lshlrev_b32 v13, 2, v13
	v_dual_lshlrev_b32 v12, 2, v12 :: v_dual_lshlrev_b32 v15, 2, v15
	v_dual_lshlrev_b32 v14, 2, v14 :: v_dual_lshlrev_b32 v17, 2, v17
	s_or_b32 s20, vcc_lo, s20
	v_dual_lshlrev_b32 v16, 2, v16 :: v_dual_lshlrev_b32 v19, 2, v19
	v_dual_lshlrev_b32 v18, 2, v18 :: v_dual_lshlrev_b32 v21, 2, v21
	;; [unrolled: 1-line block ×4, first 2 shown]
	v_lshlrev_b32_e32 v24, 2, v24
	s_wait_loadcnt 0xf
	v_subrev_nc_u32_e32 v1, s9, v1
	s_wait_loadcnt 0xe
	v_subrev_nc_u32_e32 v11, s9, v11
	ds_store_b32 v40, v1 offset:256
	ds_store_b32 v41, v11 offset:256
	s_wait_loadcnt 0xa
	v_subrev_nc_u32_e32 v1, s9, v29
	s_wait_loadcnt 0x9
	v_subrev_nc_u32_e32 v11, s9, v30
	;; [unrolled: 2-line block ×3, first 2 shown]
	v_subrev_nc_u32_e32 v28, s9, v28
	s_wait_loadcnt 0x7
	v_subrev_nc_u32_e32 v30, s9, v32
	v_subrev_nc_u32_e32 v27, s9, v27
	;; [unrolled: 1-line block ×3, first 2 shown]
	s_wait_loadcnt 0x6
	v_subrev_nc_u32_e32 v31, s9, v33
	s_wait_loadcnt 0x3
	v_subrev_nc_u32_e32 v32, s9, v36
	;; [unrolled: 2-line block ×3, first 2 shown]
	v_subrev_nc_u32_e32 v35, s9, v35
	s_wait_loadcnt 0x1
	v_subrev_nc_u32_e32 v36, s9, v38
	v_subrev_nc_u32_e32 v34, s9, v34
	s_wait_loadcnt 0x0
	v_subrev_nc_u32_e32 v37, s9, v39
	ds_store_b32 v13, v11 offset:256
	ds_store_b32 v12, v1 offset:256
	;; [unrolled: 1-line block ×14, first 2 shown]
	s_and_not1_b32 exec_lo, exec_lo, s20
	s_cbranch_execnz .LBB3_5
; %bb.6:
	s_or_b32 exec_lo, exec_lo, s20
.LBB3_7:
	s_delay_alu instid0(SALU_CYCLE_1) | instskip(SKIP_3) | instid1(VALU_DEP_1)
	s_or_b32 exec_lo, exec_lo, s19
	v_and_b32_e32 v1, 7, v9
	s_mov_b32 s20, 0
	s_mov_b32 s19, exec_lo
	v_cmpx_ne_u32_e32 0, v1
	s_cbranch_execz .LBB3_9
.LBB3_8:                                ; =>This Inner Loop Header: Depth=1
	s_clause 0x1
	global_load_b32 v9, v2, s[14:15] scale_offset
	global_load_b32 v10, v3, s[14:15] scale_offset
	v_add_nc_u32_e32 v1, -1, v1
	v_subrev_nc_u32_e32 v11, s27, v2
	v_subrev_nc_u32_e32 v12, s27, v3
	s_wait_xcnt 0x0
	v_dual_add_nc_u32 v3, 8, v3 :: v_dual_add_nc_u32 v2, 8, v2
	v_cmp_eq_u32_e32 vcc_lo, 0, v1
	s_delay_alu instid0(VALU_DEP_3)
	v_dual_lshlrev_b32 v11, 2, v11 :: v_dual_lshlrev_b32 v12, 2, v12
	s_or_b32 s20, vcc_lo, s20
	s_wait_loadcnt 0x1
	v_subrev_nc_u32_e32 v9, s9, v9
	s_wait_loadcnt 0x0
	v_subrev_nc_u32_e32 v10, s9, v10
	ds_store_b32 v11, v9 offset:256
	ds_store_b32 v12, v10 offset:256
	s_and_not1_b32 exec_lo, exec_lo, s20
	s_cbranch_execnz .LBB3_8
.LBB3_9:
	s_or_b32 exec_lo, exec_lo, s19
	v_add_nc_u32_e32 v1, 1, v8
	s_delay_alu instid0(VALU_DEP_1) | instskip(NEXT) | instid1(VALU_DEP_1)
	v_and_b32_e32 v2, 0x7ffffffe, v1
	v_cmp_ne_u32_e32 vcc_lo, v1, v2
	v_lshl_add_u32 v0, v2, 2, v0
	s_or_not1_b32 s19, vcc_lo, exec_lo
.LBB3_10:
	s_or_b32 exec_lo, exec_lo, s18
	s_delay_alu instid0(SALU_CYCLE_1)
	s_and_b32 exec_lo, exec_lo, s19
	s_cbranch_execz .LBB3_13
; %bb.11:
	v_add_nc_u32_e32 v1, s9, v0
	s_delay_alu instid0(VALU_DEP_1) | instskip(SKIP_2) | instid1(VALU_DEP_2)
	v_subrev_nc_u32_e32 v2, s17, v1
	v_ashrrev_i32_e32 v1, 31, v0
	s_mov_b32 s17, 0
	v_lshl_add_u32 v8, v2, 2, 0x100
	s_delay_alu instid0(VALU_DEP_2)
	v_lshl_add_u64 v[2:3], v[0:1], 2, s[14:15]
.LBB3_12:                               ; =>This Inner Loop Header: Depth=1
	global_load_b32 v1, v[2:3], off
	v_add_nc_u32_e32 v0, 4, v0
	s_wait_xcnt 0x0
	v_add_nc_u64_e32 v[2:3], 16, v[2:3]
	s_delay_alu instid0(VALU_DEP_2)
	v_cmp_lt_i32_e32 vcc_lo, s26, v0
	s_or_b32 s17, vcc_lo, s17
	s_wait_loadcnt 0x0
	v_subrev_nc_u32_e32 v1, s9, v1
	ds_store_b32 v8, v1
	v_add_nc_u32_e32 v8, 16, v8
	s_and_not1_b32 exec_lo, exec_lo, s17
	s_cbranch_execnz .LBB3_12
.LBB3_13:
	s_or_b32 exec_lo, exec_lo, s16
	s_load_b64 s[16:17], s[0:1], 0x20
	v_mad_u32_u24 v9, v5, 12, 0x1e0
	v_mov_b32_e32 v0, 0
	s_cmp_lt_i32 s27, s26
	s_delay_alu instid0(VALU_DEP_2)
	v_lshl_add_u32 v8, v4, 2, v9
	ds_store_b32 v8, v0
	s_wait_dscnt 0x0
	s_cbranch_scc1 .LBB3_17
; %bb.14:
	v_lshl_add_u32 v13, v4, 1, v5
	v_or_b32_e32 v10, v4, v5
	s_mov_b32 s18, 0
	s_branch .LBB3_18
.LBB3_15:
	s_cbranch_execnz .LBB3_83
.LBB3_16:
	s_endpgm
.LBB3_17:
	s_mov_b32 s18, -1
                                        ; implicit-def: $vgpr13
                                        ; implicit-def: $vgpr10
.LBB3_18:
	s_wait_xcnt 0x0
	s_load_b32 s1, s[0:1], 0x0
	v_mad_u32_u24 v12, v5, 12, 0x1c0
	v_mad_u32_u24 v11, v4, 12, 0x1c0
	s_and_not1_b32 vcc_lo, exec_lo, s18
	s_cbranch_vccnz .LBB3_64
; %bb.19:
	v_dual_lshlrev_b32 v14, 1, v4 :: v_dual_lshlrev_b32 v0, 2, v4
	s_wait_kmcnt 0x0
	s_cmp_lg_u32 s1, 0
	v_mul_u32_u24_e32 v1, 12, v5
	v_mad_u32_u24 v16, v5, 12, 0x1a0
	v_dual_add_nc_u32 v13, v14, v5 :: v_dual_add_nc_u32 v15, v12, v0
	v_dual_add_nc_u32 v18, 2, v4 :: v_dual_bitop2_b32 v10, v4, v5 bitop3:0x54
	s_cselect_b32 s28, -1, 0
	s_cmp_eq_u32 s1, 0
	v_add3_u32 v17, v1, v0, 0x180
	s_cselect_b32 vcc_lo, -1, 0
	v_dual_add_nc_u32 v19, 2, v5 :: v_dual_add_nc_u32 v20, v16, v0
	v_cmp_ne_u32_e64 s0, 0, v10
	v_dual_cndmask_b32 v21, v13, v6 :: v_dual_mov_b32 v22, 0
	s_mov_b32 s18, s27
	s_branch .LBB3_23
.LBB3_20:                               ;   in Loop: Header=BB3_23 Depth=1
	s_wait_xcnt 0x0
	s_or_b32 exec_lo, exec_lo, s21
	v_mov_b32_e32 v3, 1.0
.LBB3_21:                               ;   in Loop: Header=BB3_23 Depth=1
	s_or_b32 exec_lo, exec_lo, s20
	ds_load_b32 v23, v22 offset:396
	ds_load_b32 v24, v12
	ds_load_b32 v25, v16 offset:4
	s_add_co_i32 s18, s18, 1
	s_delay_alu instid0(SALU_CYCLE_1) | instskip(SKIP_3) | instid1(VALU_DEP_1)
	s_cmp_ge_i32 s18, s26
	s_cselect_b32 s24, -1, 0
	s_wait_dscnt 0x0
	v_fmac_f32_e32 v25, v23, v24
	v_sub_f32_e32 v2, v2, v25
	s_delay_alu instid0(VALU_DEP_1) | instskip(NEXT) | instid1(VALU_DEP_1)
	v_div_scale_f32 v23, null, v3, v3, v2
	v_rcp_f32_e32 v24, v23
	v_nop
	s_delay_alu instid0(TRANS32_DEP_1) | instskip(NEXT) | instid1(VALU_DEP_1)
	v_fma_f32 v25, -v23, v24, 1.0
	v_fmac_f32_e32 v24, v25, v24
	v_div_scale_f32 v26, vcc_lo, v2, v3, v2
	s_delay_alu instid0(VALU_DEP_1) | instskip(NEXT) | instid1(VALU_DEP_1)
	v_mul_f32_e32 v25, v26, v24
	v_fma_f32 v27, -v23, v25, v26
	s_delay_alu instid0(VALU_DEP_1) | instskip(NEXT) | instid1(VALU_DEP_1)
	v_fmac_f32_e32 v25, v27, v24
	v_fma_f32 v23, -v23, v25, v26
	s_delay_alu instid0(VALU_DEP_1) | instskip(NEXT) | instid1(VALU_DEP_1)
	v_div_fmas_f32 v23, v23, v24, v25
	v_div_fixup_f32 v2, v23, v3, v2
	ds_store_b32 v12, v2 offset:4
	s_wait_storecnt_dscnt 0x0
	ds_load_b32 v3, v11 offset:4
	ds_load_b32 v23, v8
	s_wait_dscnt 0x0
	v_fmac_f32_e32 v23, v2, v3
	ds_store_b32 v8, v23
	s_wait_dscnt 0x0
	ds_load_b32 v2, v15
	s_wait_dscnt 0x0
	global_store_b32 v[0:1], v2, off
	global_wb scope:SCOPE_DEV
	s_wait_storecnt 0x0
	global_inv scope:SCOPE_DEV
.LBB3_22:                               ;   in Loop: Header=BB3_23 Depth=1
	s_and_b32 vcc_lo, exec_lo, s24
	s_cbranch_vccnz .LBB3_64
.LBB3_23:                               ; =>This Loop Header: Depth=1
                                        ;     Child Loop BB3_26 Depth 2
                                        ;     Child Loop BB3_37 Depth 2
	;; [unrolled: 1-line block ×3, first 2 shown]
	s_ashr_i32 s19, s18, 31
	s_delay_alu instid0(SALU_CYCLE_1) | instskip(NEXT) | instid1(SALU_CYCLE_1)
	s_lshl_b64 s[20:21], s[18:19], 2
	s_add_nc_u64 s[20:21], s[14:15], s[20:21]
	s_load_b32 s19, s[20:21], 0x0
	s_wait_kmcnt 0x0
	s_sub_co_i32 s22, s19, s9
	s_delay_alu instid0(SALU_CYCLE_1) | instskip(SKIP_2) | instid1(SALU_CYCLE_1)
	s_ashr_i32 s23, s22, 31
	s_wait_xcnt 0x0
	s_lshl_b64 s[20:21], s[22:23], 2
	s_add_nc_u64 s[24:25], s[4:5], s[20:21]
	s_load_b32 s23, s[24:25], 0x0
	s_wait_xcnt 0x0
	s_mov_b32 s24, -1
	s_wait_kmcnt 0x0
	s_cmp_eq_u32 s23, -1
	s_cbranch_scc1 .LBB3_22
; %bb.24:                               ;   in Loop: Header=BB3_23 Depth=1
	v_lshl_add_u32 v0, s18, 2, v21
	s_add_nc_u64 s[24:25], s[12:13], s[20:21]
	ds_load_b32 v2, v22 offset:256
	s_load_b32 s24, s[24:25], 0x0
	global_load_b32 v1, v0, s[16:17] scale_offset
	s_wait_dscnt 0x0
	v_cmp_ge_i32_e32 vcc_lo, s22, v2
	s_wait_kmcnt 0x0
	s_sub_co_i32 s24, s24, s9
	s_delay_alu instid0(SALU_CYCLE_1) | instskip(SKIP_1) | instid1(SALU_CYCLE_1)
	s_cmp_le_i32 s24, s23
	s_cselect_b32 s25, -1, 0
	s_and_b32 s25, s25, vcc_lo
	s_delay_alu instid0(SALU_CYCLE_1)
	s_and_not1_b32 vcc_lo, exec_lo, s25
	s_mov_b32 s25, 0
	s_wait_loadcnt 0x0
	ds_store_b32 v15, v1
	s_cbranch_vccnz .LBB3_36
; %bb.25:                               ;   in Loop: Header=BB3_23 Depth=1
	s_mov_b32 s29, 0
	s_mov_b32 s30, 0
.LBB3_26:                               ;   Parent Loop BB3_23 Depth=1
                                        ; =>  This Inner Loop Header: Depth=2
	s_ashr_i32 s25, s24, 31
	s_lshl_b32 s31, s30, 2
	s_lshl_b64 s[34:35], s[24:25], 2
	v_mov_b32_e32 v1, s31
	s_add_nc_u64 s[34:35], s[14:15], s[34:35]
                                        ; implicit-def: $sgpr33
	s_load_b32 s25, s[34:35], 0x0
	s_wait_xcnt 0x0
	s_mov_b32 s35, -1
	ds_load_b32 v1, v1 offset:256
                                        ; implicit-def: $sgpr34
	s_wait_kmcnt 0x0
	s_sub_co_i32 s36, s25, s9
                                        ; implicit-def: $sgpr25
	s_wait_dscnt 0x0
	v_readfirstlane_b32 s31, v1
	v_cmp_ge_i32_e32 vcc_lo, s36, v1
	s_cbranch_vccz .LBB3_32
; %bb.27:                               ;   in Loop: Header=BB3_26 Depth=2
	s_cmp_le_i32 s36, s31
                                        ; implicit-def: $sgpr25
                                        ; implicit-def: $sgpr34
                                        ; implicit-def: $sgpr33
	s_cbranch_scc0 .LBB3_29
; %bb.28:                               ;   in Loop: Header=BB3_26 Depth=2
	s_add_co_i32 s25, s30, s27
	s_lshl_b32 s33, s29, 2
	s_lshl_b32 s25, s25, 2
	s_delay_alu instid0(SALU_CYCLE_1)
	v_dual_mov_b32 v1, s33 :: v_dual_mov_b32 v2, s25
	s_lshl_b32 s33, s24, 2
	s_add_co_i32 s34, s24, 1
	v_mov_b32_e32 v3, s33
	s_add_co_i32 s33, s30, 1
	s_add_co_i32 s25, s29, 1
	s_mov_b32 s35, 0
	ds_store_2addr_b32 v1, v3, v2 offset1:32
.LBB3_29:                               ;   in Loop: Header=BB3_26 Depth=2
	s_and_not1_b32 vcc_lo, exec_lo, s35
	s_cbranch_vccnz .LBB3_31
; %bb.30:                               ;   in Loop: Header=BB3_26 Depth=2
	s_add_co_i32 s33, s30, 1
	s_mov_b32 s25, s29
	s_mov_b32 s34, s24
.LBB3_31:                               ;   in Loop: Header=BB3_26 Depth=2
	s_mov_b32 s35, 0
.LBB3_32:                               ;   in Loop: Header=BB3_26 Depth=2
	s_delay_alu instid0(SALU_CYCLE_1)
	s_and_not1_b32 vcc_lo, exec_lo, s35
	s_cbranch_vccnz .LBB3_34
; %bb.33:                               ;   in Loop: Header=BB3_26 Depth=2
	s_add_co_i32 s34, s24, 1
	s_mov_b32 s33, s30
	s_mov_b32 s25, s29
.LBB3_34:                               ;   in Loop: Header=BB3_26 Depth=2
	s_cmp_le_i32 s34, s23
	s_cselect_b32 s24, -1, 0
	s_cmp_le_i32 s31, s22
	s_cselect_b32 s29, -1, 0
	s_delay_alu instid0(SALU_CYCLE_1) | instskip(NEXT) | instid1(SALU_CYCLE_1)
	s_and_b32 s24, s24, s29
	s_and_b32 vcc_lo, exec_lo, s24
	s_cbranch_vccz .LBB3_36
; %bb.35:                               ;   in Loop: Header=BB3_26 Depth=2
	s_mov_b32 s29, s25
	s_mov_b32 s24, s34
	;; [unrolled: 1-line block ×3, first 2 shown]
	s_branch .LBB3_26
.LBB3_36:                               ;   in Loop: Header=BB3_23 Depth=1
	v_ashrrev_i32_e32 v1, 31, v0
	s_add_nc_u64 s[20:21], s[6:7], s[20:21]
	s_wait_dscnt 0x0
	s_wait_xcnt 0x0
	s_delay_alu instid0(VALU_DEP_1)
	v_lshl_add_u64 v[0:1], v[0:1], 2, s[16:17]
.LBB3_37:                               ;   Parent Loop BB3_23 Depth=1
                                        ; =>  This Inner Loop Header: Depth=2
	global_load_b32 v2, v22, s[20:21] scope:SCOPE_DEV
	s_wait_loadcnt 0x0
	v_cmp_eq_u32_e32 vcc_lo, 0, v2
	s_cbranch_vccnz .LBB3_37
; %bb.38:                               ;   in Loop: Header=BB3_23 Depth=1
	v_lshl_add_u32 v2, s23, 2, v21
	global_inv scope:SCOPE_DEV
	v_mov_b32_e32 v23, 0
	s_cmp_lt_i32 s25, 2
	global_load_b32 v2, v2, s[16:17] scale_offset
	s_wait_loadcnt 0x0
	ds_store_b32 v17, v2
	s_wait_dscnt 0x0
	s_cbranch_scc1 .LBB3_57
; %bb.39:                               ;   in Loop: Header=BB3_23 Depth=1
	v_mov_b32_e32 v23, 0
	s_add_co_i32 s20, s25, -1
	s_cmp_eq_u32 s25, 2
	s_cbranch_scc1 .LBB3_50
; %bb.40:                               ;   in Loop: Header=BB3_23 Depth=1
	s_and_b32 s21, s20, -2
	s_mov_b32 s22, 0
	s_mov_b32 s23, 0
	s_branch .LBB3_42
.LBB3_41:                               ;   in Loop: Header=BB3_42 Depth=2
	s_add_co_i32 s23, s23, 2
	s_add_co_i32 s22, s22, 8
	s_cmp_eq_u32 s21, s23
	s_cbranch_scc1 .LBB3_51
.LBB3_42:                               ;   Parent Loop BB3_23 Depth=1
                                        ; =>  This Inner Loop Header: Depth=2
	s_wait_dscnt 0x0
	v_mov_b32_e32 v2, s22
	s_and_b32 vcc_lo, exec_lo, s28
	s_mov_b32 s24, -1
                                        ; implicit-def: $vgpr24
	ds_load_2addr_b32 v[2:3], v2 offset1:32
	s_cbranch_vccz .LBB3_44
; %bb.43:                               ;   in Loop: Header=BB3_42 Depth=2
	s_wait_dscnt 0x0
	v_dual_add_nc_u32 v24, v2, v4 :: v_dual_add_nc_u32 v25, v3, v5
	v_dual_add_nc_u32 v26, v18, v2 :: v_dual_add_nc_u32 v27, v19, v3
	s_mov_b32 s24, 0
	s_clause 0x3
	global_load_b32 v28, v24, s[16:17] scale_offset
	global_load_b32 v29, v25, s[16:17] scale_offset
	;; [unrolled: 1-line block ×4, first 2 shown]
	s_wait_loadcnt 0x2
	s_wait_xcnt 0x3
	v_fma_f32 v24, v28, v29, v23
	s_wait_loadcnt 0x0
	s_delay_alu instid0(VALU_DEP_1)
	v_fmac_f32_e32 v24, v30, v31
.LBB3_44:                               ;   in Loop: Header=BB3_42 Depth=2
	s_and_not1_b32 vcc_lo, exec_lo, s24
	s_cbranch_vccnz .LBB3_46
; %bb.45:                               ;   in Loop: Header=BB3_42 Depth=2
	s_wait_dscnt 0x0
	v_dual_add_nc_u32 v2, v2, v14 :: v_dual_add_nc_u32 v24, v3, v7
	s_delay_alu instid0(VALU_DEP_1) | instskip(NEXT) | instid1(VALU_DEP_1)
	v_dual_ashrrev_i32 v3, 31, v2 :: v_dual_ashrrev_i32 v25, 31, v24
	v_lshl_add_u64 v[2:3], v[2:3], 2, s[16:17]
	s_delay_alu instid0(VALU_DEP_2)
	v_lshl_add_u64 v[24:25], v[24:25], 2, s[16:17]
	s_clause 0x1
	global_load_b64 v[26:27], v[2:3], off
	global_load_b64 v[28:29], v[24:25], off
	s_wait_loadcnt 0x0
	v_fmac_f32_e32 v23, v26, v28
	s_delay_alu instid0(VALU_DEP_1) | instskip(NEXT) | instid1(VALU_DEP_1)
	v_fmac_f32_e32 v23, v27, v29
	v_mov_b32_e32 v24, v23
.LBB3_46:                               ;   in Loop: Header=BB3_42 Depth=2
	s_wait_dscnt 0x0
	v_mov_b32_e32 v2, s22
	s_and_not1_b32 vcc_lo, exec_lo, s28
	s_mov_b32 s24, -1
                                        ; implicit-def: $vgpr23
	ds_load_2addr_b32 v[2:3], v2 offset0:1 offset1:33
	s_cbranch_vccnz .LBB3_48
; %bb.47:                               ;   in Loop: Header=BB3_42 Depth=2
	s_wait_dscnt 0x0
	v_dual_add_nc_u32 v23, v2, v4 :: v_dual_add_nc_u32 v25, v3, v5
	v_dual_add_nc_u32 v26, v18, v2 :: v_dual_add_nc_u32 v27, v19, v3
	s_mov_b32 s24, 0
	s_clause 0x3
	global_load_b32 v28, v23, s[16:17] scale_offset
	global_load_b32 v29, v25, s[16:17] scale_offset
	;; [unrolled: 1-line block ×4, first 2 shown]
	s_wait_loadcnt 0x2
	s_wait_xcnt 0x3
	v_fma_f32 v23, v28, v29, v24
	s_wait_loadcnt 0x0
	s_delay_alu instid0(VALU_DEP_1)
	v_fmac_f32_e32 v23, v30, v31
.LBB3_48:                               ;   in Loop: Header=BB3_42 Depth=2
	s_and_not1_b32 vcc_lo, exec_lo, s24
	s_cbranch_vccnz .LBB3_41
; %bb.49:                               ;   in Loop: Header=BB3_42 Depth=2
	s_wait_dscnt 0x0
	v_dual_add_nc_u32 v2, v2, v14 :: v_dual_add_nc_u32 v26, v3, v7
	s_delay_alu instid0(VALU_DEP_1) | instskip(NEXT) | instid1(VALU_DEP_2)
	v_ashrrev_i32_e32 v3, 31, v2
	v_ashrrev_i32_e32 v27, 31, v26
	s_delay_alu instid0(VALU_DEP_2) | instskip(NEXT) | instid1(VALU_DEP_2)
	v_lshl_add_u64 v[2:3], v[2:3], 2, s[16:17]
	v_lshl_add_u64 v[26:27], v[26:27], 2, s[16:17]
	s_clause 0x1
	global_load_b64 v[28:29], v[2:3], off
	global_load_b64 v[30:31], v[26:27], off
	s_wait_loadcnt 0x0
	v_fmac_f32_e32 v24, v28, v30
	s_delay_alu instid0(VALU_DEP_1) | instskip(NEXT) | instid1(VALU_DEP_1)
	v_fmac_f32_e32 v24, v29, v31
	v_mov_b32_e32 v23, v24
	s_branch .LBB3_41
.LBB3_50:                               ;   in Loop: Header=BB3_23 Depth=1
	s_mov_b32 s21, 0
.LBB3_51:                               ;   in Loop: Header=BB3_23 Depth=1
	s_bitcmp0_b32 s20, 0
	s_cbranch_scc1 .LBB3_57
; %bb.52:                               ;   in Loop: Header=BB3_23 Depth=1
	s_lshl_b32 s20, s21, 2
	s_and_not1_b32 vcc_lo, exec_lo, s28
	s_wait_dscnt 0x0
	v_mov_b32_e32 v2, s20
	s_mov_b32 s20, -1
                                        ; implicit-def: $vgpr24
	ds_load_2addr_b32 v[2:3], v2 offset1:32
	s_cbranch_vccnz .LBB3_54
; %bb.53:                               ;   in Loop: Header=BB3_23 Depth=1
	s_wait_dscnt 0x0
	v_dual_add_nc_u32 v24, v2, v4 :: v_dual_add_nc_u32 v25, v3, v5
	v_dual_add_nc_u32 v26, v18, v2 :: v_dual_add_nc_u32 v27, v19, v3
	s_mov_b32 s20, 0
	s_clause 0x3
	global_load_b32 v28, v24, s[16:17] scale_offset
	global_load_b32 v29, v25, s[16:17] scale_offset
	;; [unrolled: 1-line block ×4, first 2 shown]
	s_wait_loadcnt 0x2
	s_wait_xcnt 0x3
	v_fma_f32 v24, v28, v29, v23
	s_wait_loadcnt 0x0
	s_delay_alu instid0(VALU_DEP_1)
	v_fmac_f32_e32 v24, v30, v31
.LBB3_54:                               ;   in Loop: Header=BB3_23 Depth=1
	s_and_not1_b32 vcc_lo, exec_lo, s20
	s_cbranch_vccnz .LBB3_56
; %bb.55:                               ;   in Loop: Header=BB3_23 Depth=1
	s_wait_dscnt 0x0
	v_dual_add_nc_u32 v2, v2, v14 :: v_dual_add_nc_u32 v24, v3, v7
	s_delay_alu instid0(VALU_DEP_1) | instskip(NEXT) | instid1(VALU_DEP_1)
	v_dual_ashrrev_i32 v3, 31, v2 :: v_dual_ashrrev_i32 v25, 31, v24
	v_lshl_add_u64 v[2:3], v[2:3], 2, s[16:17]
	s_delay_alu instid0(VALU_DEP_2)
	v_lshl_add_u64 v[24:25], v[24:25], 2, s[16:17]
	s_clause 0x1
	global_load_b64 v[26:27], v[2:3], off
	global_load_b64 v[28:29], v[24:25], off
	s_wait_loadcnt 0x0
	v_fmac_f32_e32 v23, v26, v28
	s_delay_alu instid0(VALU_DEP_1) | instskip(NEXT) | instid1(VALU_DEP_1)
	v_fmac_f32_e32 v23, v27, v29
	v_mov_b32_e32 v24, v23
.LBB3_56:                               ;   in Loop: Header=BB3_23 Depth=1
	s_delay_alu instid0(VALU_DEP_1)
	v_mov_b32_e32 v23, v24
.LBB3_57:                               ;   in Loop: Header=BB3_23 Depth=1
	ds_store_b32 v20, v23
	s_wait_dscnt 0x0
	ds_load_b32 v3, v22 offset:384
	ds_load_b32 v2, v12
	s_wait_dscnt 0x1
	v_readfirstlane_b32 s20, v3
	s_cmp_neq_f32 s20, 0
	s_cselect_b32 vcc_lo, -1, 0
	v_cndmask_b32_e32 v3, 1.0, v3, vcc_lo
	s_nor_b32 s21, vcc_lo, s0
	s_delay_alu instid0(SALU_CYCLE_1)
	s_and_saveexec_b32 s20, s21
	s_cbranch_execz .LBB3_61
; %bb.58:                               ;   in Loop: Header=BB3_23 Depth=1
	v_mbcnt_lo_u32_b32 v3, exec_lo, 0
	s_mov_b32 s21, exec_lo
	s_delay_alu instid0(VALU_DEP_1)
	v_cmpx_eq_u32_e32 0, v3
	s_cbranch_execz .LBB3_60
; %bb.59:                               ;   in Loop: Header=BB3_23 Depth=1
	v_mov_b32_e32 v3, s19
	global_atomic_min_i32 v22, v3, s[10:11] scope:SCOPE_DEV
.LBB3_60:                               ;   in Loop: Header=BB3_23 Depth=1
	s_wait_xcnt 0x0
	s_or_b32 exec_lo, exec_lo, s21
	v_mov_b32_e32 v3, 1.0
.LBB3_61:                               ;   in Loop: Header=BB3_23 Depth=1
	s_or_b32 exec_lo, exec_lo, s20
	ds_load_b32 v23, v16
	s_wait_dscnt 0x0
	v_sub_f32_e32 v2, v2, v23
	s_delay_alu instid0(VALU_DEP_1) | instskip(NEXT) | instid1(VALU_DEP_1)
	v_div_scale_f32 v23, null, v3, v3, v2
	v_rcp_f32_e32 v24, v23
	v_nop
	s_delay_alu instid0(TRANS32_DEP_1) | instskip(NEXT) | instid1(VALU_DEP_1)
	v_fma_f32 v25, -v23, v24, 1.0
	v_fmac_f32_e32 v24, v25, v24
	v_div_scale_f32 v26, vcc_lo, v2, v3, v2
	s_delay_alu instid0(VALU_DEP_1) | instskip(NEXT) | instid1(VALU_DEP_1)
	v_mul_f32_e32 v25, v26, v24
	v_fma_f32 v27, -v23, v25, v26
	s_delay_alu instid0(VALU_DEP_1) | instskip(NEXT) | instid1(VALU_DEP_1)
	v_fmac_f32_e32 v25, v27, v24
	v_fma_f32 v23, -v23, v25, v26
	s_delay_alu instid0(VALU_DEP_1) | instskip(NEXT) | instid1(VALU_DEP_1)
	v_div_fmas_f32 v23, v23, v24, v25
	v_div_fixup_f32 v2, v23, v3, v2
	ds_store_b32 v12, v2
	s_wait_storecnt_dscnt 0x0
	ds_load_b32 v3, v11
	ds_load_b32 v23, v8
	s_wait_dscnt 0x0
	v_fmac_f32_e32 v23, v2, v3
	ds_store_b32 v8, v23
	s_wait_dscnt 0x0
	ds_load_b32 v3, v22 offset:400
	ds_load_b32 v2, v12 offset:4
	s_wait_dscnt 0x1
	v_readfirstlane_b32 s20, v3
	s_cmp_neq_f32 s20, 0
	s_cselect_b32 vcc_lo, -1, 0
	v_cndmask_b32_e32 v3, 1.0, v3, vcc_lo
	s_nor_b32 s21, vcc_lo, s0
	s_delay_alu instid0(SALU_CYCLE_1)
	s_and_saveexec_b32 s20, s21
	s_cbranch_execz .LBB3_21
; %bb.62:                               ;   in Loop: Header=BB3_23 Depth=1
	v_mbcnt_lo_u32_b32 v3, exec_lo, 0
	s_mov_b32 s21, exec_lo
	s_delay_alu instid0(VALU_DEP_1)
	v_cmpx_eq_u32_e32 0, v3
	s_cbranch_execz .LBB3_20
; %bb.63:                               ;   in Loop: Header=BB3_23 Depth=1
	v_mov_b32_e32 v3, s19
	global_atomic_min_i32 v22, v3, s[10:11] scope:SCOPE_DEV
	s_branch .LBB3_20
.LBB3_64:
	s_wait_kmcnt 0x0
	s_cmp_eq_u32 s1, 0
	v_lshl_add_u32 v2, v4, 2, v12
	s_cselect_b32 vcc_lo, -1, 0
	s_mov_b32 s1, exec_lo
	v_cndmask_b32_e32 v0, v13, v6, vcc_lo
	v_cmp_ne_u32_e32 vcc_lo, 0, v5
	s_delay_alu instid0(VALU_DEP_2)
	v_lshl_add_u32 v0, s26, 2, v0
	global_load_b32 v1, v0, s[16:17] scale_offset
	s_wait_loadcnt 0x0
	ds_store_b32 v2, v1
	s_wait_dscnt 0x0
	v_cmpx_eq_u32_e32 0, v5
	s_cbranch_execz .LBB3_66
; %bb.65:
	v_mov_b32_e32 v1, 0
	ds_load_2addr_b32 v[6:7], v1 offset0:112 offset1:120
	s_wait_dscnt 0x0
	v_readfirstlane_b32 s0, v6
	v_readfirstlane_b32 s4, v7
	s_sub_f32 s0, s0, s4
	s_delay_alu instid0(SALU_CYCLE_3) | instskip(SKIP_2) | instid1(SALU_CYCLE_1)
	s_xor_b32 s4, s0, 0x80000000
	s_cmp_lt_f32 s0, 0
	s_cselect_b32 s0, s4, s0
	s_mul_f32 s4, s0, 0x4f800000
	s_cmp_lt_f32 s0, 0xf800000
	s_delay_alu instid0(SALU_CYCLE_2) | instskip(NEXT) | instid1(SALU_CYCLE_1)
	s_cselect_b32 s4, s4, s0
	v_s_sqrt_f32 s5, s4
	s_mov_b32 s13, s4
	s_delay_alu instid0(TRANS32_DEP_1) | instskip(NEXT) | instid1(SALU_CYCLE_1)
	s_add_co_i32 s12, s5, -1
	s_xor_b32 s14, s12, 0x80000000
	s_delay_alu instid0(SALU_CYCLE_1) | instskip(SKIP_1) | instid1(SALU_CYCLE_2)
	s_fmac_f32 s13, s14, s5
	s_mov_b32 s14, s4
	s_cmp_le_f32 s13, 0
	s_cselect_b32 s12, s12, s5
	s_add_co_i32 s13, s5, 1
	s_delay_alu instid0(SALU_CYCLE_1) | instskip(NEXT) | instid1(SALU_CYCLE_1)
	s_xor_b32 s15, s13, 0x80000000
	s_fmac_f32 s14, s15, s5
	s_delay_alu instid0(SALU_CYCLE_3) | instskip(SKIP_4) | instid1(SALU_CYCLE_2)
	s_cmp_gt_f32 s14, 0
	s_cselect_b32 s5, s13, s12
	s_cmp_lt_f32 s0, 0xf800000
	s_mul_f32 s0, s5, 0x37800000
	v_cmp_class_f32_e64 s12, s4, 0x260
	s_cselect_b32 s0, s0, s5
	s_and_b32 s5, s12, exec_lo
	s_cselect_b32 s0, s4, s0
	s_delay_alu instid0(SALU_CYCLE_1)
	v_mov_b32_e32 v3, s0
	ds_store_b32 v1, v3 offset:448
.LBB3_66:
	s_or_b32 exec_lo, exec_lo, s1
	v_mov_b32_e32 v1, 0
	s_wait_dscnt 0x0
	s_add_co_i32 s4, s8, s9
	ds_load_b32 v1, v1 offset:448
	s_wait_dscnt 0x0
	v_readfirstlane_b32 s0, v1
	s_cmp_neq_f32 s0, 0
	v_cmp_ne_u32_e64 s0, 0, v10
	s_cselect_b32 s1, -1, 0
	s_delay_alu instid0(SALU_CYCLE_1) | instskip(SKIP_1) | instid1(SALU_CYCLE_1)
	v_cndmask_b32_e64 v1, 1.0, v1, s1
	s_nor_b32 s1, s1, s0
	s_and_saveexec_b32 s5, s1
	s_cbranch_execz .LBB3_70
; %bb.67:
	v_mbcnt_lo_u32_b32 v1, exec_lo, 0
	s_mov_b32 s12, exec_lo
	s_delay_alu instid0(VALU_DEP_1)
	v_cmpx_eq_u32_e32 0, v1
	s_cbranch_execz .LBB3_69
; %bb.68:
	v_dual_mov_b32 v1, 0 :: v_dual_mov_b32 v3, s4
	global_atomic_min_i32 v1, v3, s[10:11] scope:SCOPE_DEV
.LBB3_69:
	s_wait_xcnt 0x0
	s_or_b32 exec_lo, exec_lo, s12
	v_mov_b32_e32 v1, 1.0
.LBB3_70:
	s_or_b32 exec_lo, exec_lo, s5
	s_and_saveexec_b32 s1, vcc_lo
	s_cbranch_execz .LBB3_72
; %bb.71:
	ds_load_b32 v3, v12
	ds_load_b32 v6, v9
	s_wait_dscnt 0x0
	v_sub_f32_e32 v3, v3, v6
	s_delay_alu instid0(VALU_DEP_1) | instskip(NEXT) | instid1(VALU_DEP_1)
	v_div_scale_f32 v6, null, v1, v1, v3
	v_rcp_f32_e32 v7, v6
	v_nop
	s_delay_alu instid0(TRANS32_DEP_1) | instskip(NEXT) | instid1(VALU_DEP_1)
	v_fma_f32 v13, -v6, v7, 1.0
	v_fmac_f32_e32 v7, v13, v7
	v_div_scale_f32 v14, vcc_lo, v3, v1, v3
	s_delay_alu instid0(VALU_DEP_1) | instskip(NEXT) | instid1(VALU_DEP_1)
	v_mul_f32_e32 v13, v14, v7
	v_fma_f32 v15, -v6, v13, v14
	s_delay_alu instid0(VALU_DEP_1) | instskip(NEXT) | instid1(VALU_DEP_1)
	v_fmac_f32_e32 v13, v15, v7
	v_fma_f32 v6, -v6, v13, v14
	s_delay_alu instid0(VALU_DEP_1) | instskip(NEXT) | instid1(VALU_DEP_1)
	v_div_fmas_f32 v6, v6, v7, v13
	v_div_fixup_f32 v1, v6, v1, v3
	ds_store_b32 v12, v1
	s_wait_storecnt_dscnt 0x0
	ds_load_b32 v3, v11
	ds_load_b32 v6, v8
	s_wait_dscnt 0x0
	v_fmac_f32_e32 v6, v1, v3
	ds_store_b32 v8, v6
.LBB3_72:
	s_or_b32 exec_lo, exec_lo, s1
	v_ashrrev_i32_e32 v1, 31, v0
	s_mov_b32 s1, exec_lo
	s_wait_storecnt_dscnt 0x0
	v_cmpx_eq_u32_e32 1, v5
	s_cbranch_execz .LBB3_74
; %bb.73:
	v_mov_b32_e32 v3, 0
	ds_load_2addr_b32 v[6:7], v3 offset0:116 offset1:124
	s_wait_dscnt 0x0
	v_readfirstlane_b32 s5, v6
	v_readfirstlane_b32 s12, v7
	s_sub_f32 s5, s5, s12
	s_delay_alu instid0(SALU_CYCLE_3) | instskip(SKIP_2) | instid1(SALU_CYCLE_1)
	s_xor_b32 s12, s5, 0x80000000
	s_cmp_lt_f32 s5, 0
	s_cselect_b32 s5, s12, s5
	s_mul_f32 s12, s5, 0x4f800000
	s_cmp_lt_f32 s5, 0xf800000
	s_delay_alu instid0(SALU_CYCLE_2) | instskip(NEXT) | instid1(SALU_CYCLE_1)
	s_cselect_b32 s12, s12, s5
	v_s_sqrt_f32 s13, s12
	s_mov_b32 s15, s12
	s_delay_alu instid0(TRANS32_DEP_1) | instskip(NEXT) | instid1(SALU_CYCLE_1)
	s_add_co_i32 s14, s13, -1
	s_xor_b32 s18, s14, 0x80000000
	s_delay_alu instid0(SALU_CYCLE_1) | instskip(SKIP_1) | instid1(SALU_CYCLE_2)
	s_fmac_f32 s15, s18, s13
	s_mov_b32 s18, s12
	s_cmp_le_f32 s15, 0
	s_cselect_b32 s14, s14, s13
	s_add_co_i32 s15, s13, 1
	s_delay_alu instid0(SALU_CYCLE_1) | instskip(NEXT) | instid1(SALU_CYCLE_1)
	s_xor_b32 s19, s15, 0x80000000
	s_fmac_f32 s18, s19, s13
	s_delay_alu instid0(SALU_CYCLE_3) | instskip(SKIP_4) | instid1(SALU_CYCLE_2)
	s_cmp_gt_f32 s18, 0
	s_cselect_b32 s13, s15, s14
	s_cmp_lt_f32 s5, 0xf800000
	s_mul_f32 s5, s13, 0x37800000
	v_cmp_class_f32_e64 s14, s12, 0x260
	s_cselect_b32 s5, s5, s13
	s_and_b32 s13, s14, exec_lo
	s_cselect_b32 s5, s12, s5
	s_delay_alu instid0(SALU_CYCLE_1)
	v_mov_b32_e32 v6, s5
	ds_store_b32 v3, v6 offset:464
.LBB3_74:
	s_or_b32 exec_lo, exec_lo, s1
	v_mov_b32_e32 v3, 0
	s_wait_dscnt 0x0
	ds_load_b32 v3, v3 offset:464
	s_wait_dscnt 0x0
	v_readfirstlane_b32 s1, v3
	s_cmp_neq_f32 s1, 0
	s_cselect_b32 vcc_lo, -1, 0
	v_cndmask_b32_e32 v3, 1.0, v3, vcc_lo
	s_nor_b32 s1, vcc_lo, s0
	s_delay_alu instid0(SALU_CYCLE_1)
	s_and_saveexec_b32 s0, s1
	s_cbranch_execz .LBB3_78
; %bb.75:
	v_mbcnt_lo_u32_b32 v3, exec_lo, 0
	s_mov_b32 s1, exec_lo
	s_delay_alu instid0(VALU_DEP_1)
	v_cmpx_eq_u32_e32 0, v3
	s_cbranch_execz .LBB3_77
; %bb.76:
	v_dual_mov_b32 v3, 0 :: v_dual_mov_b32 v6, s4
	global_atomic_min_i32 v3, v6, s[10:11] scope:SCOPE_DEV
.LBB3_77:
	s_wait_xcnt 0x0
	s_or_b32 exec_lo, exec_lo, s1
	v_mov_b32_e32 v3, 1.0
.LBB3_78:
	s_or_b32 exec_lo, exec_lo, s0
	v_lshl_add_u64 v[0:1], v[0:1], 2, s[16:17]
	s_mov_b32 s0, exec_lo
	v_cmpx_lt_u32_e32 1, v5
	s_cbranch_execz .LBB3_80
; %bb.79:
	ds_load_b32 v6, v12 offset:4
	ds_load_b32 v7, v9 offset:4
	s_wait_dscnt 0x0
	v_sub_f32_e32 v6, v6, v7
	s_delay_alu instid0(VALU_DEP_1) | instskip(NEXT) | instid1(VALU_DEP_1)
	v_div_scale_f32 v7, null, v3, v3, v6
	v_rcp_f32_e32 v9, v7
	v_nop
	s_delay_alu instid0(TRANS32_DEP_1) | instskip(NEXT) | instid1(VALU_DEP_1)
	v_fma_f32 v13, -v7, v9, 1.0
	v_fmac_f32_e32 v9, v13, v9
	v_div_scale_f32 v14, vcc_lo, v6, v3, v6
	s_delay_alu instid0(VALU_DEP_1) | instskip(NEXT) | instid1(VALU_DEP_1)
	v_mul_f32_e32 v13, v14, v9
	v_fma_f32 v15, -v7, v13, v14
	s_delay_alu instid0(VALU_DEP_1) | instskip(NEXT) | instid1(VALU_DEP_1)
	v_fmac_f32_e32 v13, v15, v9
	v_fma_f32 v7, -v7, v13, v14
	s_delay_alu instid0(VALU_DEP_1) | instskip(NEXT) | instid1(VALU_DEP_1)
	v_div_fmas_f32 v7, v7, v9, v13
	v_div_fixup_f32 v3, v7, v3, v6
	ds_store_b32 v12, v3 offset:4
	s_wait_storecnt_dscnt 0x0
	ds_load_b32 v6, v11 offset:4
	ds_load_b32 v7, v8
	s_wait_dscnt 0x0
	v_fmac_f32_e32 v7, v3, v6
	ds_store_b32 v8, v7
.LBB3_80:
	s_or_b32 exec_lo, exec_lo, s0
	s_wait_storecnt_dscnt 0x0
	ds_load_b32 v2, v2
	s_mov_b32 s0, 0
	s_mov_b32 s1, exec_lo
	s_wait_dscnt 0x0
	global_store_b32 v[0:1], v2, off
	s_wait_xcnt 0x0
	v_cmpx_eq_u32_e32 0, v10
	s_cbranch_execz .LBB3_82
; %bb.81:
	v_dual_mov_b32 v0, 0 :: v_dual_mov_b32 v1, 1
	s_add_nc_u64 s[4:5], s[6:7], s[2:3]
	global_wb scope:SCOPE_DEV
	s_wait_storecnt 0x0
	global_store_b32 v0, v1, s[4:5] scope:SCOPE_DEV
.LBB3_82:
	s_wait_xcnt 0x0
	s_or_b32 exec_lo, exec_lo, s1
	s_delay_alu instid0(SALU_CYCLE_1)
	s_and_b32 vcc_lo, exec_lo, s0
	s_cbranch_vccz .LBB3_16
.LBB3_83:
	v_or_b32_e32 v0, v4, v5
	s_mov_b32 s0, exec_lo
	s_delay_alu instid0(VALU_DEP_1)
	v_cmpx_eq_u32_e32 0, v0
	s_cbranch_execz .LBB3_16
; %bb.84:
	v_mbcnt_lo_u32_b32 v0, exec_lo, 0
	s_mov_b32 s0, exec_lo
	s_delay_alu instid0(VALU_DEP_1)
	v_cmpx_eq_u32_e32 0, v0
	s_cbranch_execz .LBB3_86
; %bb.85:
	s_add_co_i32 s1, s8, s9
	s_delay_alu instid0(SALU_CYCLE_1)
	v_dual_mov_b32 v0, 0 :: v_dual_mov_b32 v1, s1
	global_atomic_min_i32 v0, v1, s[10:11] scope:SCOPE_DEV
.LBB3_86:
	s_wait_xcnt 0x0
	s_or_b32 exec_lo, exec_lo, s0
	v_dual_mov_b32 v0, 0 :: v_dual_mov_b32 v1, 1
	s_add_nc_u64 s[0:1], s[6:7], s[2:3]
	global_wb scope:SCOPE_DEV
	s_wait_storecnt 0x0
	global_store_b32 v0, v1, s[0:1] scope:SCOPE_DEV
	s_endpgm
	.section	.rodata,"a",@progbits
	.p2align	6, 0x0
	.amdhsa_kernel _ZN9rocsparseL26bsric0_2_8_unrolled_kernelILi4ELi32ELi2EfEEv20rocsparse_direction_iiPKiS3_PT2_S3_PiS3_S6_21rocsparse_index_base_
		.amdhsa_group_segment_fixed_size 504
		.amdhsa_private_segment_fixed_size 0
		.amdhsa_kernarg_size 76
		.amdhsa_user_sgpr_count 2
		.amdhsa_user_sgpr_dispatch_ptr 0
		.amdhsa_user_sgpr_queue_ptr 0
		.amdhsa_user_sgpr_kernarg_segment_ptr 1
		.amdhsa_user_sgpr_dispatch_id 0
		.amdhsa_user_sgpr_kernarg_preload_length 0
		.amdhsa_user_sgpr_kernarg_preload_offset 0
		.amdhsa_user_sgpr_private_segment_size 0
		.amdhsa_wavefront_size32 1
		.amdhsa_uses_dynamic_stack 0
		.amdhsa_enable_private_segment 0
		.amdhsa_system_sgpr_workgroup_id_x 1
		.amdhsa_system_sgpr_workgroup_id_y 0
		.amdhsa_system_sgpr_workgroup_id_z 0
		.amdhsa_system_sgpr_workgroup_info 0
		.amdhsa_system_vgpr_workitem_id 1
		.amdhsa_next_free_vgpr 42
		.amdhsa_next_free_sgpr 37
		.amdhsa_named_barrier_count 0
		.amdhsa_reserve_vcc 1
		.amdhsa_float_round_mode_32 0
		.amdhsa_float_round_mode_16_64 0
		.amdhsa_float_denorm_mode_32 3
		.amdhsa_float_denorm_mode_16_64 3
		.amdhsa_fp16_overflow 0
		.amdhsa_memory_ordered 1
		.amdhsa_forward_progress 1
		.amdhsa_inst_pref_size 39
		.amdhsa_round_robin_scheduling 0
		.amdhsa_exception_fp_ieee_invalid_op 0
		.amdhsa_exception_fp_denorm_src 0
		.amdhsa_exception_fp_ieee_div_zero 0
		.amdhsa_exception_fp_ieee_overflow 0
		.amdhsa_exception_fp_ieee_underflow 0
		.amdhsa_exception_fp_ieee_inexact 0
		.amdhsa_exception_int_div_zero 0
	.end_amdhsa_kernel
	.section	.text._ZN9rocsparseL26bsric0_2_8_unrolled_kernelILi4ELi32ELi2EfEEv20rocsparse_direction_iiPKiS3_PT2_S3_PiS3_S6_21rocsparse_index_base_,"axG",@progbits,_ZN9rocsparseL26bsric0_2_8_unrolled_kernelILi4ELi32ELi2EfEEv20rocsparse_direction_iiPKiS3_PT2_S3_PiS3_S6_21rocsparse_index_base_,comdat
.Lfunc_end3:
	.size	_ZN9rocsparseL26bsric0_2_8_unrolled_kernelILi4ELi32ELi2EfEEv20rocsparse_direction_iiPKiS3_PT2_S3_PiS3_S6_21rocsparse_index_base_, .Lfunc_end3-_ZN9rocsparseL26bsric0_2_8_unrolled_kernelILi4ELi32ELi2EfEEv20rocsparse_direction_iiPKiS3_PT2_S3_PiS3_S6_21rocsparse_index_base_
                                        ; -- End function
	.set _ZN9rocsparseL26bsric0_2_8_unrolled_kernelILi4ELi32ELi2EfEEv20rocsparse_direction_iiPKiS3_PT2_S3_PiS3_S6_21rocsparse_index_base_.num_vgpr, 42
	.set _ZN9rocsparseL26bsric0_2_8_unrolled_kernelILi4ELi32ELi2EfEEv20rocsparse_direction_iiPKiS3_PT2_S3_PiS3_S6_21rocsparse_index_base_.num_agpr, 0
	.set _ZN9rocsparseL26bsric0_2_8_unrolled_kernelILi4ELi32ELi2EfEEv20rocsparse_direction_iiPKiS3_PT2_S3_PiS3_S6_21rocsparse_index_base_.numbered_sgpr, 37
	.set _ZN9rocsparseL26bsric0_2_8_unrolled_kernelILi4ELi32ELi2EfEEv20rocsparse_direction_iiPKiS3_PT2_S3_PiS3_S6_21rocsparse_index_base_.num_named_barrier, 0
	.set _ZN9rocsparseL26bsric0_2_8_unrolled_kernelILi4ELi32ELi2EfEEv20rocsparse_direction_iiPKiS3_PT2_S3_PiS3_S6_21rocsparse_index_base_.private_seg_size, 0
	.set _ZN9rocsparseL26bsric0_2_8_unrolled_kernelILi4ELi32ELi2EfEEv20rocsparse_direction_iiPKiS3_PT2_S3_PiS3_S6_21rocsparse_index_base_.uses_vcc, 1
	.set _ZN9rocsparseL26bsric0_2_8_unrolled_kernelILi4ELi32ELi2EfEEv20rocsparse_direction_iiPKiS3_PT2_S3_PiS3_S6_21rocsparse_index_base_.uses_flat_scratch, 0
	.set _ZN9rocsparseL26bsric0_2_8_unrolled_kernelILi4ELi32ELi2EfEEv20rocsparse_direction_iiPKiS3_PT2_S3_PiS3_S6_21rocsparse_index_base_.has_dyn_sized_stack, 0
	.set _ZN9rocsparseL26bsric0_2_8_unrolled_kernelILi4ELi32ELi2EfEEv20rocsparse_direction_iiPKiS3_PT2_S3_PiS3_S6_21rocsparse_index_base_.has_recursion, 0
	.set _ZN9rocsparseL26bsric0_2_8_unrolled_kernelILi4ELi32ELi2EfEEv20rocsparse_direction_iiPKiS3_PT2_S3_PiS3_S6_21rocsparse_index_base_.has_indirect_call, 0
	.section	.AMDGPU.csdata,"",@progbits
; Kernel info:
; codeLenInByte = 4992
; TotalNumSgprs: 39
; NumVgprs: 42
; ScratchSize: 0
; MemoryBound: 0
; FloatMode: 240
; IeeeMode: 1
; LDSByteSize: 504 bytes/workgroup (compile time only)
; SGPRBlocks: 0
; VGPRBlocks: 2
; NumSGPRsForWavesPerEU: 39
; NumVGPRsForWavesPerEU: 42
; NamedBarCnt: 0
; Occupancy: 16
; WaveLimiterHint : 1
; COMPUTE_PGM_RSRC2:SCRATCH_EN: 0
; COMPUTE_PGM_RSRC2:USER_SGPR: 2
; COMPUTE_PGM_RSRC2:TRAP_HANDLER: 0
; COMPUTE_PGM_RSRC2:TGID_X_EN: 1
; COMPUTE_PGM_RSRC2:TGID_Y_EN: 0
; COMPUTE_PGM_RSRC2:TGID_Z_EN: 0
; COMPUTE_PGM_RSRC2:TIDIG_COMP_CNT: 1
	.section	.text._ZN9rocsparseL26bsric0_2_8_unrolled_kernelILi9ELi32ELi3EfEEv20rocsparse_direction_iiPKiS3_PT2_S3_PiS3_S6_21rocsparse_index_base_,"axG",@progbits,_ZN9rocsparseL26bsric0_2_8_unrolled_kernelILi9ELi32ELi3EfEEv20rocsparse_direction_iiPKiS3_PT2_S3_PiS3_S6_21rocsparse_index_base_,comdat
	.globl	_ZN9rocsparseL26bsric0_2_8_unrolled_kernelILi9ELi32ELi3EfEEv20rocsparse_direction_iiPKiS3_PT2_S3_PiS3_S6_21rocsparse_index_base_ ; -- Begin function _ZN9rocsparseL26bsric0_2_8_unrolled_kernelILi9ELi32ELi3EfEEv20rocsparse_direction_iiPKiS3_PT2_S3_PiS3_S6_21rocsparse_index_base_
	.p2align	8
	.type	_ZN9rocsparseL26bsric0_2_8_unrolled_kernelILi9ELi32ELi3EfEEv20rocsparse_direction_iiPKiS3_PT2_S3_PiS3_S6_21rocsparse_index_base_,@function
_ZN9rocsparseL26bsric0_2_8_unrolled_kernelILi9ELi32ELi3EfEEv20rocsparse_direction_iiPKiS3_PT2_S3_PiS3_S6_21rocsparse_index_base_: ; @_ZN9rocsparseL26bsric0_2_8_unrolled_kernelILi9ELi32ELi3EfEEv20rocsparse_direction_iiPKiS3_PT2_S3_PiS3_S6_21rocsparse_index_base_
; %bb.0:
	s_load_b256 s[4:11], s[0:1], 0x28
	s_bfe_u32 s2, ttmp6, 0x4000c
	s_and_b32 s3, ttmp6, 15
	s_add_co_i32 s2, s2, 1
	s_getreg_b32 s12, hwreg(HW_REG_IB_STS2, 6, 4)
	s_mul_i32 s2, ttmp9, s2
	v_and_b32_e32 v4, 0x3ff, v0
	s_add_co_i32 s3, s3, s2
	s_cmp_eq_u32 s12, 0
	v_bfe_u32 v5, v0, 10, 10
	s_cselect_b32 s2, ttmp9, s3
	s_wait_kmcnt 0x0
	s_load_b32 s8, s[8:9], s2 offset:0x0 scale_offset
	s_wait_kmcnt 0x0
	s_ashr_i32 s9, s8, 31
	s_delay_alu instid0(SALU_CYCLE_1) | instskip(NEXT) | instid1(SALU_CYCLE_1)
	s_lshl_b64 s[2:3], s[8:9], 2
	s_add_nc_u64 s[12:13], s[4:5], s[2:3]
	s_load_b32 s26, s[12:13], 0x0
	s_load_b32 s9, s[0:1], 0x48
	s_wait_kmcnt 0x0
	s_cmp_lg_u32 s26, -1
	s_cbranch_scc0 .LBB4_96
; %bb.1:
	s_clause 0x1
	s_load_b128 s[12:15], s[0:1], 0x10
	s_load_b64 s[16:17], s[0:1], 0x20
	v_mad_u32_u24 v6, v5, 3, v4
	v_mul_u32_u24_e32 v9, 3, v5
	s_wait_kmcnt 0x0
	s_add_nc_u64 s[18:19], s[12:13], s[2:3]
	s_load_b32 s19, s[18:19], 0x0
	s_wait_xcnt 0x0
	s_mov_b32 s18, exec_lo
	s_wait_kmcnt 0x0
	s_sub_co_i32 s27, s19, s9
	s_delay_alu instid0(SALU_CYCLE_1) | instskip(NEXT) | instid1(VALU_DEP_1)
	v_add_nc_u32_e32 v0, s27, v6
	v_cmpx_ge_i32_e64 s26, v0
	s_cbranch_execz .LBB4_14
; %bb.2:
	v_add_nc_u32_e32 v1, s19, v4
	s_add_co_i32 s20, s26, 1
	s_mov_b32 s21, -1
	s_delay_alu instid0(VALU_DEP_1) | instskip(NEXT) | instid1(VALU_DEP_1)
	v_add_nc_u32_e32 v2, v1, v9
	v_subrev_nc_u32_e32 v2, s9, v2
	s_delay_alu instid0(VALU_DEP_1) | instskip(SKIP_1) | instid1(VALU_DEP_1)
	v_add_max_i32_e64 v2, v2, 9, s20
	s_mov_b32 s20, exec_lo
	v_add_nc_u32_e32 v2, s9, v2
	s_delay_alu instid0(VALU_DEP_1) | instskip(NEXT) | instid1(VALU_DEP_1)
	v_sub_nc_u32_e32 v1, v2, v1
	v_add_nc_u32_e32 v1, -9, v1
	s_delay_alu instid0(VALU_DEP_1) | instskip(SKIP_1) | instid1(VALU_DEP_1)
	v_cmp_ne_u32_e32 vcc_lo, v1, v9
	v_add_co_ci_u32_e64 v2, null, 0, v9, vcc_lo
	v_sub_nc_u32_e32 v1, v1, v2
	s_delay_alu instid0(VALU_DEP_1) | instskip(NEXT) | instid1(VALU_DEP_1)
	v_mul_hi_u32 v1, 0x38e38e39, v1
	v_lshrrev_b32_e32 v1, 1, v1
	s_delay_alu instid0(VALU_DEP_1) | instskip(NEXT) | instid1(VALU_DEP_1)
	v_add_co_ci_u32_e64 v7, null, 0, v1, vcc_lo
	v_cmpx_ne_u32_e32 0, v7
	s_cbranch_execz .LBB4_11
; %bb.3:
	v_add_nc_u32_e32 v1, -1, v7
	s_mov_b32 s21, exec_lo
	s_delay_alu instid0(VALU_DEP_1) | instskip(NEXT) | instid1(VALU_DEP_1)
	v_dual_lshrrev_b32 v2, 1, v1 :: v_dual_add_nc_u32 v1, 9, v0
	v_add_nc_u32_e32 v8, 1, v2
	s_delay_alu instid0(VALU_DEP_2)
	v_mov_b64_e32 v[2:3], v[0:1]
	v_cmpx_lt_u32_e32 14, v7
	s_cbranch_execz .LBB4_7
; %bb.4:
	v_mov_b64_e32 v[2:3], v[0:1]
	v_and_b32_e32 v10, -8, v8
	s_mov_b32 s22, 0
.LBB4_5:                                ; =>This Inner Loop Header: Depth=1
	s_clause 0x1
	global_load_b32 v1, v2, s[14:15] scale_offset
	global_load_b32 v11, v3, s[14:15] scale_offset
	v_add_nc_u32_e32 v18, 0x48, v3
	v_dual_add_nc_u32 v16, 54, v3 :: v_dual_add_nc_u32 v17, 54, v2
	v_dual_add_nc_u32 v14, 36, v3 :: v_dual_add_nc_u32 v15, 36, v2
	;; [unrolled: 1-line block ×3, first 2 shown]
	v_add_nc_u32_e32 v19, 0x48, v2
	v_add_nc_u32_e32 v20, 0x5a, v3
	;; [unrolled: 1-line block ×7, first 2 shown]
	s_clause 0xd
	global_load_b32 v26, v18, s[14:15] scale_offset
	global_load_b32 v27, v16, s[14:15] scale_offset
	global_load_b32 v28, v14, s[14:15] scale_offset
	global_load_b32 v29, v12, s[14:15] scale_offset
	global_load_b32 v30, v13, s[14:15] scale_offset
	global_load_b32 v31, v15, s[14:15] scale_offset
	global_load_b32 v32, v17, s[14:15] scale_offset
	global_load_b32 v33, v19, s[14:15] scale_offset
	global_load_b32 v34, v24, s[14:15] scale_offset
	global_load_b32 v35, v22, s[14:15] scale_offset
	global_load_b32 v36, v20, s[14:15] scale_offset
	global_load_b32 v37, v21, s[14:15] scale_offset
	global_load_b32 v38, v23, s[14:15] scale_offset
	global_load_b32 v39, v25, s[14:15] scale_offset
	v_subrev_nc_u32_e32 v40, s27, v2
	v_subrev_nc_u32_e32 v41, s27, v3
	v_add_nc_u32_e32 v10, -8, v10
	s_wait_xcnt 0xa
	v_subrev_nc_u32_e32 v12, s27, v12
	s_wait_xcnt 0x9
	v_subrev_nc_u32_e32 v13, s27, v13
	v_dual_lshlrev_b32 v40, 2, v40 :: v_dual_lshlrev_b32 v41, 2, v41
	s_wait_xcnt 0x8
	v_subrev_nc_u32_e32 v15, s27, v15
	v_subrev_nc_u32_e32 v14, s27, v14
	v_cmp_eq_u32_e32 vcc_lo, 0, v10
	s_wait_xcnt 0x7
	v_subrev_nc_u32_e32 v17, s27, v17
	v_add_nc_u32_e32 v3, 0x90, v3
	v_subrev_nc_u32_e32 v16, s27, v16
	v_subrev_nc_u32_e32 v18, s27, v18
	s_wait_xcnt 0x6
	v_subrev_nc_u32_e32 v19, s27, v19
	s_wait_xcnt 0x3
	v_subrev_nc_u32_e32 v20, s27, v20
	s_wait_xcnt 0x2
	v_subrev_nc_u32_e32 v21, s27, v21
	v_subrev_nc_u32_e32 v22, s27, v22
	s_wait_xcnt 0x1
	v_subrev_nc_u32_e32 v23, s27, v23
	v_subrev_nc_u32_e32 v24, s27, v24
	s_wait_xcnt 0x0
	v_subrev_nc_u32_e32 v25, s27, v25
	v_add_nc_u32_e32 v2, 0x90, v2
	v_dual_lshlrev_b32 v13, 2, v13 :: v_dual_lshlrev_b32 v15, 2, v15
	v_dual_lshlrev_b32 v12, 2, v12 :: v_dual_lshlrev_b32 v14, 2, v14
	v_lshlrev_b32_e32 v17, 2, v17
	s_or_b32 s22, vcc_lo, s22
	v_dual_lshlrev_b32 v16, 2, v16 :: v_dual_lshlrev_b32 v19, 2, v19
	v_dual_lshlrev_b32 v18, 2, v18 :: v_dual_lshlrev_b32 v21, 2, v21
	;; [unrolled: 1-line block ×4, first 2 shown]
	v_lshlrev_b32_e32 v24, 2, v24
	s_wait_loadcnt 0xf
	v_subrev_nc_u32_e32 v1, s9, v1
	s_wait_loadcnt 0xe
	v_subrev_nc_u32_e32 v11, s9, v11
	ds_store_b32 v40, v1 offset:256
	ds_store_b32 v41, v11 offset:256
	s_wait_loadcnt 0xa
	v_subrev_nc_u32_e32 v1, s9, v29
	s_wait_loadcnt 0x9
	v_subrev_nc_u32_e32 v11, s9, v30
	;; [unrolled: 2-line block ×3, first 2 shown]
	v_subrev_nc_u32_e32 v28, s9, v28
	s_wait_loadcnt 0x7
	v_subrev_nc_u32_e32 v30, s9, v32
	v_subrev_nc_u32_e32 v27, s9, v27
	;; [unrolled: 1-line block ×3, first 2 shown]
	s_wait_loadcnt 0x6
	v_subrev_nc_u32_e32 v31, s9, v33
	s_wait_loadcnt 0x3
	v_subrev_nc_u32_e32 v32, s9, v36
	;; [unrolled: 2-line block ×3, first 2 shown]
	v_subrev_nc_u32_e32 v35, s9, v35
	s_wait_loadcnt 0x1
	v_subrev_nc_u32_e32 v36, s9, v38
	v_subrev_nc_u32_e32 v34, s9, v34
	s_wait_loadcnt 0x0
	v_subrev_nc_u32_e32 v37, s9, v39
	ds_store_b32 v13, v11 offset:256
	ds_store_b32 v12, v1 offset:256
	;; [unrolled: 1-line block ×14, first 2 shown]
	s_and_not1_b32 exec_lo, exec_lo, s22
	s_cbranch_execnz .LBB4_5
; %bb.6:
	s_or_b32 exec_lo, exec_lo, s22
.LBB4_7:
	s_delay_alu instid0(SALU_CYCLE_1) | instskip(SKIP_3) | instid1(VALU_DEP_1)
	s_or_b32 exec_lo, exec_lo, s21
	v_and_b32_e32 v1, 7, v8
	s_mov_b32 s22, 0
	s_mov_b32 s21, exec_lo
	v_cmpx_ne_u32_e32 0, v1
	s_cbranch_execz .LBB4_10
; %bb.8:
	v_sub_nc_u32_e32 v1, 0, v1
.LBB4_9:                                ; =>This Inner Loop Header: Depth=1
	s_clause 0x1
	global_load_b32 v8, v3, s[14:15] scale_offset
	global_load_b32 v10, v2, s[14:15] scale_offset
	v_subrev_nc_u32_e32 v11, s27, v2
	v_subrev_nc_u32_e32 v12, s27, v3
	s_wait_xcnt 0x0
	v_dual_add_nc_u32 v3, 18, v3 :: v_dual_add_nc_u32 v2, 18, v2
	v_add_co_u32 v1, s23, v1, 1
	s_delay_alu instid0(VALU_DEP_3)
	v_dual_lshlrev_b32 v11, 2, v11 :: v_dual_lshlrev_b32 v12, 2, v12
	s_or_b32 s22, s23, s22
	s_wait_loadcnt 0x1
	v_subrev_nc_u32_e32 v8, s9, v8
	s_wait_loadcnt 0x0
	v_subrev_nc_u32_e32 v10, s9, v10
	ds_store_b32 v11, v10 offset:256
	ds_store_b32 v12, v8 offset:256
	s_and_not1_b32 exec_lo, exec_lo, s22
	s_cbranch_execnz .LBB4_9
.LBB4_10:
	s_or_b32 exec_lo, exec_lo, s21
	v_add_nc_u32_e32 v1, 1, v7
	s_delay_alu instid0(VALU_DEP_1) | instskip(NEXT) | instid1(VALU_DEP_1)
	v_and_b32_e32 v2, 0x7ffffffe, v1
	v_mad_u32 v0, v2, 9, v0
	v_cmp_ne_u32_e32 vcc_lo, v1, v2
	s_or_not1_b32 s21, vcc_lo, exec_lo
.LBB4_11:
	s_or_b32 exec_lo, exec_lo, s20
	s_delay_alu instid0(SALU_CYCLE_1)
	s_and_b32 exec_lo, exec_lo, s21
	s_cbranch_execz .LBB4_14
; %bb.12:
	s_delay_alu instid0(VALU_DEP_2) | instskip(NEXT) | instid1(VALU_DEP_1)
	v_add_nc_u32_e32 v1, s9, v0
	v_subrev_nc_u32_e32 v2, s19, v1
	v_ashrrev_i32_e32 v1, 31, v0
	s_mov_b32 s19, 0
	s_delay_alu instid0(VALU_DEP_2) | instskip(NEXT) | instid1(VALU_DEP_2)
	v_lshl_add_u32 v7, v2, 2, 0x100
	v_lshl_add_u64 v[2:3], v[0:1], 2, s[14:15]
.LBB4_13:                               ; =>This Inner Loop Header: Depth=1
	global_load_b32 v1, v[2:3], off
	v_add_nc_u32_e32 v0, 9, v0
	s_wait_xcnt 0x0
	v_add_nc_u64_e32 v[2:3], 36, v[2:3]
	s_wait_loadcnt 0x0
	v_subrev_nc_u32_e32 v1, s9, v1
	ds_store_b32 v7, v1
	v_add_nc_u32_e32 v7, 36, v7
	v_cmp_lt_i32_e32 vcc_lo, s26, v0
	s_or_b32 s19, vcc_lo, s19
	s_delay_alu instid0(SALU_CYCLE_1)
	s_and_not1_b32 exec_lo, exec_lo, s19
	s_cbranch_execnz .LBB4_13
.LBB4_14:
	s_or_b32 exec_lo, exec_lo, s18
	s_load_b32 s1, s[0:1], 0x0
	v_lshl_add_u32 v11, v5, 4, 0x210
	v_mov_b32_e32 v12, 0
	v_mad_u32_u24 v7, v4, 3, v5
	v_lshl_add_u32 v10, v4, 4, 0x1e0
	s_cmp_ge_i32 s27, s26
	v_lshl_add_u32 v8, v4, 2, v11
	ds_store_b32 v8, v12
	s_wait_dscnt 0x0
	s_cbranch_scc1 .LBB4_64
; %bb.15:
	v_dual_lshlrev_b32 v0, 4, v5 :: v_dual_lshlrev_b32 v2, 2, v4
	s_wait_kmcnt 0x0
	s_cmp_lg_u32 s1, 0
	v_mad_u32_u24 v1, v4, 3, v5
	s_cselect_b32 s28, -1, 0
	s_cmp_eq_u32 s1, 0
	v_add3_u32 v16, v0, v2, 0x180
	v_add_nc_u32_e32 v18, 0x1b0, v0
	s_cselect_b32 vcc_lo, -1, 0
	v_dual_cndmask_b32 v23, v1, v6 :: v_dual_add_nc_u32 v14, 0x1e0, v0
	v_dual_add_nc_u32 v19, 3, v5 :: v_dual_bitop2_b32 v0, v4, v5 bitop3:0x54
	v_mul_u32_u24_e32 v13, 3, v4
	s_delay_alu instid0(VALU_DEP_3)
	v_dual_add_nc_u32 v15, 3, v4 :: v_dual_add_nc_u32 v17, v14, v2
	v_dual_add_nc_u32 v20, 6, v4 :: v_dual_add_nc_u32 v21, 6, v5
	v_add_nc_u32_e32 v22, v18, v2
	v_cmp_ne_u32_e64 s0, 0, v0
	s_mov_b32 s18, s27
	s_branch .LBB4_19
.LBB4_16:                               ;   in Loop: Header=BB4_19 Depth=1
	s_wait_xcnt 0x0
	s_or_b32 exec_lo, exec_lo, s21
	v_mov_b32_e32 v3, 1.0
.LBB4_17:                               ;   in Loop: Header=BB4_19 Depth=1
	s_or_b32 exec_lo, exec_lo, s20
	ds_load_b64 v[24:25], v12 offset:416
	ds_load_b64 v[26:27], v14
	ds_load_b32 v28, v18 offset:8
	s_add_co_i32 s18, s18, 1
	s_delay_alu instid0(SALU_CYCLE_1) | instskip(SKIP_3) | instid1(VALU_DEP_1)
	s_cmp_ge_i32 s18, s26
	s_cselect_b32 s24, -1, 0
	s_wait_dscnt 0x0
	v_fmac_f32_e32 v28, v24, v26
	v_fmac_f32_e32 v28, v25, v27
	s_delay_alu instid0(VALU_DEP_1) | instskip(NEXT) | instid1(VALU_DEP_1)
	v_sub_f32_e32 v2, v2, v28
	v_div_scale_f32 v24, null, v3, v3, v2
	v_div_scale_f32 v27, vcc_lo, v2, v3, v2
	s_delay_alu instid0(VALU_DEP_2) | instskip(SKIP_1) | instid1(TRANS32_DEP_1)
	v_rcp_f32_e32 v25, v24
	v_nop
	v_fma_f32 v26, -v24, v25, 1.0
	s_delay_alu instid0(VALU_DEP_1) | instskip(NEXT) | instid1(VALU_DEP_1)
	v_fmac_f32_e32 v25, v26, v25
	v_mul_f32_e32 v26, v27, v25
	s_delay_alu instid0(VALU_DEP_1) | instskip(NEXT) | instid1(VALU_DEP_1)
	v_fma_f32 v28, -v24, v26, v27
	v_fmac_f32_e32 v26, v28, v25
	s_delay_alu instid0(VALU_DEP_1) | instskip(NEXT) | instid1(VALU_DEP_1)
	v_fma_f32 v24, -v24, v26, v27
	v_div_fmas_f32 v24, v24, v25, v26
	s_delay_alu instid0(VALU_DEP_1)
	v_div_fixup_f32 v2, v24, v3, v2
	ds_store_b32 v14, v2 offset:8
	s_wait_storecnt_dscnt 0x0
	ds_load_b32 v3, v10 offset:8
	ds_load_b32 v24, v8
	s_wait_dscnt 0x0
	v_fmac_f32_e32 v24, v2, v3
	ds_store_b32 v8, v24
	s_wait_dscnt 0x0
	ds_load_b32 v2, v17
	s_wait_dscnt 0x0
	global_store_b32 v[0:1], v2, off
	global_wb scope:SCOPE_DEV
	s_wait_storecnt 0x0
	global_inv scope:SCOPE_DEV
.LBB4_18:                               ;   in Loop: Header=BB4_19 Depth=1
	s_and_b32 vcc_lo, exec_lo, s24
	s_cbranch_vccnz .LBB4_64
.LBB4_19:                               ; =>This Loop Header: Depth=1
                                        ;     Child Loop BB4_22 Depth 2
                                        ;     Child Loop BB4_33 Depth 2
	;; [unrolled: 1-line block ×3, first 2 shown]
	s_ashr_i32 s19, s18, 31
	s_delay_alu instid0(SALU_CYCLE_1) | instskip(NEXT) | instid1(SALU_CYCLE_1)
	s_lshl_b64 s[20:21], s[18:19], 2
	s_add_nc_u64 s[20:21], s[14:15], s[20:21]
	s_load_b32 s19, s[20:21], 0x0
	s_wait_kmcnt 0x0
	s_sub_co_i32 s22, s19, s9
	s_delay_alu instid0(SALU_CYCLE_1) | instskip(SKIP_2) | instid1(SALU_CYCLE_1)
	s_ashr_i32 s23, s22, 31
	s_wait_xcnt 0x0
	s_lshl_b64 s[20:21], s[22:23], 2
	s_add_nc_u64 s[24:25], s[4:5], s[20:21]
	s_load_b32 s23, s[24:25], 0x0
	s_wait_xcnt 0x0
	s_mov_b32 s24, -1
	s_wait_kmcnt 0x0
	s_cmp_eq_u32 s23, -1
	s_cbranch_scc1 .LBB4_18
; %bb.20:                               ;   in Loop: Header=BB4_19 Depth=1
	v_mad_u32 v0, s18, 9, v23
	s_add_nc_u64 s[24:25], s[12:13], s[20:21]
	ds_load_b32 v2, v12 offset:256
	s_load_b32 s24, s[24:25], 0x0
	global_load_b32 v1, v0, s[16:17] scale_offset
	s_wait_dscnt 0x0
	v_cmp_ge_i32_e32 vcc_lo, s22, v2
	s_wait_kmcnt 0x0
	s_sub_co_i32 s24, s24, s9
	s_delay_alu instid0(SALU_CYCLE_1) | instskip(SKIP_1) | instid1(SALU_CYCLE_1)
	s_cmp_le_i32 s24, s23
	s_cselect_b32 s25, -1, 0
	s_and_b32 s25, s25, vcc_lo
	s_delay_alu instid0(SALU_CYCLE_1)
	s_and_not1_b32 vcc_lo, exec_lo, s25
	s_mov_b32 s25, 0
	s_wait_loadcnt 0x0
	ds_store_b32 v17, v1
	s_cbranch_vccnz .LBB4_32
; %bb.21:                               ;   in Loop: Header=BB4_19 Depth=1
	s_mov_b32 s29, 0
	s_mov_b32 s30, 0
.LBB4_22:                               ;   Parent Loop BB4_19 Depth=1
                                        ; =>  This Inner Loop Header: Depth=2
	s_ashr_i32 s25, s24, 31
	s_lshl_b32 s31, s30, 2
	s_lshl_b64 s[34:35], s[24:25], 2
	v_mov_b32_e32 v1, s31
	s_add_nc_u64 s[34:35], s[14:15], s[34:35]
                                        ; implicit-def: $sgpr33
	s_load_b32 s25, s[34:35], 0x0
	s_wait_xcnt 0x0
	s_mov_b32 s35, -1
	ds_load_b32 v1, v1 offset:256
                                        ; implicit-def: $sgpr34
	s_wait_kmcnt 0x0
	s_sub_co_i32 s36, s25, s9
                                        ; implicit-def: $sgpr25
	s_wait_dscnt 0x0
	v_readfirstlane_b32 s31, v1
	v_cmp_ge_i32_e32 vcc_lo, s36, v1
	s_cbranch_vccz .LBB4_28
; %bb.23:                               ;   in Loop: Header=BB4_22 Depth=2
	s_cmp_le_i32 s36, s31
                                        ; implicit-def: $sgpr25
                                        ; implicit-def: $sgpr34
                                        ; implicit-def: $sgpr33
	s_cbranch_scc0 .LBB4_25
; %bb.24:                               ;   in Loop: Header=BB4_22 Depth=2
	s_add_co_i32 s25, s30, s27
	s_lshl_b32 s33, s29, 2
	s_mul_i32 s25, s25, 9
	s_delay_alu instid0(SALU_CYCLE_1)
	v_dual_mov_b32 v1, s33 :: v_dual_mov_b32 v2, s25
	s_mul_i32 s33, s24, 9
	s_add_co_i32 s34, s24, 1
	v_mov_b32_e32 v3, s33
	s_add_co_i32 s33, s30, 1
	s_add_co_i32 s25, s29, 1
	s_mov_b32 s35, 0
	ds_store_2addr_b32 v1, v3, v2 offset1:32
.LBB4_25:                               ;   in Loop: Header=BB4_22 Depth=2
	s_and_not1_b32 vcc_lo, exec_lo, s35
	s_cbranch_vccnz .LBB4_27
; %bb.26:                               ;   in Loop: Header=BB4_22 Depth=2
	s_add_co_i32 s33, s30, 1
	s_mov_b32 s25, s29
	s_mov_b32 s34, s24
.LBB4_27:                               ;   in Loop: Header=BB4_22 Depth=2
	s_mov_b32 s35, 0
.LBB4_28:                               ;   in Loop: Header=BB4_22 Depth=2
	s_delay_alu instid0(SALU_CYCLE_1)
	s_and_not1_b32 vcc_lo, exec_lo, s35
	s_cbranch_vccnz .LBB4_30
; %bb.29:                               ;   in Loop: Header=BB4_22 Depth=2
	s_add_co_i32 s34, s24, 1
	s_mov_b32 s33, s30
	s_mov_b32 s25, s29
.LBB4_30:                               ;   in Loop: Header=BB4_22 Depth=2
	s_cmp_le_i32 s34, s23
	s_cselect_b32 s24, -1, 0
	s_cmp_le_i32 s31, s22
	s_cselect_b32 s29, -1, 0
	s_delay_alu instid0(SALU_CYCLE_1) | instskip(NEXT) | instid1(SALU_CYCLE_1)
	s_and_b32 s24, s24, s29
	s_and_b32 vcc_lo, exec_lo, s24
	s_cbranch_vccz .LBB4_32
; %bb.31:                               ;   in Loop: Header=BB4_22 Depth=2
	s_mov_b32 s29, s25
	s_mov_b32 s24, s34
	;; [unrolled: 1-line block ×3, first 2 shown]
	s_branch .LBB4_22
.LBB4_32:                               ;   in Loop: Header=BB4_19 Depth=1
	v_ashrrev_i32_e32 v1, 31, v0
	s_add_nc_u64 s[20:21], s[6:7], s[20:21]
	s_wait_dscnt 0x0
	s_wait_xcnt 0x0
	s_delay_alu instid0(VALU_DEP_1)
	v_lshl_add_u64 v[0:1], v[0:1], 2, s[16:17]
.LBB4_33:                               ;   Parent Loop BB4_19 Depth=1
                                        ; =>  This Inner Loop Header: Depth=2
	global_load_b32 v2, v12, s[20:21] scope:SCOPE_DEV
	s_wait_loadcnt 0x0
	v_cmp_eq_u32_e32 vcc_lo, 0, v2
	s_cbranch_vccnz .LBB4_33
; %bb.34:                               ;   in Loop: Header=BB4_19 Depth=1
	v_mad_u32 v2, s23, 9, v23
	global_inv scope:SCOPE_DEV
	v_mov_b32_e32 v24, 0
	s_cmp_lt_i32 s25, 2
	global_load_b32 v2, v2, s[16:17] scale_offset
	s_wait_loadcnt 0x0
	ds_store_b32 v16, v2
	s_wait_dscnt 0x0
	s_cbranch_scc1 .LBB4_53
; %bb.35:                               ;   in Loop: Header=BB4_19 Depth=1
	v_mov_b32_e32 v24, 0
	s_add_co_i32 s20, s25, -1
	s_cmp_eq_u32 s25, 2
	s_cbranch_scc1 .LBB4_46
; %bb.36:                               ;   in Loop: Header=BB4_19 Depth=1
	s_and_b32 s21, s20, -2
	s_mov_b32 s22, 0
	s_mov_b32 s23, 0
	s_branch .LBB4_38
.LBB4_37:                               ;   in Loop: Header=BB4_38 Depth=2
	s_add_co_i32 s23, s23, 2
	s_add_co_i32 s22, s22, 8
	s_cmp_eq_u32 s21, s23
	s_cbranch_scc1 .LBB4_47
.LBB4_38:                               ;   Parent Loop BB4_19 Depth=1
                                        ; =>  This Inner Loop Header: Depth=2
	s_wait_dscnt 0x0
	v_mov_b32_e32 v2, s22
	s_and_b32 vcc_lo, exec_lo, s28
	s_mov_b32 s24, -1
                                        ; implicit-def: $vgpr25
	ds_load_2addr_b32 v[2:3], v2 offset1:32
	s_cbranch_vccz .LBB4_40
; %bb.39:                               ;   in Loop: Header=BB4_38 Depth=2
	s_wait_dscnt 0x0
	v_dual_add_nc_u32 v25, v2, v4 :: v_dual_add_nc_u32 v26, v3, v5
	v_add_nc_u32_e32 v27, v15, v2
	s_mov_b32 s24, 0
	s_clause 0x1
	global_load_b32 v28, v25, s[16:17] scale_offset
	global_load_b32 v29, v26, s[16:17] scale_offset
	s_wait_xcnt 0x1
	v_dual_add_nc_u32 v25, v19, v3 :: v_dual_add_nc_u32 v30, v21, v3
	s_wait_xcnt 0x0
	v_add_nc_u32_e32 v26, v20, v2
	s_clause 0x3
	global_load_b32 v31, v27, s[16:17] scale_offset
	global_load_b32 v32, v25, s[16:17] scale_offset
	;; [unrolled: 1-line block ×4, first 2 shown]
	s_wait_loadcnt 0x4
	s_wait_xcnt 0x2
	v_fma_f32 v25, v28, v29, v24
	s_wait_loadcnt 0x2
	s_delay_alu instid0(VALU_DEP_1) | instskip(SKIP_1) | instid1(VALU_DEP_1)
	v_fmac_f32_e32 v25, v31, v32
	s_wait_loadcnt 0x0
	v_fmac_f32_e32 v25, v33, v34
.LBB4_40:                               ;   in Loop: Header=BB4_38 Depth=2
	s_and_not1_b32 vcc_lo, exec_lo, s24
	s_cbranch_vccnz .LBB4_42
; %bb.41:                               ;   in Loop: Header=BB4_38 Depth=2
	s_wait_dscnt 0x0
	v_add_nc_u32_e32 v26, v3, v9
	s_delay_alu instid0(VALU_DEP_1) | instskip(NEXT) | instid1(VALU_DEP_1)
	v_dual_add_nc_u32 v2, v2, v13 :: v_dual_ashrrev_i32 v27, 31, v26
	v_ashrrev_i32_e32 v3, 31, v2
	s_delay_alu instid0(VALU_DEP_2) | instskip(NEXT) | instid1(VALU_DEP_2)
	v_lshl_add_u64 v[34:35], v[26:27], 2, s[16:17]
	v_lshl_add_u64 v[2:3], v[2:3], 2, s[16:17]
	s_clause 0x1
	global_load_b96 v[26:28], v[2:3], off
	global_load_b96 v[30:32], v[34:35], off
	s_wait_loadcnt 0x0
	v_fmac_f32_e32 v24, v26, v30
	s_delay_alu instid0(VALU_DEP_1) | instskip(NEXT) | instid1(VALU_DEP_1)
	v_fmac_f32_e32 v24, v27, v31
	v_fmac_f32_e32 v24, v28, v32
	s_delay_alu instid0(VALU_DEP_1)
	v_mov_b32_e32 v25, v24
.LBB4_42:                               ;   in Loop: Header=BB4_38 Depth=2
	s_wait_dscnt 0x0
	v_mov_b32_e32 v2, s22
	s_and_not1_b32 vcc_lo, exec_lo, s28
	s_mov_b32 s24, -1
                                        ; implicit-def: $vgpr24
	ds_load_2addr_b32 v[2:3], v2 offset0:1 offset1:33
	s_cbranch_vccnz .LBB4_44
; %bb.43:                               ;   in Loop: Header=BB4_38 Depth=2
	s_wait_dscnt 0x0
	v_dual_add_nc_u32 v24, v2, v4 :: v_dual_add_nc_u32 v26, v3, v5
	v_add_nc_u32_e32 v27, v15, v2
	s_mov_b32 s24, 0
	s_clause 0x1
	global_load_b32 v28, v24, s[16:17] scale_offset
	global_load_b32 v29, v26, s[16:17] scale_offset
	s_wait_xcnt 0x1
	v_dual_add_nc_u32 v24, v19, v3 :: v_dual_add_nc_u32 v30, v21, v3
	s_wait_xcnt 0x0
	v_add_nc_u32_e32 v26, v20, v2
	s_clause 0x3
	global_load_b32 v31, v27, s[16:17] scale_offset
	global_load_b32 v32, v24, s[16:17] scale_offset
	;; [unrolled: 1-line block ×4, first 2 shown]
	s_wait_loadcnt 0x4
	s_wait_xcnt 0x2
	v_fma_f32 v24, v28, v29, v25
	s_wait_loadcnt 0x2
	s_delay_alu instid0(VALU_DEP_1) | instskip(SKIP_1) | instid1(VALU_DEP_1)
	v_fmac_f32_e32 v24, v31, v32
	s_wait_loadcnt 0x0
	v_fmac_f32_e32 v24, v33, v34
.LBB4_44:                               ;   in Loop: Header=BB4_38 Depth=2
	s_and_not1_b32 vcc_lo, exec_lo, s24
	s_cbranch_vccnz .LBB4_37
; %bb.45:                               ;   in Loop: Header=BB4_38 Depth=2
	s_wait_dscnt 0x0
	v_add_nc_u32_e32 v26, v3, v9
	s_delay_alu instid0(VALU_DEP_1) | instskip(NEXT) | instid1(VALU_DEP_1)
	v_dual_add_nc_u32 v2, v2, v13 :: v_dual_ashrrev_i32 v27, 31, v26
	v_ashrrev_i32_e32 v3, 31, v2
	s_delay_alu instid0(VALU_DEP_2) | instskip(NEXT) | instid1(VALU_DEP_2)
	v_lshl_add_u64 v[34:35], v[26:27], 2, s[16:17]
	v_lshl_add_u64 v[2:3], v[2:3], 2, s[16:17]
	s_clause 0x1
	global_load_b96 v[26:28], v[2:3], off
	global_load_b96 v[30:32], v[34:35], off
	s_wait_loadcnt 0x0
	v_fmac_f32_e32 v25, v26, v30
	s_delay_alu instid0(VALU_DEP_1) | instskip(NEXT) | instid1(VALU_DEP_1)
	v_fmac_f32_e32 v25, v27, v31
	v_fmac_f32_e32 v25, v28, v32
	s_delay_alu instid0(VALU_DEP_1)
	v_mov_b32_e32 v24, v25
	s_branch .LBB4_37
.LBB4_46:                               ;   in Loop: Header=BB4_19 Depth=1
	s_mov_b32 s21, 0
.LBB4_47:                               ;   in Loop: Header=BB4_19 Depth=1
	s_bitcmp0_b32 s20, 0
	s_cbranch_scc1 .LBB4_53
; %bb.48:                               ;   in Loop: Header=BB4_19 Depth=1
	s_lshl_b32 s20, s21, 2
	s_and_not1_b32 vcc_lo, exec_lo, s28
	s_wait_dscnt 0x0
	v_mov_b32_e32 v2, s20
	s_mov_b32 s20, -1
                                        ; implicit-def: $vgpr25
	ds_load_2addr_b32 v[2:3], v2 offset1:32
	s_cbranch_vccnz .LBB4_50
; %bb.49:                               ;   in Loop: Header=BB4_19 Depth=1
	s_wait_dscnt 0x0
	v_dual_add_nc_u32 v25, v2, v4 :: v_dual_add_nc_u32 v26, v3, v5
	v_add_nc_u32_e32 v27, v15, v2
	s_mov_b32 s20, 0
	s_clause 0x1
	global_load_b32 v28, v25, s[16:17] scale_offset
	global_load_b32 v29, v26, s[16:17] scale_offset
	s_wait_xcnt 0x1
	v_dual_add_nc_u32 v25, v19, v3 :: v_dual_add_nc_u32 v30, v21, v3
	s_wait_xcnt 0x0
	v_add_nc_u32_e32 v26, v20, v2
	s_clause 0x3
	global_load_b32 v31, v27, s[16:17] scale_offset
	global_load_b32 v32, v25, s[16:17] scale_offset
	;; [unrolled: 1-line block ×4, first 2 shown]
	s_wait_loadcnt 0x4
	s_wait_xcnt 0x2
	v_fma_f32 v25, v28, v29, v24
	s_wait_loadcnt 0x2
	s_delay_alu instid0(VALU_DEP_1) | instskip(SKIP_1) | instid1(VALU_DEP_1)
	v_fmac_f32_e32 v25, v31, v32
	s_wait_loadcnt 0x0
	v_fmac_f32_e32 v25, v33, v34
.LBB4_50:                               ;   in Loop: Header=BB4_19 Depth=1
	s_and_not1_b32 vcc_lo, exec_lo, s20
	s_cbranch_vccnz .LBB4_52
; %bb.51:                               ;   in Loop: Header=BB4_19 Depth=1
	s_wait_dscnt 0x0
	v_add_nc_u32_e32 v26, v3, v9
	s_delay_alu instid0(VALU_DEP_1) | instskip(NEXT) | instid1(VALU_DEP_1)
	v_dual_add_nc_u32 v2, v2, v13 :: v_dual_ashrrev_i32 v27, 31, v26
	v_ashrrev_i32_e32 v3, 31, v2
	s_delay_alu instid0(VALU_DEP_2) | instskip(NEXT) | instid1(VALU_DEP_2)
	v_lshl_add_u64 v[34:35], v[26:27], 2, s[16:17]
	v_lshl_add_u64 v[2:3], v[2:3], 2, s[16:17]
	s_clause 0x1
	global_load_b96 v[26:28], v[2:3], off
	global_load_b96 v[30:32], v[34:35], off
	s_wait_loadcnt 0x0
	v_fmac_f32_e32 v24, v26, v30
	s_delay_alu instid0(VALU_DEP_1) | instskip(NEXT) | instid1(VALU_DEP_1)
	v_fmac_f32_e32 v24, v27, v31
	v_fmac_f32_e32 v24, v28, v32
	s_delay_alu instid0(VALU_DEP_1)
	v_mov_b32_e32 v25, v24
.LBB4_52:                               ;   in Loop: Header=BB4_19 Depth=1
	s_delay_alu instid0(VALU_DEP_1)
	v_mov_b32_e32 v24, v25
.LBB4_53:                               ;   in Loop: Header=BB4_19 Depth=1
	ds_store_b32 v22, v24
	s_wait_dscnt 0x0
	ds_load_b32 v3, v12 offset:384
	ds_load_b32 v2, v14
	s_wait_dscnt 0x1
	v_readfirstlane_b32 s20, v3
	s_cmp_neq_f32 s20, 0
	s_cselect_b32 vcc_lo, -1, 0
	v_cndmask_b32_e32 v3, 1.0, v3, vcc_lo
	s_nor_b32 s21, vcc_lo, s0
	s_delay_alu instid0(SALU_CYCLE_1)
	s_and_saveexec_b32 s20, s21
	s_cbranch_execz .LBB4_57
; %bb.54:                               ;   in Loop: Header=BB4_19 Depth=1
	v_mbcnt_lo_u32_b32 v3, exec_lo, 0
	s_mov_b32 s21, exec_lo
	s_delay_alu instid0(VALU_DEP_1)
	v_cmpx_eq_u32_e32 0, v3
	s_cbranch_execz .LBB4_56
; %bb.55:                               ;   in Loop: Header=BB4_19 Depth=1
	v_mov_b32_e32 v3, s19
	global_atomic_min_i32 v12, v3, s[10:11] scope:SCOPE_DEV
.LBB4_56:                               ;   in Loop: Header=BB4_19 Depth=1
	s_wait_xcnt 0x0
	s_or_b32 exec_lo, exec_lo, s21
	v_mov_b32_e32 v3, 1.0
.LBB4_57:                               ;   in Loop: Header=BB4_19 Depth=1
	s_or_b32 exec_lo, exec_lo, s20
	ds_load_b32 v24, v18
	s_wait_dscnt 0x0
	v_sub_f32_e32 v2, v2, v24
	s_delay_alu instid0(VALU_DEP_1) | instskip(SKIP_1) | instid1(VALU_DEP_2)
	v_div_scale_f32 v24, null, v3, v3, v2
	v_div_scale_f32 v27, vcc_lo, v2, v3, v2
	v_rcp_f32_e32 v25, v24
	v_nop
	s_delay_alu instid0(TRANS32_DEP_1) | instskip(NEXT) | instid1(VALU_DEP_1)
	v_fma_f32 v26, -v24, v25, 1.0
	v_fmac_f32_e32 v25, v26, v25
	s_delay_alu instid0(VALU_DEP_1) | instskip(NEXT) | instid1(VALU_DEP_1)
	v_mul_f32_e32 v26, v27, v25
	v_fma_f32 v28, -v24, v26, v27
	s_delay_alu instid0(VALU_DEP_1) | instskip(NEXT) | instid1(VALU_DEP_1)
	v_fmac_f32_e32 v26, v28, v25
	v_fma_f32 v24, -v24, v26, v27
	s_delay_alu instid0(VALU_DEP_1) | instskip(NEXT) | instid1(VALU_DEP_1)
	v_div_fmas_f32 v24, v24, v25, v26
	v_div_fixup_f32 v2, v24, v3, v2
	ds_store_b32 v14, v2
	s_wait_storecnt_dscnt 0x0
	ds_load_b32 v3, v10
	ds_load_b32 v24, v8
	s_wait_dscnt 0x0
	v_fmac_f32_e32 v24, v2, v3
	ds_store_b32 v8, v24
	s_wait_dscnt 0x0
	ds_load_b32 v3, v12 offset:404
	ds_load_b32 v2, v14 offset:4
	s_wait_dscnt 0x1
	v_readfirstlane_b32 s20, v3
	s_cmp_neq_f32 s20, 0
	s_cselect_b32 vcc_lo, -1, 0
	v_cndmask_b32_e32 v3, 1.0, v3, vcc_lo
	s_nor_b32 s21, vcc_lo, s0
	s_delay_alu instid0(SALU_CYCLE_1)
	s_and_saveexec_b32 s20, s21
	s_cbranch_execz .LBB4_61
; %bb.58:                               ;   in Loop: Header=BB4_19 Depth=1
	v_mbcnt_lo_u32_b32 v3, exec_lo, 0
	s_mov_b32 s21, exec_lo
	s_delay_alu instid0(VALU_DEP_1)
	v_cmpx_eq_u32_e32 0, v3
	s_cbranch_execz .LBB4_60
; %bb.59:                               ;   in Loop: Header=BB4_19 Depth=1
	v_mov_b32_e32 v3, s19
	global_atomic_min_i32 v12, v3, s[10:11] scope:SCOPE_DEV
.LBB4_60:                               ;   in Loop: Header=BB4_19 Depth=1
	s_wait_xcnt 0x0
	s_or_b32 exec_lo, exec_lo, s21
	v_mov_b32_e32 v3, 1.0
.LBB4_61:                               ;   in Loop: Header=BB4_19 Depth=1
	s_or_b32 exec_lo, exec_lo, s20
	ds_load_b32 v24, v12 offset:400
	ds_load_b32 v25, v14
	ds_load_b32 v26, v18 offset:4
	s_wait_dscnt 0x0
	v_fmac_f32_e32 v26, v24, v25
	s_delay_alu instid0(VALU_DEP_1) | instskip(NEXT) | instid1(VALU_DEP_1)
	v_sub_f32_e32 v2, v2, v26
	v_div_scale_f32 v24, null, v3, v3, v2
	v_div_scale_f32 v27, vcc_lo, v2, v3, v2
	s_delay_alu instid0(VALU_DEP_2) | instskip(SKIP_1) | instid1(TRANS32_DEP_1)
	v_rcp_f32_e32 v25, v24
	v_nop
	v_fma_f32 v26, -v24, v25, 1.0
	s_delay_alu instid0(VALU_DEP_1) | instskip(NEXT) | instid1(VALU_DEP_1)
	v_fmac_f32_e32 v25, v26, v25
	v_mul_f32_e32 v26, v27, v25
	s_delay_alu instid0(VALU_DEP_1) | instskip(NEXT) | instid1(VALU_DEP_1)
	v_fma_f32 v28, -v24, v26, v27
	v_fmac_f32_e32 v26, v28, v25
	s_delay_alu instid0(VALU_DEP_1) | instskip(NEXT) | instid1(VALU_DEP_1)
	v_fma_f32 v24, -v24, v26, v27
	v_div_fmas_f32 v24, v24, v25, v26
	s_delay_alu instid0(VALU_DEP_1)
	v_div_fixup_f32 v2, v24, v3, v2
	ds_store_b32 v14, v2 offset:4
	s_wait_storecnt_dscnt 0x0
	ds_load_b32 v3, v10 offset:4
	ds_load_b32 v24, v8
	s_wait_dscnt 0x0
	v_fmac_f32_e32 v24, v2, v3
	ds_store_b32 v8, v24
	s_wait_dscnt 0x0
	ds_load_b32 v3, v12 offset:424
	ds_load_b32 v2, v14 offset:8
	s_wait_dscnt 0x1
	v_readfirstlane_b32 s20, v3
	s_cmp_neq_f32 s20, 0
	s_cselect_b32 vcc_lo, -1, 0
	v_cndmask_b32_e32 v3, 1.0, v3, vcc_lo
	s_nor_b32 s21, vcc_lo, s0
	s_delay_alu instid0(SALU_CYCLE_1)
	s_and_saveexec_b32 s20, s21
	s_cbranch_execz .LBB4_17
; %bb.62:                               ;   in Loop: Header=BB4_19 Depth=1
	v_mbcnt_lo_u32_b32 v3, exec_lo, 0
	s_mov_b32 s21, exec_lo
	s_delay_alu instid0(VALU_DEP_1)
	v_cmpx_eq_u32_e32 0, v3
	s_cbranch_execz .LBB4_16
; %bb.63:                               ;   in Loop: Header=BB4_19 Depth=1
	v_mov_b32_e32 v3, s19
	global_atomic_min_i32 v12, v3, s[10:11] scope:SCOPE_DEV
	s_branch .LBB4_16
.LBB4_64:
	s_wait_xcnt 0x0
	v_mov_b32_e32 v0, v6
	s_wait_kmcnt 0x0
	s_cmp_lg_u32 s1, 0
	s_cselect_b32 s4, -1, 0
	s_cmp_eq_u32 s1, 0
	s_cbranch_scc1 .LBB4_66
; %bb.65:
	v_mad_u32_u24 v0, v4, 3, v5
.LBB4_66:
	s_mul_i32 s26, s26, 9
	v_lshl_add_u32 v1, v5, 4, 0x1e0
	s_delay_alu instid0(VALU_DEP_2)
	v_add_nc_u32_e32 v0, s26, v0
	s_mov_b32 s1, exec_lo
	v_cmp_ne_u32_e32 vcc_lo, 0, v5
	global_load_b32 v2, v0, s[16:17] scale_offset
	s_wait_xcnt 0x0
	v_lshl_add_u32 v0, v4, 2, v1
	s_wait_loadcnt 0x0
	ds_store_b32 v0, v2
	s_wait_dscnt 0x0
	v_cmpx_eq_u32_e32 0, v5
	s_cbranch_execz .LBB4_68
; %bb.67:
	v_mov_b32_e32 v9, 0
	ds_load_2addr_b32 v[2:3], v9 offset0:120 offset1:132
	s_wait_dscnt 0x0
	v_readfirstlane_b32 s0, v2
	v_readfirstlane_b32 s5, v3
	s_sub_f32 s0, s0, s5
	s_delay_alu instid0(SALU_CYCLE_3) | instskip(SKIP_2) | instid1(SALU_CYCLE_1)
	s_xor_b32 s5, s0, 0x80000000
	s_cmp_lt_f32 s0, 0
	s_cselect_b32 s0, s5, s0
	s_mul_f32 s5, s0, 0x4f800000
	s_cmp_lt_f32 s0, 0xf800000
	s_delay_alu instid0(SALU_CYCLE_2) | instskip(NEXT) | instid1(SALU_CYCLE_1)
	s_cselect_b32 s5, s5, s0
	v_s_sqrt_f32 s12, s5
	s_mov_b32 s14, s5
	s_delay_alu instid0(TRANS32_DEP_1) | instskip(NEXT) | instid1(SALU_CYCLE_1)
	s_add_co_i32 s13, s12, -1
	s_xor_b32 s15, s13, 0x80000000
	s_delay_alu instid0(SALU_CYCLE_1) | instskip(SKIP_1) | instid1(SALU_CYCLE_2)
	s_fmac_f32 s14, s15, s12
	s_mov_b32 s15, s5
	s_cmp_le_f32 s14, 0
	s_cselect_b32 s13, s13, s12
	s_add_co_i32 s14, s12, 1
	s_delay_alu instid0(SALU_CYCLE_1) | instskip(NEXT) | instid1(SALU_CYCLE_1)
	s_xor_b32 s18, s14, 0x80000000
	s_fmac_f32 s15, s18, s12
	s_delay_alu instid0(SALU_CYCLE_3) | instskip(SKIP_4) | instid1(SALU_CYCLE_2)
	s_cmp_gt_f32 s15, 0
	s_cselect_b32 s12, s14, s13
	s_cmp_lt_f32 s0, 0xf800000
	s_mul_f32 s0, s12, 0x37800000
	v_cmp_class_f32_e64 s13, s5, 0x260
	s_cselect_b32 s0, s0, s12
	s_and_b32 s12, s13, exec_lo
	s_cselect_b32 s0, s5, s0
	s_delay_alu instid0(SALU_CYCLE_1)
	v_mov_b32_e32 v2, s0
	ds_store_b32 v9, v2 offset:480
.LBB4_68:
	s_or_b32 exec_lo, exec_lo, s1
	v_mov_b32_e32 v2, 0
	s_wait_dscnt 0x0
	s_add_co_i32 s5, s8, s9
	ds_load_b32 v3, v2 offset:480
	v_or_b32_e32 v2, v4, v5
	s_wait_dscnt 0x0
	v_readfirstlane_b32 s0, v3
	s_cmp_neq_f32 s0, 0
	v_cmp_ne_u32_e64 s0, 0, v2
	s_cselect_b32 s1, -1, 0
	s_delay_alu instid0(SALU_CYCLE_1) | instskip(SKIP_1) | instid1(SALU_CYCLE_1)
	v_cndmask_b32_e64 v3, 1.0, v3, s1
	s_nor_b32 s1, s1, s0
	s_and_saveexec_b32 s12, s1
	s_cbranch_execz .LBB4_72
; %bb.69:
	v_mbcnt_lo_u32_b32 v3, exec_lo, 0
	s_mov_b32 s13, exec_lo
	s_delay_alu instid0(VALU_DEP_1)
	v_cmpx_eq_u32_e32 0, v3
	s_cbranch_execz .LBB4_71
; %bb.70:
	v_dual_mov_b32 v3, 0 :: v_dual_mov_b32 v9, s5
	global_atomic_min_i32 v3, v9, s[10:11] scope:SCOPE_DEV
.LBB4_71:
	s_wait_xcnt 0x0
	s_or_b32 exec_lo, exec_lo, s13
	v_mov_b32_e32 v3, 1.0
.LBB4_72:
	s_or_b32 exec_lo, exec_lo, s12
	s_and_saveexec_b32 s1, vcc_lo
	s_cbranch_execz .LBB4_74
; %bb.73:
	ds_load_b32 v9, v1
	ds_load_b32 v12, v11
	s_wait_dscnt 0x0
	v_sub_f32_e32 v9, v9, v12
	s_delay_alu instid0(VALU_DEP_1) | instskip(NEXT) | instid1(VALU_DEP_1)
	v_div_scale_f32 v12, null, v3, v3, v9
	v_rcp_f32_e32 v13, v12
	v_nop
	s_delay_alu instid0(TRANS32_DEP_1) | instskip(NEXT) | instid1(VALU_DEP_1)
	v_fma_f32 v14, -v12, v13, 1.0
	v_fmac_f32_e32 v13, v14, v13
	v_div_scale_f32 v15, vcc_lo, v9, v3, v9
	s_delay_alu instid0(VALU_DEP_1) | instskip(NEXT) | instid1(VALU_DEP_1)
	v_mul_f32_e32 v14, v15, v13
	v_fma_f32 v16, -v12, v14, v15
	s_delay_alu instid0(VALU_DEP_1) | instskip(NEXT) | instid1(VALU_DEP_1)
	v_fmac_f32_e32 v14, v16, v13
	v_fma_f32 v12, -v12, v14, v15
	s_delay_alu instid0(VALU_DEP_1) | instskip(NEXT) | instid1(VALU_DEP_1)
	v_div_fmas_f32 v12, v12, v13, v14
	v_div_fixup_f32 v3, v12, v3, v9
	ds_store_b32 v1, v3
	s_wait_storecnt_dscnt 0x0
	ds_load_b32 v9, v10
	ds_load_b32 v12, v8
	s_wait_dscnt 0x0
	v_fmac_f32_e32 v12, v3, v9
	ds_store_b32 v8, v12
.LBB4_74:
	s_or_b32 exec_lo, exec_lo, s1
	s_delay_alu instid0(SALU_CYCLE_1)
	s_mov_b32 s1, exec_lo
	s_wait_storecnt_dscnt 0x0
	v_cmpx_eq_u32_e32 1, v5
	s_cbranch_execz .LBB4_76
; %bb.75:
	v_mov_b32_e32 v3, 0
	ds_load_2addr_b32 v[12:13], v3 offset0:125 offset1:137
	s_wait_dscnt 0x0
	v_readfirstlane_b32 s12, v12
	v_readfirstlane_b32 s13, v13
	s_sub_f32 s12, s12, s13
	s_delay_alu instid0(SALU_CYCLE_3) | instskip(SKIP_2) | instid1(SALU_CYCLE_1)
	s_xor_b32 s13, s12, 0x80000000
	s_cmp_lt_f32 s12, 0
	s_cselect_b32 s12, s13, s12
	s_mul_f32 s13, s12, 0x4f800000
	s_cmp_lt_f32 s12, 0xf800000
	s_delay_alu instid0(SALU_CYCLE_2) | instskip(NEXT) | instid1(SALU_CYCLE_1)
	s_cselect_b32 s13, s13, s12
	v_s_sqrt_f32 s14, s13
	s_mov_b32 s18, s13
	s_delay_alu instid0(TRANS32_DEP_1) | instskip(NEXT) | instid1(SALU_CYCLE_1)
	s_add_co_i32 s15, s14, -1
	s_xor_b32 s19, s15, 0x80000000
	s_delay_alu instid0(SALU_CYCLE_1) | instskip(SKIP_1) | instid1(SALU_CYCLE_2)
	s_fmac_f32 s18, s19, s14
	s_mov_b32 s19, s13
	s_cmp_le_f32 s18, 0
	s_cselect_b32 s15, s15, s14
	s_add_co_i32 s18, s14, 1
	s_delay_alu instid0(SALU_CYCLE_1) | instskip(NEXT) | instid1(SALU_CYCLE_1)
	s_xor_b32 s20, s18, 0x80000000
	s_fmac_f32 s19, s20, s14
	s_delay_alu instid0(SALU_CYCLE_3) | instskip(SKIP_4) | instid1(SALU_CYCLE_2)
	s_cmp_gt_f32 s19, 0
	s_cselect_b32 s14, s18, s15
	s_cmp_lt_f32 s12, 0xf800000
	s_mul_f32 s12, s14, 0x37800000
	v_cmp_class_f32_e64 s15, s13, 0x260
	s_cselect_b32 s12, s12, s14
	s_and_b32 s14, s15, exec_lo
	s_cselect_b32 s12, s13, s12
	s_delay_alu instid0(SALU_CYCLE_1)
	v_mov_b32_e32 v9, s12
	ds_store_b32 v3, v9 offset:500
.LBB4_76:
	s_or_b32 exec_lo, exec_lo, s1
	v_mov_b32_e32 v3, 0
	s_wait_dscnt 0x0
	ds_load_b32 v3, v3 offset:500
	s_wait_dscnt 0x0
	v_readfirstlane_b32 s1, v3
	s_cmp_neq_f32 s1, 0
	s_cselect_b32 vcc_lo, -1, 0
	v_cndmask_b32_e32 v3, 1.0, v3, vcc_lo
	s_nor_b32 s12, vcc_lo, s0
	s_delay_alu instid0(SALU_CYCLE_1)
	s_and_saveexec_b32 s1, s12
	s_cbranch_execz .LBB4_80
; %bb.77:
	v_mbcnt_lo_u32_b32 v3, exec_lo, 0
	s_mov_b32 s12, exec_lo
	s_delay_alu instid0(VALU_DEP_1)
	v_cmpx_eq_u32_e32 0, v3
	s_cbranch_execz .LBB4_79
; %bb.78:
	v_dual_mov_b32 v3, 0 :: v_dual_mov_b32 v9, s5
	global_atomic_min_i32 v3, v9, s[10:11] scope:SCOPE_DEV
.LBB4_79:
	s_wait_xcnt 0x0
	s_or_b32 exec_lo, exec_lo, s12
	v_mov_b32_e32 v3, 1.0
.LBB4_80:
	s_or_b32 exec_lo, exec_lo, s1
	s_delay_alu instid0(SALU_CYCLE_1)
	s_mov_b32 s1, exec_lo
	v_cmpx_lt_u32_e32 1, v5
	s_cbranch_execz .LBB4_82
; %bb.81:
	ds_load_b32 v9, v1 offset:4
	ds_load_b32 v12, v11 offset:4
	s_wait_dscnt 0x0
	v_sub_f32_e32 v9, v9, v12
	s_delay_alu instid0(VALU_DEP_1) | instskip(NEXT) | instid1(VALU_DEP_1)
	v_div_scale_f32 v12, null, v3, v3, v9
	v_rcp_f32_e32 v13, v12
	v_nop
	s_delay_alu instid0(TRANS32_DEP_1) | instskip(NEXT) | instid1(VALU_DEP_1)
	v_fma_f32 v14, -v12, v13, 1.0
	v_fmac_f32_e32 v13, v14, v13
	v_div_scale_f32 v15, vcc_lo, v9, v3, v9
	s_delay_alu instid0(VALU_DEP_1) | instskip(NEXT) | instid1(VALU_DEP_1)
	v_mul_f32_e32 v14, v15, v13
	v_fma_f32 v16, -v12, v14, v15
	s_delay_alu instid0(VALU_DEP_1) | instskip(NEXT) | instid1(VALU_DEP_1)
	v_fmac_f32_e32 v14, v16, v13
	v_fma_f32 v12, -v12, v14, v15
	s_delay_alu instid0(VALU_DEP_1) | instskip(NEXT) | instid1(VALU_DEP_1)
	v_div_fmas_f32 v12, v12, v13, v14
	v_div_fixup_f32 v3, v12, v3, v9
	ds_store_b32 v1, v3 offset:4
	s_wait_storecnt_dscnt 0x0
	ds_load_b32 v9, v10 offset:4
	ds_load_b32 v12, v8
	s_wait_dscnt 0x0
	v_fmac_f32_e32 v12, v3, v9
	ds_store_b32 v8, v12
.LBB4_82:
	s_or_b32 exec_lo, exec_lo, s1
	s_delay_alu instid0(SALU_CYCLE_1)
	s_mov_b32 s1, exec_lo
	s_wait_storecnt_dscnt 0x0
	v_cmpx_eq_u32_e32 2, v5
	s_cbranch_execz .LBB4_84
; %bb.83:
	v_mov_b32_e32 v3, 0
	ds_load_2addr_b32 v[12:13], v3 offset0:130 offset1:142
	s_wait_dscnt 0x0
	v_readfirstlane_b32 s12, v12
	v_readfirstlane_b32 s13, v13
	s_sub_f32 s12, s12, s13
	s_delay_alu instid0(SALU_CYCLE_3) | instskip(SKIP_2) | instid1(SALU_CYCLE_1)
	s_xor_b32 s13, s12, 0x80000000
	s_cmp_lt_f32 s12, 0
	s_cselect_b32 s12, s13, s12
	s_mul_f32 s13, s12, 0x4f800000
	s_cmp_lt_f32 s12, 0xf800000
	s_delay_alu instid0(SALU_CYCLE_2) | instskip(NEXT) | instid1(SALU_CYCLE_1)
	s_cselect_b32 s13, s13, s12
	v_s_sqrt_f32 s14, s13
	s_mov_b32 s18, s13
	s_delay_alu instid0(TRANS32_DEP_1) | instskip(NEXT) | instid1(SALU_CYCLE_1)
	s_add_co_i32 s15, s14, -1
	s_xor_b32 s19, s15, 0x80000000
	s_delay_alu instid0(SALU_CYCLE_1) | instskip(SKIP_1) | instid1(SALU_CYCLE_2)
	s_fmac_f32 s18, s19, s14
	s_mov_b32 s19, s13
	s_cmp_le_f32 s18, 0
	s_cselect_b32 s15, s15, s14
	s_add_co_i32 s18, s14, 1
	s_delay_alu instid0(SALU_CYCLE_1) | instskip(NEXT) | instid1(SALU_CYCLE_1)
	s_xor_b32 s20, s18, 0x80000000
	s_fmac_f32 s19, s20, s14
	s_delay_alu instid0(SALU_CYCLE_3) | instskip(SKIP_4) | instid1(SALU_CYCLE_2)
	s_cmp_gt_f32 s19, 0
	s_cselect_b32 s14, s18, s15
	s_cmp_lt_f32 s12, 0xf800000
	s_mul_f32 s12, s14, 0x37800000
	v_cmp_class_f32_e64 s15, s13, 0x260
	s_cselect_b32 s12, s12, s14
	s_and_b32 s14, s15, exec_lo
	s_cselect_b32 s12, s13, s12
	s_delay_alu instid0(SALU_CYCLE_1)
	v_mov_b32_e32 v9, s12
	ds_store_b32 v3, v9 offset:520
.LBB4_84:
	s_or_b32 exec_lo, exec_lo, s1
	v_mov_b32_e32 v3, 0
	s_wait_dscnt 0x0
	ds_load_b32 v3, v3 offset:520
	s_wait_dscnt 0x0
	v_readfirstlane_b32 s1, v3
	s_cmp_neq_f32 s1, 0
	s_cselect_b32 vcc_lo, -1, 0
	v_cndmask_b32_e32 v3, 1.0, v3, vcc_lo
	s_nor_b32 s1, vcc_lo, s0
	s_delay_alu instid0(SALU_CYCLE_1)
	s_and_saveexec_b32 s0, s1
	s_cbranch_execz .LBB4_88
; %bb.85:
	v_mbcnt_lo_u32_b32 v3, exec_lo, 0
	s_mov_b32 s1, exec_lo
	s_delay_alu instid0(VALU_DEP_1)
	v_cmpx_eq_u32_e32 0, v3
	s_cbranch_execz .LBB4_87
; %bb.86:
	v_dual_mov_b32 v3, 0 :: v_dual_mov_b32 v9, s5
	global_atomic_min_i32 v3, v9, s[10:11] scope:SCOPE_DEV
.LBB4_87:
	s_wait_xcnt 0x0
	s_or_b32 exec_lo, exec_lo, s1
	v_mov_b32_e32 v3, 1.0
.LBB4_88:
	s_or_b32 exec_lo, exec_lo, s0
	s_delay_alu instid0(SALU_CYCLE_1)
	s_mov_b32 s0, exec_lo
	v_cmpx_lt_u32_e32 2, v5
	s_cbranch_execz .LBB4_90
; %bb.89:
	ds_load_b32 v9, v1 offset:8
	ds_load_b32 v11, v11 offset:8
	s_wait_dscnt 0x0
	v_sub_f32_e32 v9, v9, v11
	s_delay_alu instid0(VALU_DEP_1) | instskip(SKIP_1) | instid1(VALU_DEP_2)
	v_div_scale_f32 v11, null, v3, v3, v9
	v_div_scale_f32 v14, vcc_lo, v9, v3, v9
	v_rcp_f32_e32 v12, v11
	v_nop
	s_delay_alu instid0(TRANS32_DEP_1) | instskip(NEXT) | instid1(VALU_DEP_1)
	v_fma_f32 v13, -v11, v12, 1.0
	v_fmac_f32_e32 v12, v13, v12
	s_delay_alu instid0(VALU_DEP_1) | instskip(NEXT) | instid1(VALU_DEP_1)
	v_mul_f32_e32 v13, v14, v12
	v_fma_f32 v15, -v11, v13, v14
	s_delay_alu instid0(VALU_DEP_1) | instskip(NEXT) | instid1(VALU_DEP_1)
	v_fmac_f32_e32 v13, v15, v12
	v_fma_f32 v11, -v11, v13, v14
	s_delay_alu instid0(VALU_DEP_1) | instskip(NEXT) | instid1(VALU_DEP_1)
	v_div_fmas_f32 v11, v11, v12, v13
	v_div_fixup_f32 v3, v11, v3, v9
	ds_store_b32 v1, v3 offset:8
	s_wait_storecnt_dscnt 0x0
	ds_load_b32 v1, v10 offset:8
	ds_load_b32 v9, v8
	s_wait_dscnt 0x0
	v_fmac_f32_e32 v9, v3, v1
	ds_store_b32 v8, v9
.LBB4_90:
	s_or_b32 exec_lo, exec_lo, s0
	s_wait_storecnt_dscnt 0x0
	ds_load_b32 v0, v0
	s_and_not1_b32 vcc_lo, exec_lo, s4
	s_cbranch_vccnz .LBB4_92
; %bb.91:
	v_mov_b32_e32 v6, v7
.LBB4_92:
	s_delay_alu instid0(VALU_DEP_1)
	v_add_nc_u32_e32 v1, s26, v6
	s_mov_b32 s0, 0
	s_mov_b32 s1, exec_lo
	s_wait_dscnt 0x0
	global_store_b32 v1, v0, s[16:17] scale_offset
	s_wait_xcnt 0x0
	v_cmpx_eq_u32_e32 0, v2
	s_cbranch_execz .LBB4_94
; %bb.93:
	v_dual_mov_b32 v0, 0 :: v_dual_mov_b32 v1, 1
	s_add_nc_u64 s[4:5], s[6:7], s[2:3]
	global_wb scope:SCOPE_DEV
	s_wait_storecnt 0x0
	global_store_b32 v0, v1, s[4:5] scope:SCOPE_DEV
.LBB4_94:
	s_wait_xcnt 0x0
	s_or_b32 exec_lo, exec_lo, s1
	s_delay_alu instid0(SALU_CYCLE_1)
	s_and_b32 vcc_lo, exec_lo, s0
	s_cbranch_vccnz .LBB4_97
.LBB4_95:
	s_endpgm
.LBB4_96:
	s_cbranch_execz .LBB4_95
.LBB4_97:
	v_or_b32_e32 v0, v4, v5
	s_mov_b32 s0, exec_lo
	s_delay_alu instid0(VALU_DEP_1)
	v_cmpx_eq_u32_e32 0, v0
	s_cbranch_execz .LBB4_95
; %bb.98:
	v_mbcnt_lo_u32_b32 v0, exec_lo, 0
	s_mov_b32 s0, exec_lo
	s_delay_alu instid0(VALU_DEP_1)
	v_cmpx_eq_u32_e32 0, v0
	s_cbranch_execz .LBB4_100
; %bb.99:
	s_add_co_i32 s1, s8, s9
	s_delay_alu instid0(SALU_CYCLE_1)
	v_dual_mov_b32 v0, 0 :: v_dual_mov_b32 v1, s1
	global_atomic_min_i32 v0, v1, s[10:11] scope:SCOPE_DEV
.LBB4_100:
	s_wait_xcnt 0x0
	s_or_b32 exec_lo, exec_lo, s0
	v_dual_mov_b32 v0, 0 :: v_dual_mov_b32 v1, 1
	s_add_nc_u64 s[0:1], s[6:7], s[2:3]
	global_wb scope:SCOPE_DEV
	s_wait_storecnt 0x0
	global_store_b32 v0, v1, s[0:1] scope:SCOPE_DEV
	s_endpgm
	.section	.rodata,"a",@progbits
	.p2align	6, 0x0
	.amdhsa_kernel _ZN9rocsparseL26bsric0_2_8_unrolled_kernelILi9ELi32ELi3EfEEv20rocsparse_direction_iiPKiS3_PT2_S3_PiS3_S6_21rocsparse_index_base_
		.amdhsa_group_segment_fixed_size 576
		.amdhsa_private_segment_fixed_size 0
		.amdhsa_kernarg_size 76
		.amdhsa_user_sgpr_count 2
		.amdhsa_user_sgpr_dispatch_ptr 0
		.amdhsa_user_sgpr_queue_ptr 0
		.amdhsa_user_sgpr_kernarg_segment_ptr 1
		.amdhsa_user_sgpr_dispatch_id 0
		.amdhsa_user_sgpr_kernarg_preload_length 0
		.amdhsa_user_sgpr_kernarg_preload_offset 0
		.amdhsa_user_sgpr_private_segment_size 0
		.amdhsa_wavefront_size32 1
		.amdhsa_uses_dynamic_stack 0
		.amdhsa_enable_private_segment 0
		.amdhsa_system_sgpr_workgroup_id_x 1
		.amdhsa_system_sgpr_workgroup_id_y 0
		.amdhsa_system_sgpr_workgroup_id_z 0
		.amdhsa_system_sgpr_workgroup_info 0
		.amdhsa_system_vgpr_workitem_id 1
		.amdhsa_next_free_vgpr 42
		.amdhsa_next_free_sgpr 37
		.amdhsa_named_barrier_count 0
		.amdhsa_reserve_vcc 1
		.amdhsa_float_round_mode_32 0
		.amdhsa_float_round_mode_16_64 0
		.amdhsa_float_denorm_mode_32 3
		.amdhsa_float_denorm_mode_16_64 3
		.amdhsa_fp16_overflow 0
		.amdhsa_memory_ordered 1
		.amdhsa_forward_progress 1
		.amdhsa_inst_pref_size 48
		.amdhsa_round_robin_scheduling 0
		.amdhsa_exception_fp_ieee_invalid_op 0
		.amdhsa_exception_fp_denorm_src 0
		.amdhsa_exception_fp_ieee_div_zero 0
		.amdhsa_exception_fp_ieee_overflow 0
		.amdhsa_exception_fp_ieee_underflow 0
		.amdhsa_exception_fp_ieee_inexact 0
		.amdhsa_exception_int_div_zero 0
	.end_amdhsa_kernel
	.section	.text._ZN9rocsparseL26bsric0_2_8_unrolled_kernelILi9ELi32ELi3EfEEv20rocsparse_direction_iiPKiS3_PT2_S3_PiS3_S6_21rocsparse_index_base_,"axG",@progbits,_ZN9rocsparseL26bsric0_2_8_unrolled_kernelILi9ELi32ELi3EfEEv20rocsparse_direction_iiPKiS3_PT2_S3_PiS3_S6_21rocsparse_index_base_,comdat
.Lfunc_end4:
	.size	_ZN9rocsparseL26bsric0_2_8_unrolled_kernelILi9ELi32ELi3EfEEv20rocsparse_direction_iiPKiS3_PT2_S3_PiS3_S6_21rocsparse_index_base_, .Lfunc_end4-_ZN9rocsparseL26bsric0_2_8_unrolled_kernelILi9ELi32ELi3EfEEv20rocsparse_direction_iiPKiS3_PT2_S3_PiS3_S6_21rocsparse_index_base_
                                        ; -- End function
	.set _ZN9rocsparseL26bsric0_2_8_unrolled_kernelILi9ELi32ELi3EfEEv20rocsparse_direction_iiPKiS3_PT2_S3_PiS3_S6_21rocsparse_index_base_.num_vgpr, 42
	.set _ZN9rocsparseL26bsric0_2_8_unrolled_kernelILi9ELi32ELi3EfEEv20rocsparse_direction_iiPKiS3_PT2_S3_PiS3_S6_21rocsparse_index_base_.num_agpr, 0
	.set _ZN9rocsparseL26bsric0_2_8_unrolled_kernelILi9ELi32ELi3EfEEv20rocsparse_direction_iiPKiS3_PT2_S3_PiS3_S6_21rocsparse_index_base_.numbered_sgpr, 37
	.set _ZN9rocsparseL26bsric0_2_8_unrolled_kernelILi9ELi32ELi3EfEEv20rocsparse_direction_iiPKiS3_PT2_S3_PiS3_S6_21rocsparse_index_base_.num_named_barrier, 0
	.set _ZN9rocsparseL26bsric0_2_8_unrolled_kernelILi9ELi32ELi3EfEEv20rocsparse_direction_iiPKiS3_PT2_S3_PiS3_S6_21rocsparse_index_base_.private_seg_size, 0
	.set _ZN9rocsparseL26bsric0_2_8_unrolled_kernelILi9ELi32ELi3EfEEv20rocsparse_direction_iiPKiS3_PT2_S3_PiS3_S6_21rocsparse_index_base_.uses_vcc, 1
	.set _ZN9rocsparseL26bsric0_2_8_unrolled_kernelILi9ELi32ELi3EfEEv20rocsparse_direction_iiPKiS3_PT2_S3_PiS3_S6_21rocsparse_index_base_.uses_flat_scratch, 0
	.set _ZN9rocsparseL26bsric0_2_8_unrolled_kernelILi9ELi32ELi3EfEEv20rocsparse_direction_iiPKiS3_PT2_S3_PiS3_S6_21rocsparse_index_base_.has_dyn_sized_stack, 0
	.set _ZN9rocsparseL26bsric0_2_8_unrolled_kernelILi9ELi32ELi3EfEEv20rocsparse_direction_iiPKiS3_PT2_S3_PiS3_S6_21rocsparse_index_base_.has_recursion, 0
	.set _ZN9rocsparseL26bsric0_2_8_unrolled_kernelILi9ELi32ELi3EfEEv20rocsparse_direction_iiPKiS3_PT2_S3_PiS3_S6_21rocsparse_index_base_.has_indirect_call, 0
	.section	.AMDGPU.csdata,"",@progbits
; Kernel info:
; codeLenInByte = 6096
; TotalNumSgprs: 39
; NumVgprs: 42
; ScratchSize: 0
; MemoryBound: 0
; FloatMode: 240
; IeeeMode: 1
; LDSByteSize: 576 bytes/workgroup (compile time only)
; SGPRBlocks: 0
; VGPRBlocks: 2
; NumSGPRsForWavesPerEU: 39
; NumVGPRsForWavesPerEU: 42
; NamedBarCnt: 0
; Occupancy: 16
; WaveLimiterHint : 1
; COMPUTE_PGM_RSRC2:SCRATCH_EN: 0
; COMPUTE_PGM_RSRC2:USER_SGPR: 2
; COMPUTE_PGM_RSRC2:TRAP_HANDLER: 0
; COMPUTE_PGM_RSRC2:TGID_X_EN: 1
; COMPUTE_PGM_RSRC2:TGID_Y_EN: 0
; COMPUTE_PGM_RSRC2:TGID_Z_EN: 0
; COMPUTE_PGM_RSRC2:TIDIG_COMP_CNT: 1
	.section	.text._ZN9rocsparseL26bsric0_2_8_unrolled_kernelILi16ELi32ELi4EfEEv20rocsparse_direction_iiPKiS3_PT2_S3_PiS3_S6_21rocsparse_index_base_,"axG",@progbits,_ZN9rocsparseL26bsric0_2_8_unrolled_kernelILi16ELi32ELi4EfEEv20rocsparse_direction_iiPKiS3_PT2_S3_PiS3_S6_21rocsparse_index_base_,comdat
	.globl	_ZN9rocsparseL26bsric0_2_8_unrolled_kernelILi16ELi32ELi4EfEEv20rocsparse_direction_iiPKiS3_PT2_S3_PiS3_S6_21rocsparse_index_base_ ; -- Begin function _ZN9rocsparseL26bsric0_2_8_unrolled_kernelILi16ELi32ELi4EfEEv20rocsparse_direction_iiPKiS3_PT2_S3_PiS3_S6_21rocsparse_index_base_
	.p2align	8
	.type	_ZN9rocsparseL26bsric0_2_8_unrolled_kernelILi16ELi32ELi4EfEEv20rocsparse_direction_iiPKiS3_PT2_S3_PiS3_S6_21rocsparse_index_base_,@function
_ZN9rocsparseL26bsric0_2_8_unrolled_kernelILi16ELi32ELi4EfEEv20rocsparse_direction_iiPKiS3_PT2_S3_PiS3_S6_21rocsparse_index_base_: ; @_ZN9rocsparseL26bsric0_2_8_unrolled_kernelILi16ELi32ELi4EfEEv20rocsparse_direction_iiPKiS3_PT2_S3_PiS3_S6_21rocsparse_index_base_
; %bb.0:
	s_load_b256 s[4:11], s[0:1], 0x28
	s_bfe_u32 s2, ttmp6, 0x4000c
	s_and_b32 s3, ttmp6, 15
	s_add_co_i32 s2, s2, 1
	s_getreg_b32 s12, hwreg(HW_REG_IB_STS2, 6, 4)
	s_mul_i32 s2, ttmp9, s2
	v_and_b32_e32 v4, 0x3ff, v0
	s_add_co_i32 s3, s3, s2
	s_cmp_eq_u32 s12, 0
	v_bfe_u32 v5, v0, 10, 10
	s_cselect_b32 s2, ttmp9, s3
	s_wait_kmcnt 0x0
	s_load_b32 s8, s[8:9], s2 offset:0x0 scale_offset
	s_wait_kmcnt 0x0
	s_ashr_i32 s9, s8, 31
	s_delay_alu instid0(SALU_CYCLE_1) | instskip(NEXT) | instid1(SALU_CYCLE_1)
	s_lshl_b64 s[2:3], s[8:9], 2
	s_add_nc_u64 s[12:13], s[4:5], s[2:3]
	s_load_b32 s26, s[12:13], 0x0
	s_load_b32 s9, s[0:1], 0x48
	s_wait_kmcnt 0x0
	s_cmp_lg_u32 s26, -1
	s_cbranch_scc0 .LBB5_15
; %bb.1:
	s_load_b128 s[12:15], s[0:1], 0x10
	s_wait_kmcnt 0x0
	s_add_nc_u64 s[16:17], s[12:13], s[2:3]
	s_load_b32 s17, s[16:17], 0x0
	s_wait_xcnt 0x0
	s_mov_b32 s16, exec_lo
	s_wait_kmcnt 0x0
	s_sub_co_i32 s27, s17, s9
	v_lshlrev_b32_e32 v12, 2, v5
	s_delay_alu instid0(VALU_DEP_1) | instskip(NEXT) | instid1(VALU_DEP_1)
	v_add_nc_u32_e32 v11, v12, v4
	v_add_nc_u32_e32 v0, s27, v11
	s_delay_alu instid0(VALU_DEP_1)
	v_cmpx_ge_i32_e64 s26, v0
	s_cbranch_execz .LBB5_13
; %bb.2:
	v_add_nc_u32_e32 v1, s17, v11
	s_add_co_i32 s18, s26, 1
	v_not_b32_e32 v2, v4
	s_mov_b32 s19, -1
	s_delay_alu instid0(VALU_DEP_2) | instskip(NEXT) | instid1(VALU_DEP_1)
	v_subrev_nc_u32_e32 v1, s9, v1
	v_add_max_i32_e64 v1, v1, 16, s18
	s_mov_b32 s18, exec_lo
	s_delay_alu instid0(VALU_DEP_1) | instskip(SKIP_1) | instid1(VALU_DEP_1)
	v_add3_u32 v1, s9, v1, v2
	v_add_nc_u32_e32 v2, s17, v12
	v_sub_nc_u32_e32 v1, v1, v2
	s_delay_alu instid0(VALU_DEP_1)
	v_cmpx_lt_u32_e32 15, v1
	s_cbranch_execz .LBB5_10
; %bb.3:
	v_dual_lshrrev_b32 v6, 4, v1 :: v_dual_add_nc_u32 v1, 16, v0
	s_delay_alu instid0(VALU_DEP_1) | instskip(NEXT) | instid1(VALU_DEP_1)
	v_add_nc_u32_e32 v2, -1, v6
	v_lshrrev_b32_e32 v3, 1, v2
	v_cmp_lt_u32_e32 vcc_lo, 13, v2
	s_delay_alu instid0(VALU_DEP_2)
	v_add_nc_u32_e32 v7, 1, v3
	v_mov_b64_e32 v[2:3], v[0:1]
	s_and_saveexec_b32 s19, vcc_lo
	s_cbranch_execz .LBB5_7
; %bb.4:
	v_mov_b64_e32 v[2:3], v[0:1]
	v_and_b32_e32 v8, -8, v7
	s_mov_b32 s20, 0
.LBB5_5:                                ; =>This Inner Loop Header: Depth=1
	s_clause 0x1
	global_load_b32 v1, v2, s[14:15] scale_offset
	global_load_b32 v9, v3, s[14:15] scale_offset
	v_add_nc_u32_e32 v18, 0x80, v3
	v_add_nc_u32_e32 v16, 0x60, v3
	v_dual_add_nc_u32 v14, 64, v3 :: v_dual_add_nc_u32 v15, 64, v2
	v_dual_add_nc_u32 v10, 32, v3 :: v_dual_add_nc_u32 v13, 32, v2
	v_add_nc_u32_e32 v17, 0x60, v2
	v_add_nc_u32_e32 v19, 0x80, v2
	;; [unrolled: 1-line block ×8, first 2 shown]
	s_clause 0xd
	global_load_b32 v26, v18, s[14:15] scale_offset
	global_load_b32 v27, v16, s[14:15] scale_offset
	;; [unrolled: 1-line block ×14, first 2 shown]
	v_subrev_nc_u32_e32 v40, s27, v2
	v_subrev_nc_u32_e32 v41, s27, v3
	v_add_nc_u32_e32 v8, -8, v8
	s_wait_xcnt 0x9
	v_subrev_nc_u32_e32 v13, s27, v13
	v_subrev_nc_u32_e32 v10, s27, v10
	v_dual_lshlrev_b32 v40, 2, v40 :: v_dual_lshlrev_b32 v41, 2, v41
	s_wait_xcnt 0x8
	v_subrev_nc_u32_e32 v15, s27, v15
	v_subrev_nc_u32_e32 v14, s27, v14
	v_cmp_eq_u32_e32 vcc_lo, 0, v8
	s_wait_xcnt 0x7
	v_subrev_nc_u32_e32 v17, s27, v17
	v_add_nc_u32_e32 v3, 0x100, v3
	v_subrev_nc_u32_e32 v16, s27, v16
	v_subrev_nc_u32_e32 v18, s27, v18
	s_wait_xcnt 0x6
	v_subrev_nc_u32_e32 v19, s27, v19
	s_wait_xcnt 0x3
	;; [unrolled: 2-line block ×3, first 2 shown]
	v_subrev_nc_u32_e32 v21, s27, v21
	v_subrev_nc_u32_e32 v22, s27, v22
	s_wait_xcnt 0x1
	v_subrev_nc_u32_e32 v23, s27, v23
	v_subrev_nc_u32_e32 v24, s27, v24
	s_wait_xcnt 0x0
	v_subrev_nc_u32_e32 v25, s27, v25
	v_add_nc_u32_e32 v2, 0x100, v2
	v_dual_lshlrev_b32 v13, 2, v13 :: v_dual_lshlrev_b32 v10, 2, v10
	v_dual_lshlrev_b32 v15, 2, v15 :: v_dual_lshlrev_b32 v14, 2, v14
	v_lshlrev_b32_e32 v17, 2, v17
	s_or_b32 s20, vcc_lo, s20
	v_dual_lshlrev_b32 v16, 2, v16 :: v_dual_lshlrev_b32 v19, 2, v19
	v_dual_lshlrev_b32 v18, 2, v18 :: v_dual_lshlrev_b32 v21, 2, v21
	;; [unrolled: 1-line block ×4, first 2 shown]
	v_lshlrev_b32_e32 v24, 2, v24
	s_wait_loadcnt 0xf
	v_subrev_nc_u32_e32 v1, s9, v1
	s_wait_loadcnt 0xe
	v_subrev_nc_u32_e32 v9, s9, v9
	ds_store_b32 v40, v1 offset:256
	ds_store_b32 v41, v9 offset:256
	s_wait_loadcnt 0xa
	v_subrev_nc_u32_e32 v1, s9, v29
	s_wait_loadcnt 0x9
	v_subrev_nc_u32_e32 v9, s9, v30
	;; [unrolled: 2-line block ×3, first 2 shown]
	v_subrev_nc_u32_e32 v28, s9, v28
	s_wait_loadcnt 0x7
	v_subrev_nc_u32_e32 v30, s9, v32
	v_subrev_nc_u32_e32 v27, s9, v27
	;; [unrolled: 1-line block ×3, first 2 shown]
	s_wait_loadcnt 0x6
	v_subrev_nc_u32_e32 v31, s9, v33
	s_wait_loadcnt 0x3
	v_subrev_nc_u32_e32 v32, s9, v36
	;; [unrolled: 2-line block ×3, first 2 shown]
	v_subrev_nc_u32_e32 v35, s9, v35
	s_wait_loadcnt 0x1
	v_subrev_nc_u32_e32 v36, s9, v38
	v_subrev_nc_u32_e32 v34, s9, v34
	s_wait_loadcnt 0x0
	v_subrev_nc_u32_e32 v37, s9, v39
	ds_store_b32 v13, v9 offset:256
	ds_store_b32 v10, v1 offset:256
	;; [unrolled: 1-line block ×14, first 2 shown]
	s_and_not1_b32 exec_lo, exec_lo, s20
	s_cbranch_execnz .LBB5_5
; %bb.6:
	s_or_b32 exec_lo, exec_lo, s20
.LBB5_7:
	s_delay_alu instid0(SALU_CYCLE_1) | instskip(SKIP_3) | instid1(VALU_DEP_1)
	s_or_b32 exec_lo, exec_lo, s19
	v_and_b32_e32 v1, 7, v7
	s_mov_b32 s20, 0
	s_mov_b32 s19, exec_lo
	v_cmpx_ne_u32_e32 0, v1
	s_cbranch_execz .LBB5_9
.LBB5_8:                                ; =>This Inner Loop Header: Depth=1
	s_clause 0x1
	global_load_b32 v7, v2, s[14:15] scale_offset
	global_load_b32 v8, v3, s[14:15] scale_offset
	v_add_nc_u32_e32 v1, -1, v1
	v_subrev_nc_u32_e32 v9, s27, v2
	v_subrev_nc_u32_e32 v10, s27, v3
	s_wait_xcnt 0x0
	v_dual_add_nc_u32 v3, 32, v3 :: v_dual_add_nc_u32 v2, 32, v2
	v_cmp_eq_u32_e32 vcc_lo, 0, v1
	s_delay_alu instid0(VALU_DEP_3)
	v_dual_lshlrev_b32 v9, 2, v9 :: v_dual_lshlrev_b32 v10, 2, v10
	s_or_b32 s20, vcc_lo, s20
	s_wait_loadcnt 0x1
	v_subrev_nc_u32_e32 v7, s9, v7
	s_wait_loadcnt 0x0
	v_subrev_nc_u32_e32 v8, s9, v8
	ds_store_b32 v9, v7 offset:256
	ds_store_b32 v10, v8 offset:256
	s_and_not1_b32 exec_lo, exec_lo, s20
	s_cbranch_execnz .LBB5_8
.LBB5_9:
	s_or_b32 exec_lo, exec_lo, s19
	v_add_nc_u32_e32 v1, 1, v6
	s_delay_alu instid0(VALU_DEP_1) | instskip(NEXT) | instid1(VALU_DEP_1)
	v_and_b32_e32 v2, 0x1ffffffe, v1
	v_cmp_ne_u32_e32 vcc_lo, v1, v2
	v_lshl_add_u32 v0, v2, 4, v0
	s_or_not1_b32 s19, vcc_lo, exec_lo
.LBB5_10:
	s_or_b32 exec_lo, exec_lo, s18
	s_delay_alu instid0(SALU_CYCLE_1)
	s_and_b32 exec_lo, exec_lo, s19
	s_cbranch_execz .LBB5_13
; %bb.11:
	v_add_nc_u32_e32 v1, s9, v0
	s_delay_alu instid0(VALU_DEP_1) | instskip(SKIP_2) | instid1(VALU_DEP_2)
	v_subrev_nc_u32_e32 v2, s17, v1
	v_ashrrev_i32_e32 v1, 31, v0
	s_mov_b32 s17, 0
	v_lshl_add_u32 v6, v2, 2, 0x100
	s_delay_alu instid0(VALU_DEP_2)
	v_lshl_add_u64 v[2:3], v[0:1], 2, s[14:15]
.LBB5_12:                               ; =>This Inner Loop Header: Depth=1
	global_load_b32 v1, v[2:3], off
	v_add_nc_u32_e32 v0, 16, v0
	s_wait_xcnt 0x0
	v_add_nc_u64_e32 v[2:3], 64, v[2:3]
	s_wait_loadcnt 0x0
	v_subrev_nc_u32_e32 v1, s9, v1
	ds_store_b32 v6, v1
	v_add_nc_u32_e32 v6, 64, v6
	v_cmp_lt_i32_e32 vcc_lo, s26, v0
	s_or_b32 s17, vcc_lo, s17
	s_delay_alu instid0(SALU_CYCLE_1)
	s_and_not1_b32 exec_lo, exec_lo, s17
	s_cbranch_execnz .LBB5_12
.LBB5_13:
	s_or_b32 exec_lo, exec_lo, s16
	s_load_b64 s[16:17], s[0:1], 0x20
	v_mad_u32_u24 v7, v5, 20, 0x270
	v_mov_b32_e32 v0, 0
	s_cmp_lt_i32 s27, s26
	s_delay_alu instid0(VALU_DEP_2)
	v_lshl_add_u32 v6, v4, 2, v7
	ds_store_b32 v6, v0
	s_wait_dscnt 0x0
	s_cbranch_scc1 .LBB5_17
; %bb.14:
	v_lshl_add_u32 v13, v4, 2, v5
	v_or_b32_e32 v8, v4, v5
	s_mov_b32 s18, 0
	s_branch .LBB5_18
.LBB5_15:
	s_cbranch_execnz .LBB5_107
.LBB5_16:
	s_endpgm
.LBB5_17:
	s_mov_b32 s18, -1
                                        ; implicit-def: $vgpr13
                                        ; implicit-def: $vgpr8
.LBB5_18:
	s_wait_xcnt 0x0
	s_load_b32 s1, s[0:1], 0x0
	v_mad_u32_u24 v10, v5, 20, 0x220
	v_mad_u32_u24 v9, v4, 20, 0x220
	s_and_not1_b32 vcc_lo, exec_lo, s18
	s_cbranch_vccnz .LBB5_72
; %bb.19:
	v_dual_lshlrev_b32 v14, 2, v4 :: v_dual_add_nc_u32 v17, 4, v4
	s_wait_kmcnt 0x0
	s_cmp_lg_u32 s1, 0
	v_mul_u32_u24_e32 v0, 20, v5
	v_mad_u32_u24 v20, v5, 20, 0x1d0
	v_dual_add_nc_u32 v13, v14, v5 :: v_dual_add_nc_u32 v18, 4, v5
	v_dual_add_nc_u32 v21, 8, v5 :: v_dual_bitop2_b32 v8, v4, v5 bitop3:0x54
	s_cselect_b32 s28, -1, 0
	s_cmp_eq_u32 s1, 0
	v_dual_add_nc_u32 v15, v10, v14 :: v_dual_add_nc_u32 v19, 8, v4
	s_cselect_b32 vcc_lo, -1, 0
	v_add3_u32 v16, v0, v14, 0x180
	v_dual_add_nc_u32 v22, 12, v4 :: v_dual_add_nc_u32 v23, 12, v5
	v_dual_cndmask_b32 v25, v13, v11 :: v_dual_add_nc_u32 v24, v20, v14
	v_cmp_ne_u32_e64 s0, 0, v8
	v_mov_b32_e32 v26, 0
	s_mov_b32 s18, s27
	s_branch .LBB5_23
.LBB5_20:                               ;   in Loop: Header=BB5_23 Depth=1
	s_wait_xcnt 0x0
	s_or_b32 exec_lo, exec_lo, s21
	v_mov_b32_e32 v3, 1.0
.LBB5_21:                               ;   in Loop: Header=BB5_23 Depth=1
	s_or_b32 exec_lo, exec_lo, s20
	ds_load_2addr_b32 v[28:29], v10 offset1:1
	ds_load_2addr_b32 v[30:31], v26 offset0:111 offset1:112
	ds_load_b32 v27, v20 offset:12
	ds_load_b32 v32, v26 offset:452
	;; [unrolled: 1-line block ×3, first 2 shown]
	s_add_co_i32 s18, s18, 1
	s_delay_alu instid0(SALU_CYCLE_1) | instskip(SKIP_3) | instid1(VALU_DEP_1)
	s_cmp_ge_i32 s18, s26
	s_cselect_b32 s24, -1, 0
	s_wait_dscnt 0x2
	v_fmac_f32_e32 v27, v30, v28
	v_fmac_f32_e32 v27, v31, v29
	s_wait_dscnt 0x0
	s_delay_alu instid0(VALU_DEP_1) | instskip(NEXT) | instid1(VALU_DEP_1)
	v_fmac_f32_e32 v27, v32, v33
	v_sub_f32_e32 v2, v2, v27
	s_delay_alu instid0(VALU_DEP_1) | instskip(SKIP_1) | instid1(VALU_DEP_2)
	v_div_scale_f32 v27, null, v3, v3, v2
	v_div_scale_f32 v30, vcc_lo, v2, v3, v2
	v_rcp_f32_e32 v28, v27
	v_nop
	s_delay_alu instid0(TRANS32_DEP_1) | instskip(NEXT) | instid1(VALU_DEP_1)
	v_fma_f32 v29, -v27, v28, 1.0
	v_fmac_f32_e32 v28, v29, v28
	s_delay_alu instid0(VALU_DEP_1) | instskip(NEXT) | instid1(VALU_DEP_1)
	v_mul_f32_e32 v29, v30, v28
	v_fma_f32 v31, -v27, v29, v30
	s_delay_alu instid0(VALU_DEP_1) | instskip(NEXT) | instid1(VALU_DEP_1)
	v_fmac_f32_e32 v29, v31, v28
	v_fma_f32 v27, -v27, v29, v30
	s_delay_alu instid0(VALU_DEP_1) | instskip(NEXT) | instid1(VALU_DEP_1)
	v_div_fmas_f32 v27, v27, v28, v29
	v_div_fixup_f32 v2, v27, v3, v2
	ds_store_b32 v10, v2 offset:12
	s_wait_storecnt_dscnt 0x0
	ds_load_b32 v3, v9 offset:12
	ds_load_b32 v27, v6
	s_wait_dscnt 0x0
	v_fmac_f32_e32 v27, v2, v3
	ds_store_b32 v6, v27
	s_wait_dscnt 0x0
	ds_load_b32 v2, v15
	s_wait_dscnt 0x0
	global_store_b32 v[0:1], v2, off
	global_wb scope:SCOPE_DEV
	s_wait_storecnt 0x0
	global_inv scope:SCOPE_DEV
.LBB5_22:                               ;   in Loop: Header=BB5_23 Depth=1
	s_and_b32 vcc_lo, exec_lo, s24
	s_cbranch_vccnz .LBB5_72
.LBB5_23:                               ; =>This Loop Header: Depth=1
                                        ;     Child Loop BB5_26 Depth 2
                                        ;     Child Loop BB5_37 Depth 2
	;; [unrolled: 1-line block ×3, first 2 shown]
	s_ashr_i32 s19, s18, 31
	s_delay_alu instid0(SALU_CYCLE_1) | instskip(NEXT) | instid1(SALU_CYCLE_1)
	s_lshl_b64 s[20:21], s[18:19], 2
	s_add_nc_u64 s[20:21], s[14:15], s[20:21]
	s_load_b32 s19, s[20:21], 0x0
	s_wait_kmcnt 0x0
	s_sub_co_i32 s22, s19, s9
	s_delay_alu instid0(SALU_CYCLE_1) | instskip(SKIP_2) | instid1(SALU_CYCLE_1)
	s_ashr_i32 s23, s22, 31
	s_wait_xcnt 0x0
	s_lshl_b64 s[20:21], s[22:23], 2
	s_add_nc_u64 s[24:25], s[4:5], s[20:21]
	s_load_b32 s23, s[24:25], 0x0
	s_wait_xcnt 0x0
	s_mov_b32 s24, -1
	s_wait_kmcnt 0x0
	s_cmp_eq_u32 s23, -1
	s_cbranch_scc1 .LBB5_22
; %bb.24:                               ;   in Loop: Header=BB5_23 Depth=1
	v_lshl_add_u32 v0, s18, 4, v25
	s_add_nc_u64 s[24:25], s[12:13], s[20:21]
	ds_load_b32 v2, v26 offset:256
	s_load_b32 s24, s[24:25], 0x0
	global_load_b32 v1, v0, s[16:17] scale_offset
	s_wait_dscnt 0x0
	v_cmp_ge_i32_e32 vcc_lo, s22, v2
	s_wait_kmcnt 0x0
	s_sub_co_i32 s24, s24, s9
	s_delay_alu instid0(SALU_CYCLE_1) | instskip(SKIP_1) | instid1(SALU_CYCLE_1)
	s_cmp_le_i32 s24, s23
	s_cselect_b32 s25, -1, 0
	s_and_b32 s25, s25, vcc_lo
	s_delay_alu instid0(SALU_CYCLE_1)
	s_and_not1_b32 vcc_lo, exec_lo, s25
	s_mov_b32 s25, 0
	s_wait_loadcnt 0x0
	ds_store_b32 v15, v1
	s_cbranch_vccnz .LBB5_36
; %bb.25:                               ;   in Loop: Header=BB5_23 Depth=1
	s_mov_b32 s29, 0
	s_mov_b32 s30, 0
.LBB5_26:                               ;   Parent Loop BB5_23 Depth=1
                                        ; =>  This Inner Loop Header: Depth=2
	s_ashr_i32 s25, s24, 31
	s_lshl_b32 s31, s30, 2
	s_lshl_b64 s[34:35], s[24:25], 2
	v_mov_b32_e32 v1, s31
	s_add_nc_u64 s[34:35], s[14:15], s[34:35]
                                        ; implicit-def: $sgpr33
	s_load_b32 s25, s[34:35], 0x0
	s_wait_xcnt 0x0
	s_mov_b32 s35, -1
	ds_load_b32 v1, v1 offset:256
                                        ; implicit-def: $sgpr34
	s_wait_kmcnt 0x0
	s_sub_co_i32 s36, s25, s9
                                        ; implicit-def: $sgpr25
	s_wait_dscnt 0x0
	v_readfirstlane_b32 s31, v1
	v_cmp_ge_i32_e32 vcc_lo, s36, v1
	s_cbranch_vccz .LBB5_32
; %bb.27:                               ;   in Loop: Header=BB5_26 Depth=2
	s_cmp_le_i32 s36, s31
                                        ; implicit-def: $sgpr25
                                        ; implicit-def: $sgpr34
                                        ; implicit-def: $sgpr33
	s_cbranch_scc0 .LBB5_29
; %bb.28:                               ;   in Loop: Header=BB5_26 Depth=2
	s_add_co_i32 s25, s30, s27
	s_lshl_b32 s33, s29, 2
	s_lshl_b32 s25, s25, 4
	s_delay_alu instid0(SALU_CYCLE_1)
	v_dual_mov_b32 v1, s33 :: v_dual_mov_b32 v2, s25
	s_lshl_b32 s33, s24, 4
	s_add_co_i32 s34, s24, 1
	v_mov_b32_e32 v3, s33
	s_add_co_i32 s33, s30, 1
	s_add_co_i32 s25, s29, 1
	s_mov_b32 s35, 0
	ds_store_2addr_b32 v1, v3, v2 offset1:32
.LBB5_29:                               ;   in Loop: Header=BB5_26 Depth=2
	s_and_not1_b32 vcc_lo, exec_lo, s35
	s_cbranch_vccnz .LBB5_31
; %bb.30:                               ;   in Loop: Header=BB5_26 Depth=2
	s_add_co_i32 s33, s30, 1
	s_mov_b32 s25, s29
	s_mov_b32 s34, s24
.LBB5_31:                               ;   in Loop: Header=BB5_26 Depth=2
	s_mov_b32 s35, 0
.LBB5_32:                               ;   in Loop: Header=BB5_26 Depth=2
	s_delay_alu instid0(SALU_CYCLE_1)
	s_and_not1_b32 vcc_lo, exec_lo, s35
	s_cbranch_vccnz .LBB5_34
; %bb.33:                               ;   in Loop: Header=BB5_26 Depth=2
	s_add_co_i32 s34, s24, 1
	s_mov_b32 s33, s30
	s_mov_b32 s25, s29
.LBB5_34:                               ;   in Loop: Header=BB5_26 Depth=2
	s_cmp_le_i32 s34, s23
	s_cselect_b32 s24, -1, 0
	s_cmp_le_i32 s31, s22
	s_cselect_b32 s29, -1, 0
	s_delay_alu instid0(SALU_CYCLE_1) | instskip(NEXT) | instid1(SALU_CYCLE_1)
	s_and_b32 s24, s24, s29
	s_and_b32 vcc_lo, exec_lo, s24
	s_cbranch_vccz .LBB5_36
; %bb.35:                               ;   in Loop: Header=BB5_26 Depth=2
	s_mov_b32 s29, s25
	s_mov_b32 s24, s34
	;; [unrolled: 1-line block ×3, first 2 shown]
	s_branch .LBB5_26
.LBB5_36:                               ;   in Loop: Header=BB5_23 Depth=1
	v_ashrrev_i32_e32 v1, 31, v0
	s_add_nc_u64 s[20:21], s[6:7], s[20:21]
	s_wait_dscnt 0x0
	s_wait_xcnt 0x0
	s_delay_alu instid0(VALU_DEP_1)
	v_lshl_add_u64 v[0:1], v[0:1], 2, s[16:17]
.LBB5_37:                               ;   Parent Loop BB5_23 Depth=1
                                        ; =>  This Inner Loop Header: Depth=2
	global_load_b32 v2, v26, s[20:21] scope:SCOPE_DEV
	s_wait_loadcnt 0x0
	v_cmp_eq_u32_e32 vcc_lo, 0, v2
	s_cbranch_vccnz .LBB5_37
; %bb.38:                               ;   in Loop: Header=BB5_23 Depth=1
	v_lshl_add_u32 v2, s23, 4, v25
	global_inv scope:SCOPE_DEV
	v_mov_b32_e32 v27, 0
	s_cmp_lt_i32 s25, 2
	global_load_b32 v2, v2, s[16:17] scale_offset
	s_wait_loadcnt 0x0
	ds_store_b32 v16, v2
	s_wait_dscnt 0x0
	s_cbranch_scc1 .LBB5_57
; %bb.39:                               ;   in Loop: Header=BB5_23 Depth=1
	v_mov_b32_e32 v27, 0
	s_add_co_i32 s20, s25, -1
	s_cmp_eq_u32 s25, 2
	s_cbranch_scc1 .LBB5_50
; %bb.40:                               ;   in Loop: Header=BB5_23 Depth=1
	s_and_b32 s21, s20, -2
	s_mov_b32 s22, 0
	s_mov_b32 s23, 0
	s_branch .LBB5_42
.LBB5_41:                               ;   in Loop: Header=BB5_42 Depth=2
	s_add_co_i32 s23, s23, 2
	s_add_co_i32 s22, s22, 8
	s_cmp_eq_u32 s21, s23
	s_cbranch_scc1 .LBB5_51
.LBB5_42:                               ;   Parent Loop BB5_23 Depth=1
                                        ; =>  This Inner Loop Header: Depth=2
	s_wait_dscnt 0x0
	v_mov_b32_e32 v2, s22
	s_and_b32 vcc_lo, exec_lo, s28
	s_mov_b32 s24, -1
                                        ; implicit-def: $vgpr28
	ds_load_2addr_b32 v[2:3], v2 offset1:32
	s_cbranch_vccz .LBB5_44
; %bb.43:                               ;   in Loop: Header=BB5_42 Depth=2
	s_wait_dscnt 0x0
	v_dual_add_nc_u32 v28, v2, v4 :: v_dual_add_nc_u32 v29, v3, v5
	v_dual_add_nc_u32 v30, v17, v2 :: v_dual_add_nc_u32 v31, v18, v3
	s_mov_b32 s24, 0
	s_clause 0x3
	global_load_b32 v32, v28, s[16:17] scale_offset
	global_load_b32 v33, v29, s[16:17] scale_offset
	;; [unrolled: 1-line block ×4, first 2 shown]
	s_wait_xcnt 0x2
	v_dual_add_nc_u32 v28, v19, v2 :: v_dual_add_nc_u32 v29, v21, v3
	s_wait_xcnt 0x0
	v_dual_add_nc_u32 v30, v22, v2 :: v_dual_add_nc_u32 v31, v23, v3
	s_clause 0x3
	global_load_b32 v36, v28, s[16:17] scale_offset
	global_load_b32 v37, v29, s[16:17] scale_offset
	;; [unrolled: 1-line block ×4, first 2 shown]
	s_wait_loadcnt 0x6
	s_wait_xcnt 0x3
	v_fma_f32 v28, v32, v33, v27
	s_wait_loadcnt 0x4
	s_delay_alu instid0(VALU_DEP_1) | instskip(SKIP_1) | instid1(VALU_DEP_1)
	v_fmac_f32_e32 v28, v34, v35
	s_wait_loadcnt 0x2
	v_fmac_f32_e32 v28, v36, v37
	s_wait_loadcnt 0x0
	s_delay_alu instid0(VALU_DEP_1)
	v_fmac_f32_e32 v28, v38, v39
.LBB5_44:                               ;   in Loop: Header=BB5_42 Depth=2
	s_and_not1_b32 vcc_lo, exec_lo, s24
	s_cbranch_vccnz .LBB5_46
; %bb.45:                               ;   in Loop: Header=BB5_42 Depth=2
	s_wait_dscnt 0x0
	v_dual_add_nc_u32 v2, v2, v14 :: v_dual_add_nc_u32 v28, v3, v12
	s_delay_alu instid0(VALU_DEP_1) | instskip(NEXT) | instid1(VALU_DEP_1)
	v_dual_ashrrev_i32 v3, 31, v2 :: v_dual_ashrrev_i32 v29, 31, v28
	v_lshl_add_u64 v[2:3], v[2:3], 2, s[16:17]
	s_delay_alu instid0(VALU_DEP_2)
	v_lshl_add_u64 v[36:37], v[28:29], 2, s[16:17]
	s_clause 0x1
	global_load_b128 v[28:31], v[2:3], off
	global_load_b128 v[32:35], v[36:37], off
	s_wait_loadcnt 0x0
	v_fmac_f32_e32 v27, v28, v32
	s_delay_alu instid0(VALU_DEP_1) | instskip(NEXT) | instid1(VALU_DEP_1)
	v_fmac_f32_e32 v27, v29, v33
	v_fmac_f32_e32 v27, v30, v34
	s_delay_alu instid0(VALU_DEP_1) | instskip(NEXT) | instid1(VALU_DEP_1)
	v_fmac_f32_e32 v27, v31, v35
	v_mov_b32_e32 v28, v27
.LBB5_46:                               ;   in Loop: Header=BB5_42 Depth=2
	s_wait_dscnt 0x0
	v_mov_b32_e32 v2, s22
	s_and_not1_b32 vcc_lo, exec_lo, s28
	s_mov_b32 s24, -1
                                        ; implicit-def: $vgpr27
	ds_load_2addr_b32 v[2:3], v2 offset0:1 offset1:33
	s_cbranch_vccnz .LBB5_48
; %bb.47:                               ;   in Loop: Header=BB5_42 Depth=2
	s_wait_dscnt 0x0
	v_dual_add_nc_u32 v27, v2, v4 :: v_dual_add_nc_u32 v29, v3, v5
	v_dual_add_nc_u32 v30, v17, v2 :: v_dual_add_nc_u32 v31, v18, v3
	s_mov_b32 s24, 0
	s_clause 0x3
	global_load_b32 v32, v27, s[16:17] scale_offset
	global_load_b32 v33, v29, s[16:17] scale_offset
	;; [unrolled: 1-line block ×4, first 2 shown]
	s_wait_xcnt 0x2
	v_dual_add_nc_u32 v27, v19, v2 :: v_dual_add_nc_u32 v29, v21, v3
	s_wait_xcnt 0x0
	v_dual_add_nc_u32 v30, v22, v2 :: v_dual_add_nc_u32 v31, v23, v3
	s_clause 0x3
	global_load_b32 v36, v27, s[16:17] scale_offset
	global_load_b32 v37, v29, s[16:17] scale_offset
	;; [unrolled: 1-line block ×4, first 2 shown]
	s_wait_loadcnt 0x6
	s_wait_xcnt 0x3
	v_fma_f32 v27, v32, v33, v28
	s_wait_loadcnt 0x4
	s_delay_alu instid0(VALU_DEP_1) | instskip(SKIP_1) | instid1(VALU_DEP_1)
	v_fmac_f32_e32 v27, v34, v35
	s_wait_loadcnt 0x2
	v_fmac_f32_e32 v27, v36, v37
	s_wait_loadcnt 0x0
	s_delay_alu instid0(VALU_DEP_1)
	v_fmac_f32_e32 v27, v38, v39
.LBB5_48:                               ;   in Loop: Header=BB5_42 Depth=2
	s_and_not1_b32 vcc_lo, exec_lo, s24
	s_cbranch_vccnz .LBB5_41
; %bb.49:                               ;   in Loop: Header=BB5_42 Depth=2
	s_wait_dscnt 0x0
	v_dual_add_nc_u32 v2, v2, v14 :: v_dual_add_nc_u32 v30, v3, v12
	s_delay_alu instid0(VALU_DEP_1) | instskip(NEXT) | instid1(VALU_DEP_2)
	v_ashrrev_i32_e32 v3, 31, v2
	v_ashrrev_i32_e32 v31, 31, v30
	s_delay_alu instid0(VALU_DEP_2) | instskip(NEXT) | instid1(VALU_DEP_2)
	v_lshl_add_u64 v[2:3], v[2:3], 2, s[16:17]
	v_lshl_add_u64 v[38:39], v[30:31], 2, s[16:17]
	s_clause 0x1
	global_load_b128 v[30:33], v[2:3], off
	global_load_b128 v[34:37], v[38:39], off
	s_wait_loadcnt 0x0
	v_fmac_f32_e32 v28, v30, v34
	s_delay_alu instid0(VALU_DEP_1) | instskip(NEXT) | instid1(VALU_DEP_1)
	v_fmac_f32_e32 v28, v31, v35
	v_fmac_f32_e32 v28, v32, v36
	s_delay_alu instid0(VALU_DEP_1) | instskip(NEXT) | instid1(VALU_DEP_1)
	v_fmac_f32_e32 v28, v33, v37
	v_mov_b32_e32 v27, v28
	s_branch .LBB5_41
.LBB5_50:                               ;   in Loop: Header=BB5_23 Depth=1
	s_mov_b32 s21, 0
.LBB5_51:                               ;   in Loop: Header=BB5_23 Depth=1
	s_bitcmp0_b32 s20, 0
	s_cbranch_scc1 .LBB5_57
; %bb.52:                               ;   in Loop: Header=BB5_23 Depth=1
	s_lshl_b32 s20, s21, 2
	s_and_not1_b32 vcc_lo, exec_lo, s28
	s_wait_dscnt 0x0
	v_mov_b32_e32 v2, s20
	s_mov_b32 s20, -1
                                        ; implicit-def: $vgpr28
	ds_load_2addr_b32 v[2:3], v2 offset1:32
	s_cbranch_vccnz .LBB5_54
; %bb.53:                               ;   in Loop: Header=BB5_23 Depth=1
	s_wait_dscnt 0x0
	v_dual_add_nc_u32 v28, v2, v4 :: v_dual_add_nc_u32 v29, v3, v5
	v_dual_add_nc_u32 v30, v17, v2 :: v_dual_add_nc_u32 v31, v18, v3
	s_mov_b32 s20, 0
	s_clause 0x3
	global_load_b32 v32, v28, s[16:17] scale_offset
	global_load_b32 v33, v29, s[16:17] scale_offset
	;; [unrolled: 1-line block ×4, first 2 shown]
	s_wait_xcnt 0x2
	v_dual_add_nc_u32 v28, v19, v2 :: v_dual_add_nc_u32 v29, v21, v3
	s_wait_xcnt 0x0
	v_dual_add_nc_u32 v30, v22, v2 :: v_dual_add_nc_u32 v31, v23, v3
	s_clause 0x3
	global_load_b32 v36, v28, s[16:17] scale_offset
	global_load_b32 v37, v29, s[16:17] scale_offset
	;; [unrolled: 1-line block ×4, first 2 shown]
	s_wait_loadcnt 0x6
	s_wait_xcnt 0x3
	v_fma_f32 v28, v32, v33, v27
	s_wait_loadcnt 0x4
	s_delay_alu instid0(VALU_DEP_1) | instskip(SKIP_1) | instid1(VALU_DEP_1)
	v_fmac_f32_e32 v28, v34, v35
	s_wait_loadcnt 0x2
	v_fmac_f32_e32 v28, v36, v37
	s_wait_loadcnt 0x0
	s_delay_alu instid0(VALU_DEP_1)
	v_fmac_f32_e32 v28, v38, v39
.LBB5_54:                               ;   in Loop: Header=BB5_23 Depth=1
	s_and_not1_b32 vcc_lo, exec_lo, s20
	s_cbranch_vccnz .LBB5_56
; %bb.55:                               ;   in Loop: Header=BB5_23 Depth=1
	s_wait_dscnt 0x0
	v_dual_add_nc_u32 v2, v2, v14 :: v_dual_add_nc_u32 v28, v3, v12
	s_delay_alu instid0(VALU_DEP_1) | instskip(NEXT) | instid1(VALU_DEP_1)
	v_dual_ashrrev_i32 v3, 31, v2 :: v_dual_ashrrev_i32 v29, 31, v28
	v_lshl_add_u64 v[2:3], v[2:3], 2, s[16:17]
	s_delay_alu instid0(VALU_DEP_2)
	v_lshl_add_u64 v[36:37], v[28:29], 2, s[16:17]
	s_clause 0x1
	global_load_b128 v[28:31], v[2:3], off
	global_load_b128 v[32:35], v[36:37], off
	s_wait_loadcnt 0x0
	v_fmac_f32_e32 v27, v28, v32
	s_delay_alu instid0(VALU_DEP_1) | instskip(NEXT) | instid1(VALU_DEP_1)
	v_fmac_f32_e32 v27, v29, v33
	v_fmac_f32_e32 v27, v30, v34
	s_delay_alu instid0(VALU_DEP_1) | instskip(NEXT) | instid1(VALU_DEP_1)
	v_fmac_f32_e32 v27, v31, v35
	v_mov_b32_e32 v28, v27
.LBB5_56:                               ;   in Loop: Header=BB5_23 Depth=1
	s_delay_alu instid0(VALU_DEP_1)
	v_mov_b32_e32 v27, v28
.LBB5_57:                               ;   in Loop: Header=BB5_23 Depth=1
	ds_store_b32 v24, v27
	s_wait_dscnt 0x0
	ds_load_b32 v3, v26 offset:384
	ds_load_b32 v2, v10
	s_wait_dscnt 0x1
	v_readfirstlane_b32 s20, v3
	s_cmp_neq_f32 s20, 0
	s_cselect_b32 vcc_lo, -1, 0
	v_cndmask_b32_e32 v3, 1.0, v3, vcc_lo
	s_nor_b32 s21, vcc_lo, s0
	s_delay_alu instid0(SALU_CYCLE_1)
	s_and_saveexec_b32 s20, s21
	s_cbranch_execz .LBB5_61
; %bb.58:                               ;   in Loop: Header=BB5_23 Depth=1
	v_mbcnt_lo_u32_b32 v3, exec_lo, 0
	s_mov_b32 s21, exec_lo
	s_delay_alu instid0(VALU_DEP_1)
	v_cmpx_eq_u32_e32 0, v3
	s_cbranch_execz .LBB5_60
; %bb.59:                               ;   in Loop: Header=BB5_23 Depth=1
	v_mov_b32_e32 v3, s19
	global_atomic_min_i32 v26, v3, s[10:11] scope:SCOPE_DEV
.LBB5_60:                               ;   in Loop: Header=BB5_23 Depth=1
	s_wait_xcnt 0x0
	s_or_b32 exec_lo, exec_lo, s21
	v_mov_b32_e32 v3, 1.0
.LBB5_61:                               ;   in Loop: Header=BB5_23 Depth=1
	s_or_b32 exec_lo, exec_lo, s20
	ds_load_b32 v27, v20
	s_wait_dscnt 0x0
	v_sub_f32_e32 v2, v2, v27
	s_delay_alu instid0(VALU_DEP_1) | instskip(NEXT) | instid1(VALU_DEP_1)
	v_div_scale_f32 v27, null, v3, v3, v2
	v_rcp_f32_e32 v28, v27
	v_nop
	s_delay_alu instid0(TRANS32_DEP_1) | instskip(NEXT) | instid1(VALU_DEP_1)
	v_fma_f32 v29, -v27, v28, 1.0
	v_fmac_f32_e32 v28, v29, v28
	v_div_scale_f32 v30, vcc_lo, v2, v3, v2
	s_delay_alu instid0(VALU_DEP_1) | instskip(NEXT) | instid1(VALU_DEP_1)
	v_mul_f32_e32 v29, v30, v28
	v_fma_f32 v31, -v27, v29, v30
	s_delay_alu instid0(VALU_DEP_1) | instskip(NEXT) | instid1(VALU_DEP_1)
	v_fmac_f32_e32 v29, v31, v28
	v_fma_f32 v27, -v27, v29, v30
	s_delay_alu instid0(VALU_DEP_1) | instskip(NEXT) | instid1(VALU_DEP_1)
	v_div_fmas_f32 v27, v27, v28, v29
	v_div_fixup_f32 v2, v27, v3, v2
	ds_store_b32 v10, v2
	s_wait_storecnt_dscnt 0x0
	ds_load_b32 v3, v9
	ds_load_b32 v27, v6
	s_wait_dscnt 0x0
	v_fmac_f32_e32 v27, v2, v3
	ds_store_b32 v6, v27
	s_wait_dscnt 0x0
	ds_load_b32 v3, v26 offset:408
	ds_load_b32 v2, v10 offset:4
	s_wait_dscnt 0x1
	v_readfirstlane_b32 s20, v3
	s_cmp_neq_f32 s20, 0
	s_cselect_b32 vcc_lo, -1, 0
	v_cndmask_b32_e32 v3, 1.0, v3, vcc_lo
	s_nor_b32 s21, vcc_lo, s0
	s_delay_alu instid0(SALU_CYCLE_1)
	s_and_saveexec_b32 s20, s21
	s_cbranch_execz .LBB5_65
; %bb.62:                               ;   in Loop: Header=BB5_23 Depth=1
	v_mbcnt_lo_u32_b32 v3, exec_lo, 0
	s_mov_b32 s21, exec_lo
	s_delay_alu instid0(VALU_DEP_1)
	v_cmpx_eq_u32_e32 0, v3
	s_cbranch_execz .LBB5_64
; %bb.63:                               ;   in Loop: Header=BB5_23 Depth=1
	v_mov_b32_e32 v3, s19
	global_atomic_min_i32 v26, v3, s[10:11] scope:SCOPE_DEV
.LBB5_64:                               ;   in Loop: Header=BB5_23 Depth=1
	s_wait_xcnt 0x0
	s_or_b32 exec_lo, exec_lo, s21
	v_mov_b32_e32 v3, 1.0
.LBB5_65:                               ;   in Loop: Header=BB5_23 Depth=1
	s_or_b32 exec_lo, exec_lo, s20
	ds_load_b32 v27, v26 offset:404
	ds_load_b32 v28, v10
	ds_load_b32 v29, v20 offset:4
	s_wait_dscnt 0x0
	v_fmac_f32_e32 v29, v27, v28
	s_delay_alu instid0(VALU_DEP_1) | instskip(NEXT) | instid1(VALU_DEP_1)
	v_sub_f32_e32 v2, v2, v29
	v_div_scale_f32 v27, null, v3, v3, v2
	s_delay_alu instid0(VALU_DEP_1) | instskip(SKIP_1) | instid1(TRANS32_DEP_1)
	v_rcp_f32_e32 v28, v27
	v_nop
	v_fma_f32 v29, -v27, v28, 1.0
	s_delay_alu instid0(VALU_DEP_1) | instskip(SKIP_1) | instid1(VALU_DEP_1)
	v_fmac_f32_e32 v28, v29, v28
	v_div_scale_f32 v30, vcc_lo, v2, v3, v2
	v_mul_f32_e32 v29, v30, v28
	s_delay_alu instid0(VALU_DEP_1) | instskip(NEXT) | instid1(VALU_DEP_1)
	v_fma_f32 v31, -v27, v29, v30
	v_fmac_f32_e32 v29, v31, v28
	s_delay_alu instid0(VALU_DEP_1) | instskip(NEXT) | instid1(VALU_DEP_1)
	v_fma_f32 v27, -v27, v29, v30
	v_div_fmas_f32 v27, v27, v28, v29
	s_delay_alu instid0(VALU_DEP_1)
	v_div_fixup_f32 v2, v27, v3, v2
	ds_store_b32 v10, v2 offset:4
	s_wait_storecnt_dscnt 0x0
	ds_load_b32 v3, v9 offset:4
	ds_load_b32 v27, v6
	s_wait_dscnt 0x0
	v_fmac_f32_e32 v27, v2, v3
	ds_store_b32 v6, v27
	s_wait_dscnt 0x0
	ds_load_b32 v3, v26 offset:432
	ds_load_b32 v2, v10 offset:8
	s_wait_dscnt 0x1
	v_readfirstlane_b32 s20, v3
	s_cmp_neq_f32 s20, 0
	s_cselect_b32 vcc_lo, -1, 0
	v_cndmask_b32_e32 v3, 1.0, v3, vcc_lo
	s_nor_b32 s21, vcc_lo, s0
	s_delay_alu instid0(SALU_CYCLE_1)
	s_and_saveexec_b32 s20, s21
	s_cbranch_execz .LBB5_69
; %bb.66:                               ;   in Loop: Header=BB5_23 Depth=1
	v_mbcnt_lo_u32_b32 v3, exec_lo, 0
	s_mov_b32 s21, exec_lo
	s_delay_alu instid0(VALU_DEP_1)
	v_cmpx_eq_u32_e32 0, v3
	s_cbranch_execz .LBB5_68
; %bb.67:                               ;   in Loop: Header=BB5_23 Depth=1
	v_mov_b32_e32 v3, s19
	global_atomic_min_i32 v26, v3, s[10:11] scope:SCOPE_DEV
.LBB5_68:                               ;   in Loop: Header=BB5_23 Depth=1
	s_wait_xcnt 0x0
	s_or_b32 exec_lo, exec_lo, s21
	v_mov_b32_e32 v3, 1.0
.LBB5_69:                               ;   in Loop: Header=BB5_23 Depth=1
	s_or_b32 exec_lo, exec_lo, s20
	ds_load_b64 v[28:29], v26 offset:424
	ds_load_2addr_b32 v[30:31], v10 offset1:1
	ds_load_b32 v27, v20 offset:8
	s_wait_dscnt 0x0
	v_fmac_f32_e32 v27, v28, v30
	s_delay_alu instid0(VALU_DEP_1) | instskip(NEXT) | instid1(VALU_DEP_1)
	v_fmac_f32_e32 v27, v29, v31
	v_sub_f32_e32 v2, v2, v27
	s_delay_alu instid0(VALU_DEP_1) | instskip(SKIP_1) | instid1(VALU_DEP_2)
	v_div_scale_f32 v27, null, v3, v3, v2
	v_div_scale_f32 v30, vcc_lo, v2, v3, v2
	v_rcp_f32_e32 v28, v27
	v_nop
	s_delay_alu instid0(TRANS32_DEP_1) | instskip(NEXT) | instid1(VALU_DEP_1)
	v_fma_f32 v29, -v27, v28, 1.0
	v_fmac_f32_e32 v28, v29, v28
	s_delay_alu instid0(VALU_DEP_1) | instskip(NEXT) | instid1(VALU_DEP_1)
	v_mul_f32_e32 v29, v30, v28
	v_fma_f32 v31, -v27, v29, v30
	s_delay_alu instid0(VALU_DEP_1) | instskip(NEXT) | instid1(VALU_DEP_1)
	v_fmac_f32_e32 v29, v31, v28
	v_fma_f32 v27, -v27, v29, v30
	s_delay_alu instid0(VALU_DEP_1) | instskip(NEXT) | instid1(VALU_DEP_1)
	v_div_fmas_f32 v27, v27, v28, v29
	v_div_fixup_f32 v2, v27, v3, v2
	ds_store_b32 v10, v2 offset:8
	s_wait_storecnt_dscnt 0x0
	ds_load_b32 v3, v9 offset:8
	ds_load_b32 v27, v6
	s_wait_dscnt 0x0
	v_fmac_f32_e32 v27, v2, v3
	ds_store_b32 v6, v27
	s_wait_dscnt 0x0
	ds_load_b32 v3, v26 offset:456
	ds_load_b32 v2, v10 offset:12
	s_wait_dscnt 0x1
	v_readfirstlane_b32 s20, v3
	s_cmp_neq_f32 s20, 0
	s_cselect_b32 vcc_lo, -1, 0
	v_cndmask_b32_e32 v3, 1.0, v3, vcc_lo
	s_nor_b32 s21, vcc_lo, s0
	s_delay_alu instid0(SALU_CYCLE_1)
	s_and_saveexec_b32 s20, s21
	s_cbranch_execz .LBB5_21
; %bb.70:                               ;   in Loop: Header=BB5_23 Depth=1
	v_mbcnt_lo_u32_b32 v3, exec_lo, 0
	s_mov_b32 s21, exec_lo
	s_delay_alu instid0(VALU_DEP_1)
	v_cmpx_eq_u32_e32 0, v3
	s_cbranch_execz .LBB5_20
; %bb.71:                               ;   in Loop: Header=BB5_23 Depth=1
	v_mov_b32_e32 v3, s19
	global_atomic_min_i32 v26, v3, s[10:11] scope:SCOPE_DEV
	s_branch .LBB5_20
.LBB5_72:
	s_wait_kmcnt 0x0
	s_cmp_eq_u32 s1, 0
	v_lshl_add_u32 v2, v4, 2, v10
	s_cselect_b32 vcc_lo, -1, 0
	s_mov_b32 s1, exec_lo
	v_cndmask_b32_e32 v0, v13, v11, vcc_lo
	v_cmp_ne_u32_e32 vcc_lo, 0, v5
	s_delay_alu instid0(VALU_DEP_2)
	v_lshl_add_u32 v0, s26, 4, v0
	global_load_b32 v1, v0, s[16:17] scale_offset
	s_wait_loadcnt 0x0
	ds_store_b32 v2, v1
	s_wait_dscnt 0x0
	v_cmpx_eq_u32_e32 0, v5
	s_cbranch_execz .LBB5_74
; %bb.73:
	v_mov_b32_e32 v1, 0
	ds_load_2addr_b32 v[12:13], v1 offset0:136 offset1:156
	s_wait_dscnt 0x0
	v_readfirstlane_b32 s0, v12
	v_readfirstlane_b32 s4, v13
	s_sub_f32 s0, s0, s4
	s_delay_alu instid0(SALU_CYCLE_3) | instskip(SKIP_2) | instid1(SALU_CYCLE_1)
	s_xor_b32 s4, s0, 0x80000000
	s_cmp_lt_f32 s0, 0
	s_cselect_b32 s0, s4, s0
	s_mul_f32 s4, s0, 0x4f800000
	s_cmp_lt_f32 s0, 0xf800000
	s_delay_alu instid0(SALU_CYCLE_2) | instskip(NEXT) | instid1(SALU_CYCLE_1)
	s_cselect_b32 s4, s4, s0
	v_s_sqrt_f32 s5, s4
	s_mov_b32 s13, s4
	s_delay_alu instid0(TRANS32_DEP_1) | instskip(NEXT) | instid1(SALU_CYCLE_1)
	s_add_co_i32 s12, s5, -1
	s_xor_b32 s14, s12, 0x80000000
	s_delay_alu instid0(SALU_CYCLE_1) | instskip(SKIP_1) | instid1(SALU_CYCLE_2)
	s_fmac_f32 s13, s14, s5
	s_mov_b32 s14, s4
	s_cmp_le_f32 s13, 0
	s_cselect_b32 s12, s12, s5
	s_add_co_i32 s13, s5, 1
	s_delay_alu instid0(SALU_CYCLE_1) | instskip(NEXT) | instid1(SALU_CYCLE_1)
	s_xor_b32 s15, s13, 0x80000000
	s_fmac_f32 s14, s15, s5
	s_delay_alu instid0(SALU_CYCLE_3) | instskip(SKIP_4) | instid1(SALU_CYCLE_2)
	s_cmp_gt_f32 s14, 0
	s_cselect_b32 s5, s13, s12
	s_cmp_lt_f32 s0, 0xf800000
	s_mul_f32 s0, s5, 0x37800000
	v_cmp_class_f32_e64 s12, s4, 0x260
	s_cselect_b32 s0, s0, s5
	s_and_b32 s5, s12, exec_lo
	s_cselect_b32 s0, s4, s0
	s_delay_alu instid0(SALU_CYCLE_1)
	v_mov_b32_e32 v3, s0
	ds_store_b32 v1, v3 offset:544
.LBB5_74:
	s_or_b32 exec_lo, exec_lo, s1
	v_mov_b32_e32 v1, 0
	s_wait_dscnt 0x0
	s_add_co_i32 s4, s8, s9
	ds_load_b32 v1, v1 offset:544
	s_wait_dscnt 0x0
	v_readfirstlane_b32 s0, v1
	s_cmp_neq_f32 s0, 0
	v_cmp_ne_u32_e64 s0, 0, v8
	s_cselect_b32 s1, -1, 0
	s_delay_alu instid0(SALU_CYCLE_1) | instskip(SKIP_1) | instid1(SALU_CYCLE_1)
	v_cndmask_b32_e64 v1, 1.0, v1, s1
	s_nor_b32 s1, s1, s0
	s_and_saveexec_b32 s5, s1
	s_cbranch_execz .LBB5_78
; %bb.75:
	v_mbcnt_lo_u32_b32 v1, exec_lo, 0
	s_mov_b32 s12, exec_lo
	s_delay_alu instid0(VALU_DEP_1)
	v_cmpx_eq_u32_e32 0, v1
	s_cbranch_execz .LBB5_77
; %bb.76:
	v_dual_mov_b32 v1, 0 :: v_dual_mov_b32 v3, s4
	global_atomic_min_i32 v1, v3, s[10:11] scope:SCOPE_DEV
.LBB5_77:
	s_wait_xcnt 0x0
	s_or_b32 exec_lo, exec_lo, s12
	v_mov_b32_e32 v1, 1.0
.LBB5_78:
	s_or_b32 exec_lo, exec_lo, s5
	s_and_saveexec_b32 s1, vcc_lo
	s_cbranch_execz .LBB5_80
; %bb.79:
	ds_load_b32 v3, v10
	ds_load_b32 v11, v7
	s_wait_dscnt 0x0
	v_sub_f32_e32 v3, v3, v11
	s_delay_alu instid0(VALU_DEP_1) | instskip(NEXT) | instid1(VALU_DEP_1)
	v_div_scale_f32 v11, null, v1, v1, v3
	v_rcp_f32_e32 v12, v11
	v_nop
	s_delay_alu instid0(TRANS32_DEP_1) | instskip(NEXT) | instid1(VALU_DEP_1)
	v_fma_f32 v13, -v11, v12, 1.0
	v_fmac_f32_e32 v12, v13, v12
	v_div_scale_f32 v14, vcc_lo, v3, v1, v3
	s_delay_alu instid0(VALU_DEP_1) | instskip(NEXT) | instid1(VALU_DEP_1)
	v_mul_f32_e32 v13, v14, v12
	v_fma_f32 v15, -v11, v13, v14
	s_delay_alu instid0(VALU_DEP_1) | instskip(NEXT) | instid1(VALU_DEP_1)
	v_fmac_f32_e32 v13, v15, v12
	v_fma_f32 v11, -v11, v13, v14
	s_delay_alu instid0(VALU_DEP_1) | instskip(NEXT) | instid1(VALU_DEP_1)
	v_div_fmas_f32 v11, v11, v12, v13
	v_div_fixup_f32 v1, v11, v1, v3
	ds_store_b32 v10, v1
	s_wait_storecnt_dscnt 0x0
	ds_load_b32 v3, v9
	ds_load_b32 v11, v6
	s_wait_dscnt 0x0
	v_fmac_f32_e32 v11, v1, v3
	ds_store_b32 v6, v11
.LBB5_80:
	s_or_b32 exec_lo, exec_lo, s1
	s_delay_alu instid0(SALU_CYCLE_1)
	s_mov_b32 s1, exec_lo
	s_wait_storecnt_dscnt 0x0
	v_cmpx_eq_u32_e32 1, v5
	s_cbranch_execz .LBB5_82
; %bb.81:
	v_mov_b32_e32 v1, 0
	ds_load_2addr_b32 v[12:13], v1 offset0:142 offset1:162
	s_wait_dscnt 0x0
	v_readfirstlane_b32 s5, v12
	v_readfirstlane_b32 s12, v13
	s_sub_f32 s5, s5, s12
	s_delay_alu instid0(SALU_CYCLE_3) | instskip(SKIP_2) | instid1(SALU_CYCLE_1)
	s_xor_b32 s12, s5, 0x80000000
	s_cmp_lt_f32 s5, 0
	s_cselect_b32 s5, s12, s5
	s_mul_f32 s12, s5, 0x4f800000
	s_cmp_lt_f32 s5, 0xf800000
	s_delay_alu instid0(SALU_CYCLE_2) | instskip(NEXT) | instid1(SALU_CYCLE_1)
	s_cselect_b32 s12, s12, s5
	v_s_sqrt_f32 s13, s12
	s_mov_b32 s15, s12
	s_delay_alu instid0(TRANS32_DEP_1) | instskip(NEXT) | instid1(SALU_CYCLE_1)
	s_add_co_i32 s14, s13, -1
	s_xor_b32 s18, s14, 0x80000000
	s_delay_alu instid0(SALU_CYCLE_1) | instskip(SKIP_1) | instid1(SALU_CYCLE_2)
	s_fmac_f32 s15, s18, s13
	s_mov_b32 s18, s12
	s_cmp_le_f32 s15, 0
	s_cselect_b32 s14, s14, s13
	s_add_co_i32 s15, s13, 1
	s_delay_alu instid0(SALU_CYCLE_1) | instskip(NEXT) | instid1(SALU_CYCLE_1)
	s_xor_b32 s19, s15, 0x80000000
	s_fmac_f32 s18, s19, s13
	s_delay_alu instid0(SALU_CYCLE_3) | instskip(SKIP_4) | instid1(SALU_CYCLE_2)
	s_cmp_gt_f32 s18, 0
	s_cselect_b32 s13, s15, s14
	s_cmp_lt_f32 s5, 0xf800000
	s_mul_f32 s5, s13, 0x37800000
	v_cmp_class_f32_e64 s14, s12, 0x260
	s_cselect_b32 s5, s5, s13
	s_and_b32 s13, s14, exec_lo
	s_cselect_b32 s5, s12, s5
	s_delay_alu instid0(SALU_CYCLE_1)
	v_mov_b32_e32 v3, s5
	ds_store_b32 v1, v3 offset:568
.LBB5_82:
	s_or_b32 exec_lo, exec_lo, s1
	v_mov_b32_e32 v1, 0
	s_wait_dscnt 0x0
	ds_load_b32 v1, v1 offset:568
	s_wait_dscnt 0x0
	v_readfirstlane_b32 s1, v1
	s_cmp_neq_f32 s1, 0
	s_cselect_b32 vcc_lo, -1, 0
	v_cndmask_b32_e32 v1, 1.0, v1, vcc_lo
	s_nor_b32 s5, vcc_lo, s0
	s_delay_alu instid0(SALU_CYCLE_1)
	s_and_saveexec_b32 s1, s5
	s_cbranch_execz .LBB5_86
; %bb.83:
	v_mbcnt_lo_u32_b32 v1, exec_lo, 0
	s_mov_b32 s5, exec_lo
	s_delay_alu instid0(VALU_DEP_1)
	v_cmpx_eq_u32_e32 0, v1
	s_cbranch_execz .LBB5_85
; %bb.84:
	v_dual_mov_b32 v1, 0 :: v_dual_mov_b32 v3, s4
	global_atomic_min_i32 v1, v3, s[10:11] scope:SCOPE_DEV
.LBB5_85:
	s_wait_xcnt 0x0
	s_or_b32 exec_lo, exec_lo, s5
	v_mov_b32_e32 v1, 1.0
.LBB5_86:
	s_or_b32 exec_lo, exec_lo, s1
	s_delay_alu instid0(SALU_CYCLE_1)
	s_mov_b32 s1, exec_lo
	v_cmpx_lt_u32_e32 1, v5
	s_cbranch_execz .LBB5_88
; %bb.87:
	ds_load_b32 v3, v10 offset:4
	ds_load_b32 v11, v7 offset:4
	s_wait_dscnt 0x0
	v_sub_f32_e32 v3, v3, v11
	s_delay_alu instid0(VALU_DEP_1) | instskip(NEXT) | instid1(VALU_DEP_1)
	v_div_scale_f32 v11, null, v1, v1, v3
	v_rcp_f32_e32 v12, v11
	v_nop
	s_delay_alu instid0(TRANS32_DEP_1) | instskip(NEXT) | instid1(VALU_DEP_1)
	v_fma_f32 v13, -v11, v12, 1.0
	v_fmac_f32_e32 v12, v13, v12
	v_div_scale_f32 v14, vcc_lo, v3, v1, v3
	s_delay_alu instid0(VALU_DEP_1) | instskip(NEXT) | instid1(VALU_DEP_1)
	v_mul_f32_e32 v13, v14, v12
	v_fma_f32 v15, -v11, v13, v14
	s_delay_alu instid0(VALU_DEP_1) | instskip(NEXT) | instid1(VALU_DEP_1)
	v_fmac_f32_e32 v13, v15, v12
	v_fma_f32 v11, -v11, v13, v14
	s_delay_alu instid0(VALU_DEP_1) | instskip(NEXT) | instid1(VALU_DEP_1)
	v_div_fmas_f32 v11, v11, v12, v13
	v_div_fixup_f32 v1, v11, v1, v3
	ds_store_b32 v10, v1 offset:4
	s_wait_storecnt_dscnt 0x0
	ds_load_b32 v3, v9 offset:4
	ds_load_b32 v11, v6
	s_wait_dscnt 0x0
	v_fmac_f32_e32 v11, v1, v3
	ds_store_b32 v6, v11
.LBB5_88:
	s_or_b32 exec_lo, exec_lo, s1
	s_delay_alu instid0(SALU_CYCLE_1)
	s_mov_b32 s1, exec_lo
	s_wait_storecnt_dscnt 0x0
	v_cmpx_eq_u32_e32 2, v5
	s_cbranch_execz .LBB5_90
; %bb.89:
	v_mov_b32_e32 v1, 0
	ds_load_2addr_b32 v[12:13], v1 offset0:148 offset1:168
	s_wait_dscnt 0x0
	v_readfirstlane_b32 s5, v12
	v_readfirstlane_b32 s12, v13
	s_sub_f32 s5, s5, s12
	s_delay_alu instid0(SALU_CYCLE_3) | instskip(SKIP_2) | instid1(SALU_CYCLE_1)
	s_xor_b32 s12, s5, 0x80000000
	s_cmp_lt_f32 s5, 0
	s_cselect_b32 s5, s12, s5
	s_mul_f32 s12, s5, 0x4f800000
	s_cmp_lt_f32 s5, 0xf800000
	s_delay_alu instid0(SALU_CYCLE_2) | instskip(NEXT) | instid1(SALU_CYCLE_1)
	s_cselect_b32 s12, s12, s5
	v_s_sqrt_f32 s13, s12
	s_mov_b32 s15, s12
	s_delay_alu instid0(TRANS32_DEP_1) | instskip(NEXT) | instid1(SALU_CYCLE_1)
	s_add_co_i32 s14, s13, -1
	s_xor_b32 s18, s14, 0x80000000
	s_delay_alu instid0(SALU_CYCLE_1) | instskip(SKIP_1) | instid1(SALU_CYCLE_2)
	s_fmac_f32 s15, s18, s13
	s_mov_b32 s18, s12
	s_cmp_le_f32 s15, 0
	s_cselect_b32 s14, s14, s13
	s_add_co_i32 s15, s13, 1
	s_delay_alu instid0(SALU_CYCLE_1) | instskip(NEXT) | instid1(SALU_CYCLE_1)
	s_xor_b32 s19, s15, 0x80000000
	s_fmac_f32 s18, s19, s13
	s_delay_alu instid0(SALU_CYCLE_3) | instskip(SKIP_4) | instid1(SALU_CYCLE_2)
	s_cmp_gt_f32 s18, 0
	s_cselect_b32 s13, s15, s14
	s_cmp_lt_f32 s5, 0xf800000
	s_mul_f32 s5, s13, 0x37800000
	v_cmp_class_f32_e64 s14, s12, 0x260
	s_cselect_b32 s5, s5, s13
	s_and_b32 s13, s14, exec_lo
	s_cselect_b32 s5, s12, s5
	s_delay_alu instid0(SALU_CYCLE_1)
	v_mov_b32_e32 v3, s5
	ds_store_b32 v1, v3 offset:592
.LBB5_90:
	s_or_b32 exec_lo, exec_lo, s1
	v_mov_b32_e32 v1, 0
	s_wait_dscnt 0x0
	ds_load_b32 v1, v1 offset:592
	s_wait_dscnt 0x0
	v_readfirstlane_b32 s1, v1
	s_cmp_neq_f32 s1, 0
	s_cselect_b32 vcc_lo, -1, 0
	v_cndmask_b32_e32 v1, 1.0, v1, vcc_lo
	s_nor_b32 s5, vcc_lo, s0
	s_delay_alu instid0(SALU_CYCLE_1)
	s_and_saveexec_b32 s1, s5
	s_cbranch_execz .LBB5_94
; %bb.91:
	v_mbcnt_lo_u32_b32 v1, exec_lo, 0
	s_mov_b32 s5, exec_lo
	s_delay_alu instid0(VALU_DEP_1)
	v_cmpx_eq_u32_e32 0, v1
	s_cbranch_execz .LBB5_93
; %bb.92:
	v_dual_mov_b32 v1, 0 :: v_dual_mov_b32 v3, s4
	global_atomic_min_i32 v1, v3, s[10:11] scope:SCOPE_DEV
.LBB5_93:
	s_wait_xcnt 0x0
	s_or_b32 exec_lo, exec_lo, s5
	v_mov_b32_e32 v1, 1.0
.LBB5_94:
	s_or_b32 exec_lo, exec_lo, s1
	s_delay_alu instid0(SALU_CYCLE_1)
	s_mov_b32 s1, exec_lo
	v_cmpx_lt_u32_e32 2, v5
	s_cbranch_execz .LBB5_96
; %bb.95:
	ds_load_b32 v3, v10 offset:8
	ds_load_b32 v11, v7 offset:8
	s_wait_dscnt 0x0
	v_sub_f32_e32 v3, v3, v11
	s_delay_alu instid0(VALU_DEP_1) | instskip(NEXT) | instid1(VALU_DEP_1)
	v_div_scale_f32 v11, null, v1, v1, v3
	v_rcp_f32_e32 v12, v11
	v_nop
	s_delay_alu instid0(TRANS32_DEP_1) | instskip(NEXT) | instid1(VALU_DEP_1)
	v_fma_f32 v13, -v11, v12, 1.0
	v_fmac_f32_e32 v12, v13, v12
	v_div_scale_f32 v14, vcc_lo, v3, v1, v3
	s_delay_alu instid0(VALU_DEP_1) | instskip(NEXT) | instid1(VALU_DEP_1)
	v_mul_f32_e32 v13, v14, v12
	v_fma_f32 v15, -v11, v13, v14
	s_delay_alu instid0(VALU_DEP_1) | instskip(NEXT) | instid1(VALU_DEP_1)
	v_fmac_f32_e32 v13, v15, v12
	v_fma_f32 v11, -v11, v13, v14
	s_delay_alu instid0(VALU_DEP_1) | instskip(NEXT) | instid1(VALU_DEP_1)
	v_div_fmas_f32 v11, v11, v12, v13
	v_div_fixup_f32 v1, v11, v1, v3
	ds_store_b32 v10, v1 offset:8
	s_wait_storecnt_dscnt 0x0
	ds_load_b32 v3, v9 offset:8
	ds_load_b32 v11, v6
	s_wait_dscnt 0x0
	v_fmac_f32_e32 v11, v1, v3
	ds_store_b32 v6, v11
.LBB5_96:
	s_or_b32 exec_lo, exec_lo, s1
	v_ashrrev_i32_e32 v1, 31, v0
	s_mov_b32 s1, exec_lo
	s_wait_storecnt_dscnt 0x0
	v_cmpx_eq_u32_e32 3, v5
	s_cbranch_execz .LBB5_98
; %bb.97:
	v_mov_b32_e32 v3, 0
	ds_load_2addr_b32 v[12:13], v3 offset0:154 offset1:174
	s_wait_dscnt 0x0
	v_readfirstlane_b32 s5, v12
	v_readfirstlane_b32 s12, v13
	s_sub_f32 s5, s5, s12
	s_delay_alu instid0(SALU_CYCLE_3) | instskip(SKIP_2) | instid1(SALU_CYCLE_1)
	s_xor_b32 s12, s5, 0x80000000
	s_cmp_lt_f32 s5, 0
	s_cselect_b32 s5, s12, s5
	s_mul_f32 s12, s5, 0x4f800000
	s_cmp_lt_f32 s5, 0xf800000
	s_delay_alu instid0(SALU_CYCLE_2) | instskip(NEXT) | instid1(SALU_CYCLE_1)
	s_cselect_b32 s12, s12, s5
	v_s_sqrt_f32 s13, s12
	s_mov_b32 s15, s12
	s_delay_alu instid0(TRANS32_DEP_1) | instskip(NEXT) | instid1(SALU_CYCLE_1)
	s_add_co_i32 s14, s13, -1
	s_xor_b32 s18, s14, 0x80000000
	s_delay_alu instid0(SALU_CYCLE_1) | instskip(SKIP_1) | instid1(SALU_CYCLE_2)
	s_fmac_f32 s15, s18, s13
	s_mov_b32 s18, s12
	s_cmp_le_f32 s15, 0
	s_cselect_b32 s14, s14, s13
	s_add_co_i32 s15, s13, 1
	s_delay_alu instid0(SALU_CYCLE_1) | instskip(NEXT) | instid1(SALU_CYCLE_1)
	s_xor_b32 s19, s15, 0x80000000
	s_fmac_f32 s18, s19, s13
	s_delay_alu instid0(SALU_CYCLE_3) | instskip(SKIP_4) | instid1(SALU_CYCLE_2)
	s_cmp_gt_f32 s18, 0
	s_cselect_b32 s13, s15, s14
	s_cmp_lt_f32 s5, 0xf800000
	s_mul_f32 s5, s13, 0x37800000
	v_cmp_class_f32_e64 s14, s12, 0x260
	s_cselect_b32 s5, s5, s13
	s_and_b32 s13, s14, exec_lo
	s_cselect_b32 s5, s12, s5
	s_delay_alu instid0(SALU_CYCLE_1)
	v_mov_b32_e32 v11, s5
	ds_store_b32 v3, v11 offset:616
.LBB5_98:
	s_or_b32 exec_lo, exec_lo, s1
	v_mov_b32_e32 v3, 0
	s_wait_dscnt 0x0
	ds_load_b32 v3, v3 offset:616
	s_wait_dscnt 0x0
	v_readfirstlane_b32 s1, v3
	s_cmp_neq_f32 s1, 0
	s_cselect_b32 vcc_lo, -1, 0
	v_cndmask_b32_e32 v3, 1.0, v3, vcc_lo
	s_nor_b32 s1, vcc_lo, s0
	s_delay_alu instid0(SALU_CYCLE_1)
	s_and_saveexec_b32 s0, s1
	s_cbranch_execz .LBB5_102
; %bb.99:
	v_mbcnt_lo_u32_b32 v3, exec_lo, 0
	s_mov_b32 s1, exec_lo
	s_delay_alu instid0(VALU_DEP_1)
	v_cmpx_eq_u32_e32 0, v3
	s_cbranch_execz .LBB5_101
; %bb.100:
	v_dual_mov_b32 v3, 0 :: v_dual_mov_b32 v11, s4
	global_atomic_min_i32 v3, v11, s[10:11] scope:SCOPE_DEV
.LBB5_101:
	s_wait_xcnt 0x0
	s_or_b32 exec_lo, exec_lo, s1
	v_mov_b32_e32 v3, 1.0
.LBB5_102:
	s_or_b32 exec_lo, exec_lo, s0
	v_lshl_add_u64 v[0:1], v[0:1], 2, s[16:17]
	s_mov_b32 s0, exec_lo
	v_cmpx_lt_u32_e32 3, v5
	s_cbranch_execz .LBB5_104
; %bb.103:
	ds_load_b32 v11, v10 offset:12
	ds_load_b32 v7, v7 offset:12
	s_wait_dscnt 0x0
	v_sub_f32_e32 v7, v11, v7
	s_delay_alu instid0(VALU_DEP_1) | instskip(NEXT) | instid1(VALU_DEP_1)
	v_div_scale_f32 v11, null, v3, v3, v7
	v_rcp_f32_e32 v12, v11
	v_nop
	s_delay_alu instid0(TRANS32_DEP_1) | instskip(NEXT) | instid1(VALU_DEP_1)
	v_fma_f32 v13, -v11, v12, 1.0
	v_fmac_f32_e32 v12, v13, v12
	v_div_scale_f32 v14, vcc_lo, v7, v3, v7
	s_delay_alu instid0(VALU_DEP_1) | instskip(NEXT) | instid1(VALU_DEP_1)
	v_mul_f32_e32 v13, v14, v12
	v_fma_f32 v15, -v11, v13, v14
	s_delay_alu instid0(VALU_DEP_1) | instskip(NEXT) | instid1(VALU_DEP_1)
	v_fmac_f32_e32 v13, v15, v12
	v_fma_f32 v11, -v11, v13, v14
	s_delay_alu instid0(VALU_DEP_1) | instskip(NEXT) | instid1(VALU_DEP_1)
	v_div_fmas_f32 v11, v11, v12, v13
	v_div_fixup_f32 v3, v11, v3, v7
	ds_store_b32 v10, v3 offset:12
	s_wait_storecnt_dscnt 0x0
	ds_load_b32 v7, v9 offset:12
	ds_load_b32 v9, v6
	s_wait_dscnt 0x0
	v_fmac_f32_e32 v9, v3, v7
	ds_store_b32 v6, v9
.LBB5_104:
	s_or_b32 exec_lo, exec_lo, s0
	s_wait_storecnt_dscnt 0x0
	ds_load_b32 v2, v2
	s_mov_b32 s0, 0
	s_mov_b32 s1, exec_lo
	s_wait_dscnt 0x0
	global_store_b32 v[0:1], v2, off
	s_wait_xcnt 0x0
	v_cmpx_eq_u32_e32 0, v8
	s_cbranch_execz .LBB5_106
; %bb.105:
	v_dual_mov_b32 v0, 0 :: v_dual_mov_b32 v1, 1
	s_add_nc_u64 s[4:5], s[6:7], s[2:3]
	global_wb scope:SCOPE_DEV
	s_wait_storecnt 0x0
	global_store_b32 v0, v1, s[4:5] scope:SCOPE_DEV
.LBB5_106:
	s_wait_xcnt 0x0
	s_or_b32 exec_lo, exec_lo, s1
	s_delay_alu instid0(SALU_CYCLE_1)
	s_and_b32 vcc_lo, exec_lo, s0
	s_cbranch_vccz .LBB5_16
.LBB5_107:
	v_or_b32_e32 v0, v4, v5
	s_mov_b32 s0, exec_lo
	s_delay_alu instid0(VALU_DEP_1)
	v_cmpx_eq_u32_e32 0, v0
	s_cbranch_execz .LBB5_16
; %bb.108:
	v_mbcnt_lo_u32_b32 v0, exec_lo, 0
	s_mov_b32 s0, exec_lo
	s_delay_alu instid0(VALU_DEP_1)
	v_cmpx_eq_u32_e32 0, v0
	s_cbranch_execz .LBB5_110
; %bb.109:
	s_add_co_i32 s1, s8, s9
	s_delay_alu instid0(SALU_CYCLE_1)
	v_dual_mov_b32 v0, 0 :: v_dual_mov_b32 v1, s1
	global_atomic_min_i32 v0, v1, s[10:11] scope:SCOPE_DEV
.LBB5_110:
	s_wait_xcnt 0x0
	s_or_b32 exec_lo, exec_lo, s0
	v_dual_mov_b32 v0, 0 :: v_dual_mov_b32 v1, 1
	s_add_nc_u64 s[0:1], s[6:7], s[2:3]
	global_wb scope:SCOPE_DEV
	s_wait_storecnt 0x0
	global_store_b32 v0, v1, s[0:1] scope:SCOPE_DEV
	s_endpgm
	.section	.rodata,"a",@progbits
	.p2align	6, 0x0
	.amdhsa_kernel _ZN9rocsparseL26bsric0_2_8_unrolled_kernelILi16ELi32ELi4EfEEv20rocsparse_direction_iiPKiS3_PT2_S3_PiS3_S6_21rocsparse_index_base_
		.amdhsa_group_segment_fixed_size 704
		.amdhsa_private_segment_fixed_size 0
		.amdhsa_kernarg_size 76
		.amdhsa_user_sgpr_count 2
		.amdhsa_user_sgpr_dispatch_ptr 0
		.amdhsa_user_sgpr_queue_ptr 0
		.amdhsa_user_sgpr_kernarg_segment_ptr 1
		.amdhsa_user_sgpr_dispatch_id 0
		.amdhsa_user_sgpr_kernarg_preload_length 0
		.amdhsa_user_sgpr_kernarg_preload_offset 0
		.amdhsa_user_sgpr_private_segment_size 0
		.amdhsa_wavefront_size32 1
		.amdhsa_uses_dynamic_stack 0
		.amdhsa_enable_private_segment 0
		.amdhsa_system_sgpr_workgroup_id_x 1
		.amdhsa_system_sgpr_workgroup_id_y 0
		.amdhsa_system_sgpr_workgroup_id_z 0
		.amdhsa_system_sgpr_workgroup_info 0
		.amdhsa_system_vgpr_workitem_id 1
		.amdhsa_next_free_vgpr 42
		.amdhsa_next_free_sgpr 37
		.amdhsa_named_barrier_count 0
		.amdhsa_reserve_vcc 1
		.amdhsa_float_round_mode_32 0
		.amdhsa_float_round_mode_16_64 0
		.amdhsa_float_denorm_mode_32 3
		.amdhsa_float_denorm_mode_16_64 3
		.amdhsa_fp16_overflow 0
		.amdhsa_memory_ordered 1
		.amdhsa_forward_progress 1
		.amdhsa_inst_pref_size 56
		.amdhsa_round_robin_scheduling 0
		.amdhsa_exception_fp_ieee_invalid_op 0
		.amdhsa_exception_fp_denorm_src 0
		.amdhsa_exception_fp_ieee_div_zero 0
		.amdhsa_exception_fp_ieee_overflow 0
		.amdhsa_exception_fp_ieee_underflow 0
		.amdhsa_exception_fp_ieee_inexact 0
		.amdhsa_exception_int_div_zero 0
	.end_amdhsa_kernel
	.section	.text._ZN9rocsparseL26bsric0_2_8_unrolled_kernelILi16ELi32ELi4EfEEv20rocsparse_direction_iiPKiS3_PT2_S3_PiS3_S6_21rocsparse_index_base_,"axG",@progbits,_ZN9rocsparseL26bsric0_2_8_unrolled_kernelILi16ELi32ELi4EfEEv20rocsparse_direction_iiPKiS3_PT2_S3_PiS3_S6_21rocsparse_index_base_,comdat
.Lfunc_end5:
	.size	_ZN9rocsparseL26bsric0_2_8_unrolled_kernelILi16ELi32ELi4EfEEv20rocsparse_direction_iiPKiS3_PT2_S3_PiS3_S6_21rocsparse_index_base_, .Lfunc_end5-_ZN9rocsparseL26bsric0_2_8_unrolled_kernelILi16ELi32ELi4EfEEv20rocsparse_direction_iiPKiS3_PT2_S3_PiS3_S6_21rocsparse_index_base_
                                        ; -- End function
	.set _ZN9rocsparseL26bsric0_2_8_unrolled_kernelILi16ELi32ELi4EfEEv20rocsparse_direction_iiPKiS3_PT2_S3_PiS3_S6_21rocsparse_index_base_.num_vgpr, 42
	.set _ZN9rocsparseL26bsric0_2_8_unrolled_kernelILi16ELi32ELi4EfEEv20rocsparse_direction_iiPKiS3_PT2_S3_PiS3_S6_21rocsparse_index_base_.num_agpr, 0
	.set _ZN9rocsparseL26bsric0_2_8_unrolled_kernelILi16ELi32ELi4EfEEv20rocsparse_direction_iiPKiS3_PT2_S3_PiS3_S6_21rocsparse_index_base_.numbered_sgpr, 37
	.set _ZN9rocsparseL26bsric0_2_8_unrolled_kernelILi16ELi32ELi4EfEEv20rocsparse_direction_iiPKiS3_PT2_S3_PiS3_S6_21rocsparse_index_base_.num_named_barrier, 0
	.set _ZN9rocsparseL26bsric0_2_8_unrolled_kernelILi16ELi32ELi4EfEEv20rocsparse_direction_iiPKiS3_PT2_S3_PiS3_S6_21rocsparse_index_base_.private_seg_size, 0
	.set _ZN9rocsparseL26bsric0_2_8_unrolled_kernelILi16ELi32ELi4EfEEv20rocsparse_direction_iiPKiS3_PT2_S3_PiS3_S6_21rocsparse_index_base_.uses_vcc, 1
	.set _ZN9rocsparseL26bsric0_2_8_unrolled_kernelILi16ELi32ELi4EfEEv20rocsparse_direction_iiPKiS3_PT2_S3_PiS3_S6_21rocsparse_index_base_.uses_flat_scratch, 0
	.set _ZN9rocsparseL26bsric0_2_8_unrolled_kernelILi16ELi32ELi4EfEEv20rocsparse_direction_iiPKiS3_PT2_S3_PiS3_S6_21rocsparse_index_base_.has_dyn_sized_stack, 0
	.set _ZN9rocsparseL26bsric0_2_8_unrolled_kernelILi16ELi32ELi4EfEEv20rocsparse_direction_iiPKiS3_PT2_S3_PiS3_S6_21rocsparse_index_base_.has_recursion, 0
	.set _ZN9rocsparseL26bsric0_2_8_unrolled_kernelILi16ELi32ELi4EfEEv20rocsparse_direction_iiPKiS3_PT2_S3_PiS3_S6_21rocsparse_index_base_.has_indirect_call, 0
	.section	.AMDGPU.csdata,"",@progbits
; Kernel info:
; codeLenInByte = 7060
; TotalNumSgprs: 39
; NumVgprs: 42
; ScratchSize: 0
; MemoryBound: 0
; FloatMode: 240
; IeeeMode: 1
; LDSByteSize: 704 bytes/workgroup (compile time only)
; SGPRBlocks: 0
; VGPRBlocks: 2
; NumSGPRsForWavesPerEU: 39
; NumVGPRsForWavesPerEU: 42
; NamedBarCnt: 0
; Occupancy: 16
; WaveLimiterHint : 1
; COMPUTE_PGM_RSRC2:SCRATCH_EN: 0
; COMPUTE_PGM_RSRC2:USER_SGPR: 2
; COMPUTE_PGM_RSRC2:TRAP_HANDLER: 0
; COMPUTE_PGM_RSRC2:TGID_X_EN: 1
; COMPUTE_PGM_RSRC2:TGID_Y_EN: 0
; COMPUTE_PGM_RSRC2:TGID_Z_EN: 0
; COMPUTE_PGM_RSRC2:TIDIG_COMP_CNT: 1
	.section	.text._ZN9rocsparseL26bsric0_2_8_unrolled_kernelILi25ELi32ELi5EfEEv20rocsparse_direction_iiPKiS3_PT2_S3_PiS3_S6_21rocsparse_index_base_,"axG",@progbits,_ZN9rocsparseL26bsric0_2_8_unrolled_kernelILi25ELi32ELi5EfEEv20rocsparse_direction_iiPKiS3_PT2_S3_PiS3_S6_21rocsparse_index_base_,comdat
	.globl	_ZN9rocsparseL26bsric0_2_8_unrolled_kernelILi25ELi32ELi5EfEEv20rocsparse_direction_iiPKiS3_PT2_S3_PiS3_S6_21rocsparse_index_base_ ; -- Begin function _ZN9rocsparseL26bsric0_2_8_unrolled_kernelILi25ELi32ELi5EfEEv20rocsparse_direction_iiPKiS3_PT2_S3_PiS3_S6_21rocsparse_index_base_
	.p2align	8
	.type	_ZN9rocsparseL26bsric0_2_8_unrolled_kernelILi25ELi32ELi5EfEEv20rocsparse_direction_iiPKiS3_PT2_S3_PiS3_S6_21rocsparse_index_base_,@function
_ZN9rocsparseL26bsric0_2_8_unrolled_kernelILi25ELi32ELi5EfEEv20rocsparse_direction_iiPKiS3_PT2_S3_PiS3_S6_21rocsparse_index_base_: ; @_ZN9rocsparseL26bsric0_2_8_unrolled_kernelILi25ELi32ELi5EfEEv20rocsparse_direction_iiPKiS3_PT2_S3_PiS3_S6_21rocsparse_index_base_
; %bb.0:
	s_load_b256 s[4:11], s[0:1], 0x28
	s_bfe_u32 s2, ttmp6, 0x4000c
	s_and_b32 s3, ttmp6, 15
	s_add_co_i32 s2, s2, 1
	s_getreg_b32 s12, hwreg(HW_REG_IB_STS2, 6, 4)
	s_mul_i32 s2, ttmp9, s2
	v_and_b32_e32 v4, 0x3ff, v0
	s_add_co_i32 s3, s3, s2
	s_cmp_eq_u32 s12, 0
	v_bfe_u32 v5, v0, 10, 10
	s_cselect_b32 s2, ttmp9, s3
	s_wait_kmcnt 0x0
	s_load_b32 s8, s[8:9], s2 offset:0x0 scale_offset
	s_wait_kmcnt 0x0
	s_ashr_i32 s9, s8, 31
	s_delay_alu instid0(SALU_CYCLE_1) | instskip(NEXT) | instid1(SALU_CYCLE_1)
	s_lshl_b64 s[2:3], s[8:9], 2
	s_add_nc_u64 s[12:13], s[4:5], s[2:3]
	s_load_b32 s26, s[12:13], 0x0
	s_load_b32 s9, s[0:1], 0x48
	s_wait_kmcnt 0x0
	s_cmp_lg_u32 s26, -1
	s_cbranch_scc0 .LBB6_109
; %bb.1:
	s_clause 0x1
	s_load_b128 s[12:15], s[0:1], 0x10
	s_load_b64 s[16:17], s[0:1], 0x20
	v_mad_u32_u24 v6, v5, 5, v4
	v_mul_u32_u24_e32 v12, 5, v5
	s_wait_kmcnt 0x0
	s_add_nc_u64 s[18:19], s[12:13], s[2:3]
	s_load_b32 s19, s[18:19], 0x0
	s_wait_xcnt 0x0
	s_mov_b32 s18, exec_lo
	s_wait_kmcnt 0x0
	s_sub_co_i32 s27, s19, s9
	s_delay_alu instid0(SALU_CYCLE_1) | instskip(NEXT) | instid1(VALU_DEP_1)
	v_add_nc_u32_e32 v0, s27, v6
	v_cmpx_ge_i32_e64 s26, v0
	s_cbranch_execz .LBB6_14
; %bb.2:
	v_add_nc_u32_e32 v1, s19, v4
	s_add_co_i32 s20, s26, 1
	s_mov_b32 s21, -1
	s_delay_alu instid0(VALU_DEP_1) | instskip(NEXT) | instid1(VALU_DEP_1)
	v_add_nc_u32_e32 v2, v1, v12
	v_subrev_nc_u32_e32 v2, s9, v2
	s_delay_alu instid0(VALU_DEP_1) | instskip(SKIP_1) | instid1(VALU_DEP_1)
	v_add_max_i32_e64 v2, v2, 25, s20
	s_mov_b32 s20, exec_lo
	v_add_nc_u32_e32 v2, s9, v2
	s_delay_alu instid0(VALU_DEP_1) | instskip(NEXT) | instid1(VALU_DEP_1)
	v_sub_nc_u32_e32 v1, v2, v1
	v_subrev_nc_u32_e32 v1, 25, v1
	s_delay_alu instid0(VALU_DEP_1) | instskip(SKIP_1) | instid1(VALU_DEP_1)
	v_cmp_ne_u32_e32 vcc_lo, v1, v12
	v_add_co_ci_u32_e64 v2, null, 0, v12, vcc_lo
	v_sub_nc_u32_e32 v1, v1, v2
	s_delay_alu instid0(VALU_DEP_1) | instskip(NEXT) | instid1(VALU_DEP_1)
	v_mul_hi_u32 v1, 0x51eb851f, v1
	v_lshrrev_b32_e32 v1, 3, v1
	s_delay_alu instid0(VALU_DEP_1) | instskip(NEXT) | instid1(VALU_DEP_1)
	v_add_co_ci_u32_e64 v7, null, 0, v1, vcc_lo
	v_cmpx_ne_u32_e32 0, v7
	s_cbranch_execz .LBB6_11
; %bb.3:
	v_add_nc_u32_e32 v1, -1, v7
	s_mov_b32 s21, exec_lo
	s_delay_alu instid0(VALU_DEP_1) | instskip(NEXT) | instid1(VALU_DEP_1)
	v_dual_lshrrev_b32 v2, 1, v1 :: v_dual_add_nc_u32 v1, 25, v0
	v_add_nc_u32_e32 v8, 1, v2
	s_delay_alu instid0(VALU_DEP_2)
	v_mov_b64_e32 v[2:3], v[0:1]
	v_cmpx_lt_u32_e32 14, v7
	s_cbranch_execz .LBB6_7
; %bb.4:
	v_mov_b64_e32 v[2:3], v[0:1]
	v_and_b32_e32 v9, -8, v8
	s_mov_b32 s22, 0
.LBB6_5:                                ; =>This Inner Loop Header: Depth=1
	s_clause 0x1
	global_load_b32 v1, v2, s[14:15] scale_offset
	global_load_b32 v10, v3, s[14:15] scale_offset
	v_add_nc_u32_e32 v18, 0xc8, v3
	v_add_nc_u32_e32 v16, 0x96, v3
	;; [unrolled: 1-line block ×3, first 2 shown]
	v_dual_add_nc_u32 v11, 50, v3 :: v_dual_add_nc_u32 v13, 50, v2
	v_add_nc_u32_e32 v15, 0x64, v2
	v_add_nc_u32_e32 v17, 0x96, v2
	;; [unrolled: 1-line block ×9, first 2 shown]
	s_clause 0xd
	global_load_b32 v26, v18, s[14:15] scale_offset
	global_load_b32 v27, v16, s[14:15] scale_offset
	;; [unrolled: 1-line block ×14, first 2 shown]
	v_subrev_nc_u32_e32 v40, s27, v2
	v_subrev_nc_u32_e32 v41, s27, v3
	v_add_nc_u32_e32 v9, -8, v9
	s_wait_xcnt 0xa
	v_subrev_nc_u32_e32 v11, s27, v11
	s_wait_xcnt 0x9
	v_subrev_nc_u32_e32 v13, s27, v13
	v_dual_lshlrev_b32 v40, 2, v40 :: v_dual_lshlrev_b32 v41, 2, v41
	s_wait_xcnt 0x8
	v_subrev_nc_u32_e32 v15, s27, v15
	v_subrev_nc_u32_e32 v14, s27, v14
	v_cmp_eq_u32_e32 vcc_lo, 0, v9
	s_wait_xcnt 0x7
	v_subrev_nc_u32_e32 v17, s27, v17
	v_add_nc_u32_e32 v3, 0x190, v3
	v_subrev_nc_u32_e32 v16, s27, v16
	v_subrev_nc_u32_e32 v18, s27, v18
	s_wait_xcnt 0x6
	v_subrev_nc_u32_e32 v19, s27, v19
	s_wait_xcnt 0x3
	;; [unrolled: 2-line block ×3, first 2 shown]
	v_subrev_nc_u32_e32 v21, s27, v21
	v_subrev_nc_u32_e32 v22, s27, v22
	s_wait_xcnt 0x1
	v_subrev_nc_u32_e32 v23, s27, v23
	v_subrev_nc_u32_e32 v24, s27, v24
	s_wait_xcnt 0x0
	v_subrev_nc_u32_e32 v25, s27, v25
	v_add_nc_u32_e32 v2, 0x190, v2
	v_dual_lshlrev_b32 v13, 2, v13 :: v_dual_lshlrev_b32 v15, 2, v15
	v_dual_lshlrev_b32 v11, 2, v11 :: v_dual_lshlrev_b32 v14, 2, v14
	v_lshlrev_b32_e32 v17, 2, v17
	s_or_b32 s22, vcc_lo, s22
	v_dual_lshlrev_b32 v16, 2, v16 :: v_dual_lshlrev_b32 v19, 2, v19
	v_dual_lshlrev_b32 v18, 2, v18 :: v_dual_lshlrev_b32 v21, 2, v21
	;; [unrolled: 1-line block ×4, first 2 shown]
	v_lshlrev_b32_e32 v24, 2, v24
	s_wait_loadcnt 0xf
	v_subrev_nc_u32_e32 v1, s9, v1
	s_wait_loadcnt 0xe
	v_subrev_nc_u32_e32 v10, s9, v10
	ds_store_b32 v40, v1 offset:256
	ds_store_b32 v41, v10 offset:256
	s_wait_loadcnt 0xa
	v_subrev_nc_u32_e32 v1, s9, v29
	s_wait_loadcnt 0x9
	v_subrev_nc_u32_e32 v10, s9, v30
	;; [unrolled: 2-line block ×3, first 2 shown]
	v_subrev_nc_u32_e32 v28, s9, v28
	s_wait_loadcnt 0x7
	v_subrev_nc_u32_e32 v30, s9, v32
	v_subrev_nc_u32_e32 v27, s9, v27
	;; [unrolled: 1-line block ×3, first 2 shown]
	s_wait_loadcnt 0x6
	v_subrev_nc_u32_e32 v31, s9, v33
	s_wait_loadcnt 0x3
	v_subrev_nc_u32_e32 v32, s9, v36
	;; [unrolled: 2-line block ×3, first 2 shown]
	v_subrev_nc_u32_e32 v35, s9, v35
	s_wait_loadcnt 0x1
	v_subrev_nc_u32_e32 v36, s9, v38
	v_subrev_nc_u32_e32 v34, s9, v34
	s_wait_loadcnt 0x0
	v_subrev_nc_u32_e32 v37, s9, v39
	ds_store_b32 v13, v10 offset:256
	ds_store_b32 v11, v1 offset:256
	;; [unrolled: 1-line block ×14, first 2 shown]
	s_and_not1_b32 exec_lo, exec_lo, s22
	s_cbranch_execnz .LBB6_5
; %bb.6:
	s_or_b32 exec_lo, exec_lo, s22
.LBB6_7:
	s_delay_alu instid0(SALU_CYCLE_1) | instskip(SKIP_3) | instid1(VALU_DEP_1)
	s_or_b32 exec_lo, exec_lo, s21
	v_and_b32_e32 v1, 7, v8
	s_mov_b32 s22, 0
	s_mov_b32 s21, exec_lo
	v_cmpx_ne_u32_e32 0, v1
	s_cbranch_execz .LBB6_10
; %bb.8:
	v_sub_nc_u32_e32 v1, 0, v1
.LBB6_9:                                ; =>This Inner Loop Header: Depth=1
	s_clause 0x1
	global_load_b32 v8, v3, s[14:15] scale_offset
	global_load_b32 v9, v2, s[14:15] scale_offset
	v_subrev_nc_u32_e32 v10, s27, v2
	v_subrev_nc_u32_e32 v11, s27, v3
	s_wait_xcnt 0x0
	v_dual_add_nc_u32 v3, 50, v3 :: v_dual_add_nc_u32 v2, 50, v2
	v_add_co_u32 v1, s23, v1, 1
	s_delay_alu instid0(VALU_DEP_3)
	v_dual_lshlrev_b32 v10, 2, v10 :: v_dual_lshlrev_b32 v11, 2, v11
	s_or_b32 s22, s23, s22
	s_wait_loadcnt 0x1
	v_subrev_nc_u32_e32 v8, s9, v8
	s_wait_loadcnt 0x0
	v_subrev_nc_u32_e32 v9, s9, v9
	ds_store_b32 v10, v9 offset:256
	ds_store_b32 v11, v8 offset:256
	s_and_not1_b32 exec_lo, exec_lo, s22
	s_cbranch_execnz .LBB6_9
.LBB6_10:
	s_or_b32 exec_lo, exec_lo, s21
	v_add_nc_u32_e32 v1, 1, v7
	s_delay_alu instid0(VALU_DEP_1) | instskip(NEXT) | instid1(VALU_DEP_1)
	v_and_b32_e32 v2, 0x3ffffffe, v1
	v_mad_u32 v0, v2, 25, v0
	v_cmp_ne_u32_e32 vcc_lo, v1, v2
	s_or_not1_b32 s21, vcc_lo, exec_lo
.LBB6_11:
	s_or_b32 exec_lo, exec_lo, s20
	s_delay_alu instid0(SALU_CYCLE_1)
	s_and_b32 exec_lo, exec_lo, s21
	s_cbranch_execz .LBB6_14
; %bb.12:
	s_delay_alu instid0(VALU_DEP_2) | instskip(NEXT) | instid1(VALU_DEP_1)
	v_add_nc_u32_e32 v1, s9, v0
	v_subrev_nc_u32_e32 v2, s19, v1
	v_ashrrev_i32_e32 v1, 31, v0
	s_mov_b32 s19, 0
	s_delay_alu instid0(VALU_DEP_2) | instskip(NEXT) | instid1(VALU_DEP_2)
	v_lshl_add_u32 v7, v2, 2, 0x100
	v_lshl_add_u64 v[2:3], v[0:1], 2, s[14:15]
.LBB6_13:                               ; =>This Inner Loop Header: Depth=1
	global_load_b32 v1, v[2:3], off
	v_add_nc_u32_e32 v0, 25, v0
	s_wait_xcnt 0x0
	v_add_nc_u64_e32 v[2:3], 0x64, v[2:3]
	s_delay_alu instid0(VALU_DEP_2)
	v_cmp_lt_i32_e32 vcc_lo, s26, v0
	s_or_b32 s19, vcc_lo, s19
	s_wait_loadcnt 0x0
	v_subrev_nc_u32_e32 v1, s9, v1
	ds_store_b32 v7, v1
	v_add_nc_u32_e32 v7, 0x64, v7
	s_and_not1_b32 exec_lo, exec_lo, s19
	s_cbranch_execnz .LBB6_13
.LBB6_14:
	s_or_b32 exec_lo, exec_lo, s18
	s_load_b32 s1, s[0:1], 0x0
	v_mad_u32_u24 v11, v5, 24, 0x300
	v_mov_b32_e32 v13, 0
	v_mad_u32_u24 v7, v4, 5, v5
	v_mad_u32_u24 v10, v5, 24, 0x280
	;; [unrolled: 1-line block ×3, first 2 shown]
	v_lshl_add_u32 v8, v4, 2, v11
	s_cmp_ge_i32 s27, s26
	ds_store_b32 v8, v13
	s_wait_dscnt 0x0
	s_cbranch_scc1 .LBB6_61
; %bb.15:
	s_wait_kmcnt 0x0
	s_cmp_lg_u32 s1, 0
	v_dual_lshlrev_b32 v0, 2, v4 :: v_dual_bitop2_b32 v2, v4, v5 bitop3:0x54
	v_mul_u32_u24_e32 v1, 24, v5
	v_mad_u32_u24 v15, v5, 24, 0x200
	v_mad_u32_u24 v3, v4, 5, v5
	s_cselect_b32 s28, -1, 0
	s_cmp_eq_u32 s1, 0
	v_mul_u32_u24_e32 v14, 5, v4
	s_cselect_b32 vcc_lo, -1, 0
	v_dual_add_nc_u32 v16, v10, v0 :: v_dual_add_nc_u32 v18, v15, v0
	v_add3_u32 v17, v1, v0, 0x180
	v_cmp_ne_u32_e64 s0, 0, v2
	v_cndmask_b32_e32 v19, v3, v6, vcc_lo
	s_mov_b32 s18, s27
	s_branch .LBB6_19
.LBB6_16:                               ;   in Loop: Header=BB6_19 Depth=1
	s_wait_xcnt 0x0
	s_or_b32 exec_lo, exec_lo, s21
	v_mov_b32_e32 v3, 1.0
.LBB6_17:                               ;   in Loop: Header=BB6_19 Depth=1
	s_or_b32 exec_lo, exec_lo, s20
	ds_load_2addr_b64 v[20:23], v10 offset1:1
	ds_load_b128 v[24:27], v13 offset:480
	ds_load_b32 v28, v15 offset:16
	s_add_co_i32 s18, s18, 1
	s_delay_alu instid0(SALU_CYCLE_1) | instskip(SKIP_3) | instid1(VALU_DEP_1)
	s_cmp_ge_i32 s18, s26
	s_cselect_b32 s24, -1, 0
	s_wait_dscnt 0x0
	v_fmac_f32_e32 v28, v24, v20
	v_fmac_f32_e32 v28, v25, v21
	s_delay_alu instid0(VALU_DEP_1) | instskip(NEXT) | instid1(VALU_DEP_1)
	v_fmac_f32_e32 v28, v26, v22
	v_fmac_f32_e32 v28, v27, v23
	s_delay_alu instid0(VALU_DEP_1) | instskip(NEXT) | instid1(VALU_DEP_1)
	v_sub_f32_e32 v2, v2, v28
	v_div_scale_f32 v20, null, v3, v3, v2
	v_div_scale_f32 v23, vcc_lo, v2, v3, v2
	s_delay_alu instid0(VALU_DEP_2) | instskip(SKIP_1) | instid1(TRANS32_DEP_1)
	v_rcp_f32_e32 v21, v20
	v_nop
	v_fma_f32 v22, -v20, v21, 1.0
	s_delay_alu instid0(VALU_DEP_1) | instskip(NEXT) | instid1(VALU_DEP_1)
	v_fmac_f32_e32 v21, v22, v21
	v_mul_f32_e32 v22, v23, v21
	s_delay_alu instid0(VALU_DEP_1) | instskip(NEXT) | instid1(VALU_DEP_1)
	v_fma_f32 v24, -v20, v22, v23
	v_fmac_f32_e32 v22, v24, v21
	s_delay_alu instid0(VALU_DEP_1) | instskip(NEXT) | instid1(VALU_DEP_1)
	v_fma_f32 v20, -v20, v22, v23
	v_div_fmas_f32 v20, v20, v21, v22
	s_delay_alu instid0(VALU_DEP_1)
	v_div_fixup_f32 v2, v20, v3, v2
	ds_store_b32 v10, v2 offset:16
	s_wait_storecnt_dscnt 0x0
	ds_load_b32 v3, v9 offset:16
	ds_load_b32 v20, v8
	s_wait_dscnt 0x0
	v_fmac_f32_e32 v20, v2, v3
	ds_store_b32 v8, v20
	s_wait_dscnt 0x0
	ds_load_b32 v2, v16
	s_wait_dscnt 0x0
	global_store_b32 v[0:1], v2, off
	global_wb scope:SCOPE_DEV
	s_wait_storecnt 0x0
	global_inv scope:SCOPE_DEV
.LBB6_18:                               ;   in Loop: Header=BB6_19 Depth=1
	s_and_b32 vcc_lo, exec_lo, s24
	s_cbranch_vccnz .LBB6_61
.LBB6_19:                               ; =>This Loop Header: Depth=1
                                        ;     Child Loop BB6_22 Depth 2
                                        ;     Child Loop BB6_33 Depth 2
	;; [unrolled: 1-line block ×3, first 2 shown]
	s_ashr_i32 s19, s18, 31
	s_delay_alu instid0(SALU_CYCLE_1) | instskip(NEXT) | instid1(SALU_CYCLE_1)
	s_lshl_b64 s[20:21], s[18:19], 2
	s_add_nc_u64 s[20:21], s[14:15], s[20:21]
	s_load_b32 s19, s[20:21], 0x0
	s_wait_kmcnt 0x0
	s_sub_co_i32 s22, s19, s9
	s_delay_alu instid0(SALU_CYCLE_1) | instskip(SKIP_2) | instid1(SALU_CYCLE_1)
	s_ashr_i32 s23, s22, 31
	s_wait_xcnt 0x0
	s_lshl_b64 s[20:21], s[22:23], 2
	s_add_nc_u64 s[24:25], s[4:5], s[20:21]
	s_load_b32 s23, s[24:25], 0x0
	s_wait_xcnt 0x0
	s_mov_b32 s24, -1
	s_wait_kmcnt 0x0
	s_cmp_eq_u32 s23, -1
	s_cbranch_scc1 .LBB6_18
; %bb.20:                               ;   in Loop: Header=BB6_19 Depth=1
	v_mad_u32 v0, s18, 25, v19
	s_add_nc_u64 s[24:25], s[12:13], s[20:21]
	ds_load_b32 v2, v13 offset:256
	s_load_b32 s24, s[24:25], 0x0
	global_load_b32 v1, v0, s[16:17] scale_offset
	s_wait_dscnt 0x0
	v_cmp_ge_i32_e32 vcc_lo, s22, v2
	s_wait_kmcnt 0x0
	s_sub_co_i32 s24, s24, s9
	s_delay_alu instid0(SALU_CYCLE_1) | instskip(SKIP_1) | instid1(SALU_CYCLE_1)
	s_cmp_le_i32 s24, s23
	s_cselect_b32 s25, -1, 0
	s_and_b32 s25, s25, vcc_lo
	s_delay_alu instid0(SALU_CYCLE_1)
	s_and_not1_b32 vcc_lo, exec_lo, s25
	s_mov_b32 s25, 0
	s_wait_loadcnt 0x0
	ds_store_b32 v16, v1
	s_cbranch_vccnz .LBB6_32
; %bb.21:                               ;   in Loop: Header=BB6_19 Depth=1
	s_mov_b32 s29, 0
	s_mov_b32 s30, 0
.LBB6_22:                               ;   Parent Loop BB6_19 Depth=1
                                        ; =>  This Inner Loop Header: Depth=2
	s_ashr_i32 s25, s24, 31
	s_lshl_b32 s31, s30, 2
	s_lshl_b64 s[34:35], s[24:25], 2
	v_mov_b32_e32 v1, s31
	s_add_nc_u64 s[34:35], s[14:15], s[34:35]
                                        ; implicit-def: $sgpr33
	s_load_b32 s25, s[34:35], 0x0
	s_wait_xcnt 0x0
	s_mov_b32 s35, -1
	ds_load_b32 v1, v1 offset:256
                                        ; implicit-def: $sgpr34
	s_wait_kmcnt 0x0
	s_sub_co_i32 s36, s25, s9
                                        ; implicit-def: $sgpr25
	s_wait_dscnt 0x0
	v_readfirstlane_b32 s31, v1
	v_cmp_ge_i32_e32 vcc_lo, s36, v1
	s_cbranch_vccz .LBB6_28
; %bb.23:                               ;   in Loop: Header=BB6_22 Depth=2
	s_cmp_le_i32 s36, s31
                                        ; implicit-def: $sgpr25
                                        ; implicit-def: $sgpr34
                                        ; implicit-def: $sgpr33
	s_cbranch_scc0 .LBB6_25
; %bb.24:                               ;   in Loop: Header=BB6_22 Depth=2
	s_add_co_i32 s25, s30, s27
	s_lshl_b32 s33, s29, 2
	s_mul_i32 s25, s25, 25
	s_delay_alu instid0(SALU_CYCLE_1)
	v_dual_mov_b32 v1, s33 :: v_dual_mov_b32 v2, s25
	s_mul_i32 s33, s24, 25
	s_add_co_i32 s34, s24, 1
	v_mov_b32_e32 v3, s33
	s_add_co_i32 s33, s30, 1
	s_add_co_i32 s25, s29, 1
	s_mov_b32 s35, 0
	ds_store_2addr_b32 v1, v3, v2 offset1:32
.LBB6_25:                               ;   in Loop: Header=BB6_22 Depth=2
	s_and_not1_b32 vcc_lo, exec_lo, s35
	s_cbranch_vccnz .LBB6_27
; %bb.26:                               ;   in Loop: Header=BB6_22 Depth=2
	s_add_co_i32 s33, s30, 1
	s_mov_b32 s25, s29
	s_mov_b32 s34, s24
.LBB6_27:                               ;   in Loop: Header=BB6_22 Depth=2
	s_mov_b32 s35, 0
.LBB6_28:                               ;   in Loop: Header=BB6_22 Depth=2
	s_delay_alu instid0(SALU_CYCLE_1)
	s_and_not1_b32 vcc_lo, exec_lo, s35
	s_cbranch_vccnz .LBB6_30
; %bb.29:                               ;   in Loop: Header=BB6_22 Depth=2
	s_add_co_i32 s34, s24, 1
	s_mov_b32 s33, s30
	s_mov_b32 s25, s29
.LBB6_30:                               ;   in Loop: Header=BB6_22 Depth=2
	s_cmp_le_i32 s34, s23
	s_cselect_b32 s24, -1, 0
	s_cmp_le_i32 s31, s22
	s_cselect_b32 s29, -1, 0
	s_delay_alu instid0(SALU_CYCLE_1) | instskip(NEXT) | instid1(SALU_CYCLE_1)
	s_and_b32 s24, s24, s29
	s_and_b32 vcc_lo, exec_lo, s24
	s_cbranch_vccz .LBB6_32
; %bb.31:                               ;   in Loop: Header=BB6_22 Depth=2
	s_mov_b32 s29, s25
	s_mov_b32 s24, s34
	;; [unrolled: 1-line block ×3, first 2 shown]
	s_branch .LBB6_22
.LBB6_32:                               ;   in Loop: Header=BB6_19 Depth=1
	v_ashrrev_i32_e32 v1, 31, v0
	s_add_nc_u64 s[20:21], s[6:7], s[20:21]
	s_wait_dscnt 0x0
	s_wait_xcnt 0x0
	s_delay_alu instid0(VALU_DEP_1)
	v_lshl_add_u64 v[0:1], v[0:1], 2, s[16:17]
.LBB6_33:                               ;   Parent Loop BB6_19 Depth=1
                                        ; =>  This Inner Loop Header: Depth=2
	global_load_b32 v2, v13, s[20:21] scope:SCOPE_DEV
	s_wait_loadcnt 0x0
	v_cmp_eq_u32_e32 vcc_lo, 0, v2
	s_cbranch_vccnz .LBB6_33
; %bb.34:                               ;   in Loop: Header=BB6_19 Depth=1
	v_mad_u32 v2, s23, 25, v19
	global_inv scope:SCOPE_DEV
	v_mov_b32_e32 v21, 0
	s_cmp_lt_i32 s25, 2
	global_load_b32 v2, v2, s[16:17] scale_offset
	s_wait_loadcnt 0x0
	ds_store_b32 v17, v2
	s_wait_dscnt 0x0
	s_cbranch_scc1 .LBB6_42
; %bb.35:                               ;   in Loop: Header=BB6_19 Depth=1
	v_mov_b32_e32 v20, 0
	s_add_co_i32 s20, s25, -1
	s_mov_b32 s21, 0
.LBB6_36:                               ;   Parent Loop BB6_19 Depth=1
                                        ; =>  This Inner Loop Header: Depth=2
	s_wait_dscnt 0x0
	v_mov_b32_e32 v2, s21
	s_and_b32 vcc_lo, exec_lo, s28
	s_mov_b32 s22, -1
                                        ; implicit-def: $vgpr21
	ds_load_2addr_b32 v[2:3], v2 offset1:32
	s_cbranch_vccz .LBB6_39
; %bb.37:                               ;   in Loop: Header=BB6_36 Depth=2
	s_wait_dscnt 0x0
	v_dual_add_nc_u32 v21, v2, v4 :: v_dual_add_nc_u32 v22, v3, v5
	s_clause 0x1
	global_load_b32 v25, v21, s[16:17] scale_offset
	global_load_b32 v26, v22, s[16:17] scale_offset
	v_dual_add_nc_u32 v23, 5, v21 :: v_dual_add_nc_u32 v24, 5, v22
	v_add_nc_u32_e32 v27, 10, v21
	s_clause 0x1
	global_load_b32 v28, v23, s[16:17] scale_offset
	global_load_b32 v29, v24, s[16:17] scale_offset
	s_wait_xcnt 0x0
	v_dual_add_nc_u32 v23, 10, v22 :: v_dual_add_nc_u32 v24, 15, v21
	v_add_nc_u32_e32 v30, 15, v22
	s_clause 0x3
	global_load_b32 v31, v27, s[16:17] scale_offset
	global_load_b32 v32, v23, s[16:17] scale_offset
	;; [unrolled: 1-line block ×4, first 2 shown]
	v_dual_add_nc_u32 v21, 20, v21 :: v_dual_add_nc_u32 v22, 20, v22
	s_clause 0x1
	global_load_b32 v23, v21, s[16:17] scale_offset
	global_load_b32 v24, v22, s[16:17] scale_offset
	s_wait_loadcnt 0x8
	s_wait_xcnt 0x1
	v_fma_f32 v21, v25, v26, v20
	s_wait_loadcnt 0x6
	s_delay_alu instid0(VALU_DEP_1) | instskip(SKIP_1) | instid1(VALU_DEP_1)
	v_fmac_f32_e32 v21, v28, v29
	s_wait_loadcnt 0x4
	v_fmac_f32_e32 v21, v31, v32
	s_wait_loadcnt 0x2
	s_delay_alu instid0(VALU_DEP_1) | instskip(SKIP_1) | instid1(VALU_DEP_1)
	v_fmac_f32_e32 v21, v33, v34
	s_wait_loadcnt 0x0
	v_fmac_f32_e32 v21, v23, v24
	s_cbranch_execz .LBB6_40
.LBB6_38:                               ;   in Loop: Header=BB6_36 Depth=2
	s_add_co_i32 s20, s20, -1
	s_add_co_i32 s21, s21, 4
	s_cmp_eq_u32 s20, 0
	s_cbranch_scc0 .LBB6_41
	s_branch .LBB6_42
.LBB6_39:                               ;   in Loop: Header=BB6_36 Depth=2
	s_and_not1_b32 vcc_lo, exec_lo, s22
	s_cbranch_vccnz .LBB6_38
.LBB6_40:                               ;   in Loop: Header=BB6_36 Depth=2
	s_wait_dscnt 0x0
	v_dual_add_nc_u32 v30, v3, v12 :: v_dual_add_nc_u32 v2, v2, v14
	s_delay_alu instid0(VALU_DEP_1) | instskip(NEXT) | instid1(VALU_DEP_2)
	v_ashrrev_i32_e32 v31, 31, v30
	v_ashrrev_i32_e32 v3, 31, v2
	s_delay_alu instid0(VALU_DEP_2) | instskip(NEXT) | instid1(VALU_DEP_2)
	v_lshl_add_u64 v[32:33], v[30:31], 2, s[16:17]
	v_lshl_add_u64 v[34:35], v[2:3], 2, s[16:17]
	s_clause 0x3
	global_load_b128 v[22:25], v[32:33], off
	global_load_b128 v[26:29], v[34:35], off
	global_load_b32 v3, v30, s[16:17] offset:16 scale_offset
	global_load_b32 v21, v2, s[16:17] offset:16 scale_offset
	s_wait_loadcnt 0x2
	v_fmac_f32_e32 v20, v26, v22
	s_delay_alu instid0(VALU_DEP_1) | instskip(NEXT) | instid1(VALU_DEP_1)
	v_fmac_f32_e32 v20, v27, v23
	v_fmac_f32_e32 v20, v28, v24
	s_delay_alu instid0(VALU_DEP_1) | instskip(SKIP_1) | instid1(VALU_DEP_1)
	v_fmac_f32_e32 v20, v29, v25
	s_wait_loadcnt 0x0
	v_fmac_f32_e32 v20, v21, v3
	s_delay_alu instid0(VALU_DEP_1)
	v_mov_b32_e32 v21, v20
	s_add_co_i32 s20, s20, -1
	s_add_co_i32 s21, s21, 4
	s_cmp_eq_u32 s20, 0
	s_cbranch_scc1 .LBB6_42
.LBB6_41:                               ;   in Loop: Header=BB6_36 Depth=2
	v_mov_b32_e32 v20, v21
	s_branch .LBB6_36
.LBB6_42:                               ;   in Loop: Header=BB6_19 Depth=1
	ds_store_b32 v18, v21
	s_wait_dscnt 0x0
	ds_load_b32 v3, v13 offset:384
	ds_load_b32 v2, v10
	s_wait_dscnt 0x1
	v_readfirstlane_b32 s20, v3
	s_cmp_neq_f32 s20, 0
	s_cselect_b32 vcc_lo, -1, 0
	v_cndmask_b32_e32 v3, 1.0, v3, vcc_lo
	s_nor_b32 s21, vcc_lo, s0
	s_delay_alu instid0(SALU_CYCLE_1)
	s_and_saveexec_b32 s20, s21
	s_cbranch_execz .LBB6_46
; %bb.43:                               ;   in Loop: Header=BB6_19 Depth=1
	v_mbcnt_lo_u32_b32 v3, exec_lo, 0
	s_mov_b32 s21, exec_lo
	s_delay_alu instid0(VALU_DEP_1)
	v_cmpx_eq_u32_e32 0, v3
	s_cbranch_execz .LBB6_45
; %bb.44:                               ;   in Loop: Header=BB6_19 Depth=1
	v_mov_b32_e32 v3, s19
	global_atomic_min_i32 v13, v3, s[10:11] scope:SCOPE_DEV
.LBB6_45:                               ;   in Loop: Header=BB6_19 Depth=1
	s_wait_xcnt 0x0
	s_or_b32 exec_lo, exec_lo, s21
	v_mov_b32_e32 v3, 1.0
.LBB6_46:                               ;   in Loop: Header=BB6_19 Depth=1
	s_or_b32 exec_lo, exec_lo, s20
	ds_load_b32 v20, v15
	s_wait_dscnt 0x0
	v_sub_f32_e32 v2, v2, v20
	s_delay_alu instid0(VALU_DEP_1) | instskip(SKIP_1) | instid1(VALU_DEP_2)
	v_div_scale_f32 v20, null, v3, v3, v2
	v_div_scale_f32 v23, vcc_lo, v2, v3, v2
	v_rcp_f32_e32 v21, v20
	v_nop
	s_delay_alu instid0(TRANS32_DEP_1) | instskip(NEXT) | instid1(VALU_DEP_1)
	v_fma_f32 v22, -v20, v21, 1.0
	v_fmac_f32_e32 v21, v22, v21
	s_delay_alu instid0(VALU_DEP_1) | instskip(NEXT) | instid1(VALU_DEP_1)
	v_mul_f32_e32 v22, v23, v21
	v_fma_f32 v24, -v20, v22, v23
	s_delay_alu instid0(VALU_DEP_1) | instskip(NEXT) | instid1(VALU_DEP_1)
	v_fmac_f32_e32 v22, v24, v21
	v_fma_f32 v20, -v20, v22, v23
	s_delay_alu instid0(VALU_DEP_1) | instskip(NEXT) | instid1(VALU_DEP_1)
	v_div_fmas_f32 v20, v20, v21, v22
	v_div_fixup_f32 v2, v20, v3, v2
	ds_store_b32 v10, v2
	s_wait_storecnt_dscnt 0x0
	ds_load_b32 v3, v9
	ds_load_b32 v20, v8
	s_wait_dscnt 0x0
	v_fmac_f32_e32 v20, v2, v3
	ds_store_b32 v8, v20
	s_wait_dscnt 0x0
	ds_load_b32 v3, v13 offset:412
	ds_load_b32 v2, v10 offset:4
	s_wait_dscnt 0x1
	v_readfirstlane_b32 s20, v3
	s_cmp_neq_f32 s20, 0
	s_cselect_b32 vcc_lo, -1, 0
	v_cndmask_b32_e32 v3, 1.0, v3, vcc_lo
	s_nor_b32 s21, vcc_lo, s0
	s_delay_alu instid0(SALU_CYCLE_1)
	s_and_saveexec_b32 s20, s21
	s_cbranch_execz .LBB6_50
; %bb.47:                               ;   in Loop: Header=BB6_19 Depth=1
	v_mbcnt_lo_u32_b32 v3, exec_lo, 0
	s_mov_b32 s21, exec_lo
	s_delay_alu instid0(VALU_DEP_1)
	v_cmpx_eq_u32_e32 0, v3
	s_cbranch_execz .LBB6_49
; %bb.48:                               ;   in Loop: Header=BB6_19 Depth=1
	v_mov_b32_e32 v3, s19
	global_atomic_min_i32 v13, v3, s[10:11] scope:SCOPE_DEV
.LBB6_49:                               ;   in Loop: Header=BB6_19 Depth=1
	s_wait_xcnt 0x0
	s_or_b32 exec_lo, exec_lo, s21
	v_mov_b32_e32 v3, 1.0
.LBB6_50:                               ;   in Loop: Header=BB6_19 Depth=1
	s_or_b32 exec_lo, exec_lo, s20
	ds_load_b32 v20, v13 offset:408
	ds_load_b32 v21, v10
	ds_load_b32 v22, v15 offset:4
	s_wait_dscnt 0x0
	v_fmac_f32_e32 v22, v20, v21
	s_delay_alu instid0(VALU_DEP_1) | instskip(NEXT) | instid1(VALU_DEP_1)
	v_sub_f32_e32 v2, v2, v22
	v_div_scale_f32 v20, null, v3, v3, v2
	v_div_scale_f32 v23, vcc_lo, v2, v3, v2
	s_delay_alu instid0(VALU_DEP_2) | instskip(SKIP_1) | instid1(TRANS32_DEP_1)
	v_rcp_f32_e32 v21, v20
	v_nop
	v_fma_f32 v22, -v20, v21, 1.0
	s_delay_alu instid0(VALU_DEP_1) | instskip(NEXT) | instid1(VALU_DEP_1)
	v_fmac_f32_e32 v21, v22, v21
	v_mul_f32_e32 v22, v23, v21
	s_delay_alu instid0(VALU_DEP_1) | instskip(NEXT) | instid1(VALU_DEP_1)
	v_fma_f32 v24, -v20, v22, v23
	v_fmac_f32_e32 v22, v24, v21
	s_delay_alu instid0(VALU_DEP_1) | instskip(NEXT) | instid1(VALU_DEP_1)
	v_fma_f32 v20, -v20, v22, v23
	v_div_fmas_f32 v20, v20, v21, v22
	s_delay_alu instid0(VALU_DEP_1)
	v_div_fixup_f32 v2, v20, v3, v2
	ds_store_b32 v10, v2 offset:4
	s_wait_storecnt_dscnt 0x0
	ds_load_b32 v3, v9 offset:4
	ds_load_b32 v20, v8
	s_wait_dscnt 0x0
	v_fmac_f32_e32 v20, v2, v3
	ds_store_b32 v8, v20
	s_wait_dscnt 0x0
	ds_load_b32 v3, v13 offset:440
	ds_load_b32 v2, v10 offset:8
	s_wait_dscnt 0x1
	v_readfirstlane_b32 s20, v3
	s_cmp_neq_f32 s20, 0
	s_cselect_b32 vcc_lo, -1, 0
	v_cndmask_b32_e32 v3, 1.0, v3, vcc_lo
	s_nor_b32 s21, vcc_lo, s0
	s_delay_alu instid0(SALU_CYCLE_1)
	s_and_saveexec_b32 s20, s21
	s_cbranch_execz .LBB6_54
; %bb.51:                               ;   in Loop: Header=BB6_19 Depth=1
	v_mbcnt_lo_u32_b32 v3, exec_lo, 0
	s_mov_b32 s21, exec_lo
	s_delay_alu instid0(VALU_DEP_1)
	v_cmpx_eq_u32_e32 0, v3
	s_cbranch_execz .LBB6_53
; %bb.52:                               ;   in Loop: Header=BB6_19 Depth=1
	v_mov_b32_e32 v3, s19
	global_atomic_min_i32 v13, v3, s[10:11] scope:SCOPE_DEV
.LBB6_53:                               ;   in Loop: Header=BB6_19 Depth=1
	s_wait_xcnt 0x0
	s_or_b32 exec_lo, exec_lo, s21
	v_mov_b32_e32 v3, 1.0
.LBB6_54:                               ;   in Loop: Header=BB6_19 Depth=1
	s_or_b32 exec_lo, exec_lo, s20
	ds_load_b64 v[20:21], v13 offset:432
	ds_load_b64 v[22:23], v10
	ds_load_b32 v24, v15 offset:8
	s_wait_dscnt 0x0
	v_fmac_f32_e32 v24, v20, v22
	s_delay_alu instid0(VALU_DEP_1) | instskip(NEXT) | instid1(VALU_DEP_1)
	v_fmac_f32_e32 v24, v21, v23
	v_sub_f32_e32 v2, v2, v24
	s_delay_alu instid0(VALU_DEP_1) | instskip(SKIP_1) | instid1(VALU_DEP_2)
	v_div_scale_f32 v20, null, v3, v3, v2
	v_div_scale_f32 v23, vcc_lo, v2, v3, v2
	v_rcp_f32_e32 v21, v20
	v_nop
	s_delay_alu instid0(TRANS32_DEP_1) | instskip(NEXT) | instid1(VALU_DEP_1)
	v_fma_f32 v22, -v20, v21, 1.0
	v_fmac_f32_e32 v21, v22, v21
	s_delay_alu instid0(VALU_DEP_1) | instskip(NEXT) | instid1(VALU_DEP_1)
	v_mul_f32_e32 v22, v23, v21
	v_fma_f32 v24, -v20, v22, v23
	s_delay_alu instid0(VALU_DEP_1) | instskip(NEXT) | instid1(VALU_DEP_1)
	v_fmac_f32_e32 v22, v24, v21
	v_fma_f32 v20, -v20, v22, v23
	s_delay_alu instid0(VALU_DEP_1) | instskip(NEXT) | instid1(VALU_DEP_1)
	v_div_fmas_f32 v20, v20, v21, v22
	v_div_fixup_f32 v2, v20, v3, v2
	ds_store_b32 v10, v2 offset:8
	s_wait_storecnt_dscnt 0x0
	ds_load_b32 v3, v9 offset:8
	ds_load_b32 v20, v8
	s_wait_dscnt 0x0
	v_fmac_f32_e32 v20, v2, v3
	ds_store_b32 v8, v20
	s_wait_dscnt 0x0
	ds_load_b32 v3, v13 offset:468
	ds_load_b32 v2, v10 offset:12
	s_wait_dscnt 0x1
	v_readfirstlane_b32 s20, v3
	s_cmp_neq_f32 s20, 0
	s_cselect_b32 vcc_lo, -1, 0
	v_cndmask_b32_e32 v3, 1.0, v3, vcc_lo
	s_nor_b32 s21, vcc_lo, s0
	s_delay_alu instid0(SALU_CYCLE_1)
	s_and_saveexec_b32 s20, s21
	s_cbranch_execz .LBB6_58
; %bb.55:                               ;   in Loop: Header=BB6_19 Depth=1
	v_mbcnt_lo_u32_b32 v3, exec_lo, 0
	s_mov_b32 s21, exec_lo
	s_delay_alu instid0(VALU_DEP_1)
	v_cmpx_eq_u32_e32 0, v3
	s_cbranch_execz .LBB6_57
; %bb.56:                               ;   in Loop: Header=BB6_19 Depth=1
	v_mov_b32_e32 v3, s19
	global_atomic_min_i32 v13, v3, s[10:11] scope:SCOPE_DEV
.LBB6_57:                               ;   in Loop: Header=BB6_19 Depth=1
	s_wait_xcnt 0x0
	s_or_b32 exec_lo, exec_lo, s21
	v_mov_b32_e32 v3, 1.0
.LBB6_58:                               ;   in Loop: Header=BB6_19 Depth=1
	s_or_b32 exec_lo, exec_lo, s20
	ds_load_b64 v[20:21], v13 offset:456
	ds_load_b32 v24, v13 offset:464
	ds_load_b64 v[22:23], v10
	ds_load_b32 v25, v15 offset:12
	ds_load_b32 v26, v10 offset:8
	s_wait_dscnt 0x1
	v_fmac_f32_e32 v25, v20, v22
	s_delay_alu instid0(VALU_DEP_1) | instskip(SKIP_1) | instid1(VALU_DEP_1)
	v_fmac_f32_e32 v25, v21, v23
	s_wait_dscnt 0x0
	v_fmac_f32_e32 v25, v24, v26
	s_delay_alu instid0(VALU_DEP_1) | instskip(NEXT) | instid1(VALU_DEP_1)
	v_sub_f32_e32 v2, v2, v25
	v_div_scale_f32 v20, null, v3, v3, v2
	v_div_scale_f32 v23, vcc_lo, v2, v3, v2
	s_delay_alu instid0(VALU_DEP_2) | instskip(SKIP_1) | instid1(TRANS32_DEP_1)
	v_rcp_f32_e32 v21, v20
	v_nop
	v_fma_f32 v22, -v20, v21, 1.0
	s_delay_alu instid0(VALU_DEP_1) | instskip(NEXT) | instid1(VALU_DEP_1)
	v_fmac_f32_e32 v21, v22, v21
	v_mul_f32_e32 v22, v23, v21
	s_delay_alu instid0(VALU_DEP_1) | instskip(NEXT) | instid1(VALU_DEP_1)
	v_fma_f32 v24, -v20, v22, v23
	v_fmac_f32_e32 v22, v24, v21
	s_delay_alu instid0(VALU_DEP_1) | instskip(NEXT) | instid1(VALU_DEP_1)
	v_fma_f32 v20, -v20, v22, v23
	v_div_fmas_f32 v20, v20, v21, v22
	s_delay_alu instid0(VALU_DEP_1)
	v_div_fixup_f32 v2, v20, v3, v2
	ds_store_b32 v10, v2 offset:12
	s_wait_storecnt_dscnt 0x0
	ds_load_b32 v3, v9 offset:12
	ds_load_b32 v20, v8
	s_wait_dscnt 0x0
	v_fmac_f32_e32 v20, v2, v3
	ds_store_b32 v8, v20
	s_wait_dscnt 0x0
	ds_load_b32 v3, v13 offset:496
	ds_load_b32 v2, v10 offset:16
	s_wait_dscnt 0x1
	v_readfirstlane_b32 s20, v3
	s_cmp_neq_f32 s20, 0
	s_cselect_b32 vcc_lo, -1, 0
	v_cndmask_b32_e32 v3, 1.0, v3, vcc_lo
	s_nor_b32 s21, vcc_lo, s0
	s_delay_alu instid0(SALU_CYCLE_1)
	s_and_saveexec_b32 s20, s21
	s_cbranch_execz .LBB6_17
; %bb.59:                               ;   in Loop: Header=BB6_19 Depth=1
	v_mbcnt_lo_u32_b32 v3, exec_lo, 0
	s_mov_b32 s21, exec_lo
	s_delay_alu instid0(VALU_DEP_1)
	v_cmpx_eq_u32_e32 0, v3
	s_cbranch_execz .LBB6_16
; %bb.60:                               ;   in Loop: Header=BB6_19 Depth=1
	v_mov_b32_e32 v3, s19
	global_atomic_min_i32 v13, v3, s[10:11] scope:SCOPE_DEV
	s_branch .LBB6_16
.LBB6_61:
	s_wait_xcnt 0x0
	v_mov_b32_e32 v0, v6
	s_wait_kmcnt 0x0
	s_cmp_lg_u32 s1, 0
	s_cselect_b32 s4, -1, 0
	s_cmp_eq_u32 s1, 0
	s_cbranch_scc1 .LBB6_63
; %bb.62:
	v_mad_u32_u24 v0, v4, 5, v5
.LBB6_63:
	s_mul_i32 s26, s26, 25
	s_mov_b32 s1, exec_lo
	s_delay_alu instid0(VALU_DEP_1)
	v_add_nc_u32_e32 v0, s26, v0
	v_cmp_ne_u32_e32 vcc_lo, 0, v5
	global_load_b32 v1, v0, s[16:17] scale_offset
	s_wait_xcnt 0x0
	v_lshl_add_u32 v0, v4, 2, v10
	s_wait_loadcnt 0x0
	ds_store_b32 v0, v1
	s_wait_dscnt 0x0
	v_cmpx_eq_u32_e32 0, v5
	s_cbranch_execz .LBB6_65
; %bb.64:
	v_mov_b32_e32 v1, 0
	ds_load_2addr_b32 v[2:3], v1 offset0:160 offset1:192
	s_wait_dscnt 0x0
	v_readfirstlane_b32 s0, v2
	v_readfirstlane_b32 s5, v3
	s_sub_f32 s0, s0, s5
	s_delay_alu instid0(SALU_CYCLE_3) | instskip(SKIP_2) | instid1(SALU_CYCLE_1)
	s_xor_b32 s5, s0, 0x80000000
	s_cmp_lt_f32 s0, 0
	s_cselect_b32 s0, s5, s0
	s_mul_f32 s5, s0, 0x4f800000
	s_cmp_lt_f32 s0, 0xf800000
	s_delay_alu instid0(SALU_CYCLE_2) | instskip(NEXT) | instid1(SALU_CYCLE_1)
	s_cselect_b32 s5, s5, s0
	v_s_sqrt_f32 s12, s5
	s_mov_b32 s14, s5
	s_delay_alu instid0(TRANS32_DEP_1) | instskip(NEXT) | instid1(SALU_CYCLE_1)
	s_add_co_i32 s13, s12, -1
	s_xor_b32 s15, s13, 0x80000000
	s_delay_alu instid0(SALU_CYCLE_1) | instskip(SKIP_1) | instid1(SALU_CYCLE_2)
	s_fmac_f32 s14, s15, s12
	s_mov_b32 s15, s5
	s_cmp_le_f32 s14, 0
	s_cselect_b32 s13, s13, s12
	s_add_co_i32 s14, s12, 1
	s_delay_alu instid0(SALU_CYCLE_1) | instskip(NEXT) | instid1(SALU_CYCLE_1)
	s_xor_b32 s18, s14, 0x80000000
	s_fmac_f32 s15, s18, s12
	s_delay_alu instid0(SALU_CYCLE_3) | instskip(SKIP_4) | instid1(SALU_CYCLE_2)
	s_cmp_gt_f32 s15, 0
	s_cselect_b32 s12, s14, s13
	s_cmp_lt_f32 s0, 0xf800000
	s_mul_f32 s0, s12, 0x37800000
	v_cmp_class_f32_e64 s13, s5, 0x260
	s_cselect_b32 s0, s0, s12
	s_and_b32 s12, s13, exec_lo
	s_cselect_b32 s0, s5, s0
	s_delay_alu instid0(SALU_CYCLE_1)
	v_mov_b32_e32 v2, s0
	ds_store_b32 v1, v2 offset:640
.LBB6_65:
	s_or_b32 exec_lo, exec_lo, s1
	v_mov_b32_e32 v1, 0
	s_wait_dscnt 0x0
	s_add_co_i32 s5, s8, s9
	ds_load_b32 v2, v1 offset:640
	v_or_b32_e32 v1, v4, v5
	s_wait_dscnt 0x0
	v_readfirstlane_b32 s0, v2
	s_cmp_neq_f32 s0, 0
	v_cmp_ne_u32_e64 s0, 0, v1
	s_cselect_b32 s1, -1, 0
	s_delay_alu instid0(SALU_CYCLE_1) | instskip(SKIP_1) | instid1(SALU_CYCLE_1)
	v_cndmask_b32_e64 v2, 1.0, v2, s1
	s_nor_b32 s1, s1, s0
	s_and_saveexec_b32 s12, s1
	s_cbranch_execz .LBB6_69
; %bb.66:
	v_mbcnt_lo_u32_b32 v2, exec_lo, 0
	s_mov_b32 s13, exec_lo
	s_delay_alu instid0(VALU_DEP_1)
	v_cmpx_eq_u32_e32 0, v2
	s_cbranch_execz .LBB6_68
; %bb.67:
	v_dual_mov_b32 v2, 0 :: v_dual_mov_b32 v3, s5
	global_atomic_min_i32 v2, v3, s[10:11] scope:SCOPE_DEV
.LBB6_68:
	s_wait_xcnt 0x0
	s_or_b32 exec_lo, exec_lo, s13
	v_mov_b32_e32 v2, 1.0
.LBB6_69:
	s_or_b32 exec_lo, exec_lo, s12
	s_and_saveexec_b32 s1, vcc_lo
	s_cbranch_execz .LBB6_71
; %bb.70:
	ds_load_b32 v3, v10
	ds_load_b32 v12, v11
	s_wait_dscnt 0x0
	v_sub_f32_e32 v3, v3, v12
	s_delay_alu instid0(VALU_DEP_1) | instskip(NEXT) | instid1(VALU_DEP_1)
	v_div_scale_f32 v12, null, v2, v2, v3
	v_rcp_f32_e32 v13, v12
	v_nop
	s_delay_alu instid0(TRANS32_DEP_1) | instskip(NEXT) | instid1(VALU_DEP_1)
	v_fma_f32 v14, -v12, v13, 1.0
	v_fmac_f32_e32 v13, v14, v13
	v_div_scale_f32 v15, vcc_lo, v3, v2, v3
	s_delay_alu instid0(VALU_DEP_1) | instskip(NEXT) | instid1(VALU_DEP_1)
	v_mul_f32_e32 v14, v15, v13
	v_fma_f32 v16, -v12, v14, v15
	s_delay_alu instid0(VALU_DEP_1) | instskip(NEXT) | instid1(VALU_DEP_1)
	v_fmac_f32_e32 v14, v16, v13
	v_fma_f32 v12, -v12, v14, v15
	s_delay_alu instid0(VALU_DEP_1) | instskip(NEXT) | instid1(VALU_DEP_1)
	v_div_fmas_f32 v12, v12, v13, v14
	v_div_fixup_f32 v2, v12, v2, v3
	ds_store_b32 v10, v2
	s_wait_storecnt_dscnt 0x0
	ds_load_b32 v3, v9
	ds_load_b32 v12, v8
	s_wait_dscnt 0x0
	v_fmac_f32_e32 v12, v2, v3
	ds_store_b32 v8, v12
.LBB6_71:
	s_or_b32 exec_lo, exec_lo, s1
	s_delay_alu instid0(SALU_CYCLE_1)
	s_mov_b32 s1, exec_lo
	s_wait_storecnt_dscnt 0x0
	v_cmpx_eq_u32_e32 1, v5
	s_cbranch_execz .LBB6_73
; %bb.72:
	v_mov_b32_e32 v12, 0
	ds_load_2addr_b32 v[2:3], v12 offset0:167 offset1:199
	s_wait_dscnt 0x0
	v_readfirstlane_b32 s12, v2
	v_readfirstlane_b32 s13, v3
	s_sub_f32 s12, s12, s13
	s_delay_alu instid0(SALU_CYCLE_3) | instskip(SKIP_2) | instid1(SALU_CYCLE_1)
	s_xor_b32 s13, s12, 0x80000000
	s_cmp_lt_f32 s12, 0
	s_cselect_b32 s12, s13, s12
	s_mul_f32 s13, s12, 0x4f800000
	s_cmp_lt_f32 s12, 0xf800000
	s_delay_alu instid0(SALU_CYCLE_2) | instskip(NEXT) | instid1(SALU_CYCLE_1)
	s_cselect_b32 s13, s13, s12
	v_s_sqrt_f32 s14, s13
	s_mov_b32 s18, s13
	s_delay_alu instid0(TRANS32_DEP_1) | instskip(NEXT) | instid1(SALU_CYCLE_1)
	s_add_co_i32 s15, s14, -1
	s_xor_b32 s19, s15, 0x80000000
	s_delay_alu instid0(SALU_CYCLE_1) | instskip(SKIP_1) | instid1(SALU_CYCLE_2)
	s_fmac_f32 s18, s19, s14
	s_mov_b32 s19, s13
	s_cmp_le_f32 s18, 0
	s_cselect_b32 s15, s15, s14
	s_add_co_i32 s18, s14, 1
	s_delay_alu instid0(SALU_CYCLE_1) | instskip(NEXT) | instid1(SALU_CYCLE_1)
	s_xor_b32 s20, s18, 0x80000000
	s_fmac_f32 s19, s20, s14
	s_delay_alu instid0(SALU_CYCLE_3) | instskip(SKIP_4) | instid1(SALU_CYCLE_2)
	s_cmp_gt_f32 s19, 0
	s_cselect_b32 s14, s18, s15
	s_cmp_lt_f32 s12, 0xf800000
	s_mul_f32 s12, s14, 0x37800000
	v_cmp_class_f32_e64 s15, s13, 0x260
	s_cselect_b32 s12, s12, s14
	s_and_b32 s14, s15, exec_lo
	s_cselect_b32 s12, s13, s12
	s_delay_alu instid0(SALU_CYCLE_1)
	v_mov_b32_e32 v2, s12
	ds_store_b32 v12, v2 offset:668
.LBB6_73:
	s_or_b32 exec_lo, exec_lo, s1
	v_mov_b32_e32 v2, 0
	s_wait_dscnt 0x0
	ds_load_b32 v2, v2 offset:668
	s_wait_dscnt 0x0
	v_readfirstlane_b32 s1, v2
	s_cmp_neq_f32 s1, 0
	s_cselect_b32 vcc_lo, -1, 0
	v_cndmask_b32_e32 v2, 1.0, v2, vcc_lo
	s_nor_b32 s12, vcc_lo, s0
	s_delay_alu instid0(SALU_CYCLE_1)
	s_and_saveexec_b32 s1, s12
	s_cbranch_execz .LBB6_77
; %bb.74:
	v_mbcnt_lo_u32_b32 v2, exec_lo, 0
	s_mov_b32 s12, exec_lo
	s_delay_alu instid0(VALU_DEP_1)
	v_cmpx_eq_u32_e32 0, v2
	s_cbranch_execz .LBB6_76
; %bb.75:
	v_dual_mov_b32 v2, 0 :: v_dual_mov_b32 v3, s5
	global_atomic_min_i32 v2, v3, s[10:11] scope:SCOPE_DEV
.LBB6_76:
	s_wait_xcnt 0x0
	s_or_b32 exec_lo, exec_lo, s12
	v_mov_b32_e32 v2, 1.0
.LBB6_77:
	s_or_b32 exec_lo, exec_lo, s1
	s_delay_alu instid0(SALU_CYCLE_1)
	s_mov_b32 s1, exec_lo
	v_cmpx_lt_u32_e32 1, v5
	s_cbranch_execz .LBB6_79
; %bb.78:
	ds_load_b32 v3, v10 offset:4
	ds_load_b32 v12, v11 offset:4
	s_wait_dscnt 0x0
	v_sub_f32_e32 v3, v3, v12
	s_delay_alu instid0(VALU_DEP_1) | instskip(NEXT) | instid1(VALU_DEP_1)
	v_div_scale_f32 v12, null, v2, v2, v3
	v_rcp_f32_e32 v13, v12
	v_nop
	s_delay_alu instid0(TRANS32_DEP_1) | instskip(NEXT) | instid1(VALU_DEP_1)
	v_fma_f32 v14, -v12, v13, 1.0
	v_fmac_f32_e32 v13, v14, v13
	v_div_scale_f32 v15, vcc_lo, v3, v2, v3
	s_delay_alu instid0(VALU_DEP_1) | instskip(NEXT) | instid1(VALU_DEP_1)
	v_mul_f32_e32 v14, v15, v13
	v_fma_f32 v16, -v12, v14, v15
	s_delay_alu instid0(VALU_DEP_1) | instskip(NEXT) | instid1(VALU_DEP_1)
	v_fmac_f32_e32 v14, v16, v13
	v_fma_f32 v12, -v12, v14, v15
	s_delay_alu instid0(VALU_DEP_1) | instskip(NEXT) | instid1(VALU_DEP_1)
	v_div_fmas_f32 v12, v12, v13, v14
	v_div_fixup_f32 v2, v12, v2, v3
	ds_store_b32 v10, v2 offset:4
	s_wait_storecnt_dscnt 0x0
	ds_load_b32 v3, v9 offset:4
	ds_load_b32 v12, v8
	s_wait_dscnt 0x0
	v_fmac_f32_e32 v12, v2, v3
	ds_store_b32 v8, v12
.LBB6_79:
	s_or_b32 exec_lo, exec_lo, s1
	s_delay_alu instid0(SALU_CYCLE_1)
	s_mov_b32 s1, exec_lo
	s_wait_storecnt_dscnt 0x0
	v_cmpx_eq_u32_e32 2, v5
	s_cbranch_execz .LBB6_81
; %bb.80:
	v_mov_b32_e32 v12, 0
	ds_load_2addr_b32 v[2:3], v12 offset0:174 offset1:206
	s_wait_dscnt 0x0
	v_readfirstlane_b32 s12, v2
	v_readfirstlane_b32 s13, v3
	s_sub_f32 s12, s12, s13
	s_delay_alu instid0(SALU_CYCLE_3) | instskip(SKIP_2) | instid1(SALU_CYCLE_1)
	s_xor_b32 s13, s12, 0x80000000
	s_cmp_lt_f32 s12, 0
	s_cselect_b32 s12, s13, s12
	s_mul_f32 s13, s12, 0x4f800000
	s_cmp_lt_f32 s12, 0xf800000
	s_delay_alu instid0(SALU_CYCLE_2) | instskip(NEXT) | instid1(SALU_CYCLE_1)
	s_cselect_b32 s13, s13, s12
	v_s_sqrt_f32 s14, s13
	s_mov_b32 s18, s13
	s_delay_alu instid0(TRANS32_DEP_1) | instskip(NEXT) | instid1(SALU_CYCLE_1)
	s_add_co_i32 s15, s14, -1
	s_xor_b32 s19, s15, 0x80000000
	s_delay_alu instid0(SALU_CYCLE_1) | instskip(SKIP_1) | instid1(SALU_CYCLE_2)
	s_fmac_f32 s18, s19, s14
	s_mov_b32 s19, s13
	s_cmp_le_f32 s18, 0
	s_cselect_b32 s15, s15, s14
	s_add_co_i32 s18, s14, 1
	s_delay_alu instid0(SALU_CYCLE_1) | instskip(NEXT) | instid1(SALU_CYCLE_1)
	s_xor_b32 s20, s18, 0x80000000
	s_fmac_f32 s19, s20, s14
	s_delay_alu instid0(SALU_CYCLE_3) | instskip(SKIP_4) | instid1(SALU_CYCLE_2)
	s_cmp_gt_f32 s19, 0
	s_cselect_b32 s14, s18, s15
	s_cmp_lt_f32 s12, 0xf800000
	s_mul_f32 s12, s14, 0x37800000
	v_cmp_class_f32_e64 s15, s13, 0x260
	s_cselect_b32 s12, s12, s14
	s_and_b32 s14, s15, exec_lo
	s_cselect_b32 s12, s13, s12
	s_delay_alu instid0(SALU_CYCLE_1)
	v_mov_b32_e32 v2, s12
	ds_store_b32 v12, v2 offset:696
.LBB6_81:
	s_or_b32 exec_lo, exec_lo, s1
	v_mov_b32_e32 v2, 0
	s_wait_dscnt 0x0
	ds_load_b32 v2, v2 offset:696
	s_wait_dscnt 0x0
	v_readfirstlane_b32 s1, v2
	s_cmp_neq_f32 s1, 0
	s_cselect_b32 vcc_lo, -1, 0
	v_cndmask_b32_e32 v2, 1.0, v2, vcc_lo
	s_nor_b32 s12, vcc_lo, s0
	s_delay_alu instid0(SALU_CYCLE_1)
	s_and_saveexec_b32 s1, s12
	s_cbranch_execz .LBB6_85
; %bb.82:
	v_mbcnt_lo_u32_b32 v2, exec_lo, 0
	s_mov_b32 s12, exec_lo
	s_delay_alu instid0(VALU_DEP_1)
	v_cmpx_eq_u32_e32 0, v2
	s_cbranch_execz .LBB6_84
; %bb.83:
	v_dual_mov_b32 v2, 0 :: v_dual_mov_b32 v3, s5
	global_atomic_min_i32 v2, v3, s[10:11] scope:SCOPE_DEV
.LBB6_84:
	s_wait_xcnt 0x0
	s_or_b32 exec_lo, exec_lo, s12
	v_mov_b32_e32 v2, 1.0
.LBB6_85:
	s_or_b32 exec_lo, exec_lo, s1
	s_delay_alu instid0(SALU_CYCLE_1)
	s_mov_b32 s1, exec_lo
	v_cmpx_lt_u32_e32 2, v5
	s_cbranch_execz .LBB6_87
; %bb.86:
	ds_load_b32 v3, v10 offset:8
	ds_load_b32 v12, v11 offset:8
	s_wait_dscnt 0x0
	v_sub_f32_e32 v3, v3, v12
	s_delay_alu instid0(VALU_DEP_1) | instskip(NEXT) | instid1(VALU_DEP_1)
	v_div_scale_f32 v12, null, v2, v2, v3
	v_rcp_f32_e32 v13, v12
	v_nop
	s_delay_alu instid0(TRANS32_DEP_1) | instskip(NEXT) | instid1(VALU_DEP_1)
	v_fma_f32 v14, -v12, v13, 1.0
	v_fmac_f32_e32 v13, v14, v13
	v_div_scale_f32 v15, vcc_lo, v3, v2, v3
	s_delay_alu instid0(VALU_DEP_1) | instskip(NEXT) | instid1(VALU_DEP_1)
	v_mul_f32_e32 v14, v15, v13
	v_fma_f32 v16, -v12, v14, v15
	s_delay_alu instid0(VALU_DEP_1) | instskip(NEXT) | instid1(VALU_DEP_1)
	v_fmac_f32_e32 v14, v16, v13
	v_fma_f32 v12, -v12, v14, v15
	s_delay_alu instid0(VALU_DEP_1) | instskip(NEXT) | instid1(VALU_DEP_1)
	v_div_fmas_f32 v12, v12, v13, v14
	v_div_fixup_f32 v2, v12, v2, v3
	ds_store_b32 v10, v2 offset:8
	s_wait_storecnt_dscnt 0x0
	ds_load_b32 v3, v9 offset:8
	ds_load_b32 v12, v8
	s_wait_dscnt 0x0
	v_fmac_f32_e32 v12, v2, v3
	ds_store_b32 v8, v12
.LBB6_87:
	s_or_b32 exec_lo, exec_lo, s1
	s_delay_alu instid0(SALU_CYCLE_1)
	s_mov_b32 s1, exec_lo
	s_wait_storecnt_dscnt 0x0
	v_cmpx_eq_u32_e32 3, v5
	s_cbranch_execz .LBB6_89
; %bb.88:
	v_mov_b32_e32 v12, 0
	ds_load_2addr_b32 v[2:3], v12 offset0:181 offset1:213
	s_wait_dscnt 0x0
	v_readfirstlane_b32 s12, v2
	v_readfirstlane_b32 s13, v3
	s_sub_f32 s12, s12, s13
	s_delay_alu instid0(SALU_CYCLE_3) | instskip(SKIP_2) | instid1(SALU_CYCLE_1)
	s_xor_b32 s13, s12, 0x80000000
	s_cmp_lt_f32 s12, 0
	s_cselect_b32 s12, s13, s12
	s_mul_f32 s13, s12, 0x4f800000
	s_cmp_lt_f32 s12, 0xf800000
	s_delay_alu instid0(SALU_CYCLE_2) | instskip(NEXT) | instid1(SALU_CYCLE_1)
	s_cselect_b32 s13, s13, s12
	v_s_sqrt_f32 s14, s13
	s_mov_b32 s18, s13
	s_delay_alu instid0(TRANS32_DEP_1) | instskip(NEXT) | instid1(SALU_CYCLE_1)
	s_add_co_i32 s15, s14, -1
	s_xor_b32 s19, s15, 0x80000000
	s_delay_alu instid0(SALU_CYCLE_1) | instskip(SKIP_1) | instid1(SALU_CYCLE_2)
	s_fmac_f32 s18, s19, s14
	s_mov_b32 s19, s13
	s_cmp_le_f32 s18, 0
	s_cselect_b32 s15, s15, s14
	s_add_co_i32 s18, s14, 1
	s_delay_alu instid0(SALU_CYCLE_1) | instskip(NEXT) | instid1(SALU_CYCLE_1)
	s_xor_b32 s20, s18, 0x80000000
	s_fmac_f32 s19, s20, s14
	s_delay_alu instid0(SALU_CYCLE_3) | instskip(SKIP_4) | instid1(SALU_CYCLE_2)
	s_cmp_gt_f32 s19, 0
	s_cselect_b32 s14, s18, s15
	s_cmp_lt_f32 s12, 0xf800000
	s_mul_f32 s12, s14, 0x37800000
	v_cmp_class_f32_e64 s15, s13, 0x260
	s_cselect_b32 s12, s12, s14
	s_and_b32 s14, s15, exec_lo
	s_cselect_b32 s12, s13, s12
	s_delay_alu instid0(SALU_CYCLE_1)
	v_mov_b32_e32 v2, s12
	ds_store_b32 v12, v2 offset:724
.LBB6_89:
	s_or_b32 exec_lo, exec_lo, s1
	v_mov_b32_e32 v2, 0
	s_wait_dscnt 0x0
	ds_load_b32 v2, v2 offset:724
	s_wait_dscnt 0x0
	v_readfirstlane_b32 s1, v2
	s_cmp_neq_f32 s1, 0
	s_cselect_b32 vcc_lo, -1, 0
	v_cndmask_b32_e32 v2, 1.0, v2, vcc_lo
	s_nor_b32 s12, vcc_lo, s0
	s_delay_alu instid0(SALU_CYCLE_1)
	s_and_saveexec_b32 s1, s12
	s_cbranch_execz .LBB6_93
; %bb.90:
	v_mbcnt_lo_u32_b32 v2, exec_lo, 0
	s_mov_b32 s12, exec_lo
	s_delay_alu instid0(VALU_DEP_1)
	v_cmpx_eq_u32_e32 0, v2
	s_cbranch_execz .LBB6_92
; %bb.91:
	v_dual_mov_b32 v2, 0 :: v_dual_mov_b32 v3, s5
	global_atomic_min_i32 v2, v3, s[10:11] scope:SCOPE_DEV
.LBB6_92:
	s_wait_xcnt 0x0
	s_or_b32 exec_lo, exec_lo, s12
	v_mov_b32_e32 v2, 1.0
.LBB6_93:
	s_or_b32 exec_lo, exec_lo, s1
	s_delay_alu instid0(SALU_CYCLE_1)
	s_mov_b32 s1, exec_lo
	v_cmpx_lt_u32_e32 3, v5
	s_cbranch_execz .LBB6_95
; %bb.94:
	ds_load_b32 v3, v10 offset:12
	ds_load_b32 v12, v11 offset:12
	s_wait_dscnt 0x0
	v_sub_f32_e32 v3, v3, v12
	s_delay_alu instid0(VALU_DEP_1) | instskip(NEXT) | instid1(VALU_DEP_1)
	v_div_scale_f32 v12, null, v2, v2, v3
	v_rcp_f32_e32 v13, v12
	v_nop
	s_delay_alu instid0(TRANS32_DEP_1) | instskip(NEXT) | instid1(VALU_DEP_1)
	v_fma_f32 v14, -v12, v13, 1.0
	v_fmac_f32_e32 v13, v14, v13
	v_div_scale_f32 v15, vcc_lo, v3, v2, v3
	s_delay_alu instid0(VALU_DEP_1) | instskip(NEXT) | instid1(VALU_DEP_1)
	v_mul_f32_e32 v14, v15, v13
	v_fma_f32 v16, -v12, v14, v15
	s_delay_alu instid0(VALU_DEP_1) | instskip(NEXT) | instid1(VALU_DEP_1)
	v_fmac_f32_e32 v14, v16, v13
	v_fma_f32 v12, -v12, v14, v15
	s_delay_alu instid0(VALU_DEP_1) | instskip(NEXT) | instid1(VALU_DEP_1)
	v_div_fmas_f32 v12, v12, v13, v14
	v_div_fixup_f32 v2, v12, v2, v3
	ds_store_b32 v10, v2 offset:12
	s_wait_storecnt_dscnt 0x0
	ds_load_b32 v3, v9 offset:12
	ds_load_b32 v12, v8
	s_wait_dscnt 0x0
	v_fmac_f32_e32 v12, v2, v3
	ds_store_b32 v8, v12
.LBB6_95:
	s_or_b32 exec_lo, exec_lo, s1
	s_delay_alu instid0(SALU_CYCLE_1)
	s_mov_b32 s1, exec_lo
	s_wait_storecnt_dscnt 0x0
	v_cmpx_eq_u32_e32 4, v5
	s_cbranch_execz .LBB6_97
; %bb.96:
	v_mov_b32_e32 v12, 0
	ds_load_2addr_b32 v[2:3], v12 offset0:188 offset1:220
	s_wait_dscnt 0x0
	v_readfirstlane_b32 s12, v2
	v_readfirstlane_b32 s13, v3
	s_sub_f32 s12, s12, s13
	s_delay_alu instid0(SALU_CYCLE_3) | instskip(SKIP_2) | instid1(SALU_CYCLE_1)
	s_xor_b32 s13, s12, 0x80000000
	s_cmp_lt_f32 s12, 0
	s_cselect_b32 s12, s13, s12
	s_mul_f32 s13, s12, 0x4f800000
	s_cmp_lt_f32 s12, 0xf800000
	s_delay_alu instid0(SALU_CYCLE_2) | instskip(NEXT) | instid1(SALU_CYCLE_1)
	s_cselect_b32 s13, s13, s12
	v_s_sqrt_f32 s14, s13
	s_mov_b32 s18, s13
	s_delay_alu instid0(TRANS32_DEP_1) | instskip(NEXT) | instid1(SALU_CYCLE_1)
	s_add_co_i32 s15, s14, -1
	s_xor_b32 s19, s15, 0x80000000
	s_delay_alu instid0(SALU_CYCLE_1) | instskip(SKIP_1) | instid1(SALU_CYCLE_2)
	s_fmac_f32 s18, s19, s14
	s_mov_b32 s19, s13
	s_cmp_le_f32 s18, 0
	s_cselect_b32 s15, s15, s14
	s_add_co_i32 s18, s14, 1
	s_delay_alu instid0(SALU_CYCLE_1) | instskip(NEXT) | instid1(SALU_CYCLE_1)
	s_xor_b32 s20, s18, 0x80000000
	s_fmac_f32 s19, s20, s14
	s_delay_alu instid0(SALU_CYCLE_3) | instskip(SKIP_4) | instid1(SALU_CYCLE_2)
	s_cmp_gt_f32 s19, 0
	s_cselect_b32 s14, s18, s15
	s_cmp_lt_f32 s12, 0xf800000
	s_mul_f32 s12, s14, 0x37800000
	v_cmp_class_f32_e64 s15, s13, 0x260
	s_cselect_b32 s12, s12, s14
	s_and_b32 s14, s15, exec_lo
	s_cselect_b32 s12, s13, s12
	s_delay_alu instid0(SALU_CYCLE_1)
	v_mov_b32_e32 v2, s12
	ds_store_b32 v12, v2 offset:752
.LBB6_97:
	s_or_b32 exec_lo, exec_lo, s1
	v_mov_b32_e32 v2, 0
	s_wait_dscnt 0x0
	ds_load_b32 v2, v2 offset:752
	s_wait_dscnt 0x0
	v_readfirstlane_b32 s1, v2
	s_cmp_neq_f32 s1, 0
	s_cselect_b32 vcc_lo, -1, 0
	v_cndmask_b32_e32 v2, 1.0, v2, vcc_lo
	s_nor_b32 s1, vcc_lo, s0
	s_delay_alu instid0(SALU_CYCLE_1)
	s_and_saveexec_b32 s0, s1
	s_cbranch_execz .LBB6_101
; %bb.98:
	v_mbcnt_lo_u32_b32 v2, exec_lo, 0
	s_mov_b32 s1, exec_lo
	s_delay_alu instid0(VALU_DEP_1)
	v_cmpx_eq_u32_e32 0, v2
	s_cbranch_execz .LBB6_100
; %bb.99:
	v_dual_mov_b32 v2, 0 :: v_dual_mov_b32 v3, s5
	global_atomic_min_i32 v2, v3, s[10:11] scope:SCOPE_DEV
.LBB6_100:
	s_wait_xcnt 0x0
	s_or_b32 exec_lo, exec_lo, s1
	v_mov_b32_e32 v2, 1.0
.LBB6_101:
	s_or_b32 exec_lo, exec_lo, s0
	s_delay_alu instid0(SALU_CYCLE_1)
	s_mov_b32 s0, exec_lo
	v_cmpx_lt_u32_e32 4, v5
	s_cbranch_execz .LBB6_103
; %bb.102:
	ds_load_b32 v3, v10 offset:16
	ds_load_b32 v11, v11 offset:16
	s_wait_dscnt 0x0
	v_sub_f32_e32 v3, v3, v11
	s_delay_alu instid0(VALU_DEP_1) | instskip(NEXT) | instid1(VALU_DEP_1)
	v_div_scale_f32 v11, null, v2, v2, v3
	v_rcp_f32_e32 v12, v11
	v_nop
	s_delay_alu instid0(TRANS32_DEP_1) | instskip(NEXT) | instid1(VALU_DEP_1)
	v_fma_f32 v13, -v11, v12, 1.0
	v_fmac_f32_e32 v12, v13, v12
	v_div_scale_f32 v14, vcc_lo, v3, v2, v3
	s_delay_alu instid0(VALU_DEP_1) | instskip(NEXT) | instid1(VALU_DEP_1)
	v_mul_f32_e32 v13, v14, v12
	v_fma_f32 v15, -v11, v13, v14
	s_delay_alu instid0(VALU_DEP_1) | instskip(NEXT) | instid1(VALU_DEP_1)
	v_fmac_f32_e32 v13, v15, v12
	v_fma_f32 v11, -v11, v13, v14
	s_delay_alu instid0(VALU_DEP_1) | instskip(NEXT) | instid1(VALU_DEP_1)
	v_div_fmas_f32 v11, v11, v12, v13
	v_div_fixup_f32 v2, v11, v2, v3
	ds_store_b32 v10, v2 offset:16
	s_wait_storecnt_dscnt 0x0
	ds_load_b32 v3, v9 offset:16
	ds_load_b32 v9, v8
	s_wait_dscnt 0x0
	v_fmac_f32_e32 v9, v2, v3
	ds_store_b32 v8, v9
.LBB6_103:
	s_or_b32 exec_lo, exec_lo, s0
	s_wait_storecnt_dscnt 0x0
	ds_load_b32 v0, v0
	s_and_not1_b32 vcc_lo, exec_lo, s4
	s_cbranch_vccnz .LBB6_105
; %bb.104:
	v_mov_b32_e32 v6, v7
.LBB6_105:
	s_delay_alu instid0(VALU_DEP_1)
	v_add_nc_u32_e32 v2, s26, v6
	s_mov_b32 s0, 0
	s_mov_b32 s1, exec_lo
	s_wait_dscnt 0x0
	global_store_b32 v2, v0, s[16:17] scale_offset
	s_wait_xcnt 0x0
	v_cmpx_eq_u32_e32 0, v1
	s_cbranch_execz .LBB6_107
; %bb.106:
	v_dual_mov_b32 v0, 0 :: v_dual_mov_b32 v1, 1
	s_add_nc_u64 s[4:5], s[6:7], s[2:3]
	global_wb scope:SCOPE_DEV
	s_wait_storecnt 0x0
	global_store_b32 v0, v1, s[4:5] scope:SCOPE_DEV
.LBB6_107:
	s_wait_xcnt 0x0
	s_or_b32 exec_lo, exec_lo, s1
	s_delay_alu instid0(SALU_CYCLE_1)
	s_and_b32 vcc_lo, exec_lo, s0
	s_cbranch_vccnz .LBB6_110
.LBB6_108:
	s_endpgm
.LBB6_109:
	s_cbranch_execz .LBB6_108
.LBB6_110:
	v_or_b32_e32 v0, v4, v5
	s_mov_b32 s0, exec_lo
	s_delay_alu instid0(VALU_DEP_1)
	v_cmpx_eq_u32_e32 0, v0
	s_cbranch_execz .LBB6_108
; %bb.111:
	v_mbcnt_lo_u32_b32 v0, exec_lo, 0
	s_mov_b32 s0, exec_lo
	s_delay_alu instid0(VALU_DEP_1)
	v_cmpx_eq_u32_e32 0, v0
	s_cbranch_execz .LBB6_113
; %bb.112:
	s_add_co_i32 s1, s8, s9
	s_delay_alu instid0(SALU_CYCLE_1)
	v_dual_mov_b32 v0, 0 :: v_dual_mov_b32 v1, s1
	global_atomic_min_i32 v0, v1, s[10:11] scope:SCOPE_DEV
.LBB6_113:
	s_wait_xcnt 0x0
	s_or_b32 exec_lo, exec_lo, s0
	v_dual_mov_b32 v0, 0 :: v_dual_mov_b32 v1, 1
	s_add_nc_u64 s[0:1], s[6:7], s[2:3]
	global_wb scope:SCOPE_DEV
	s_wait_storecnt 0x0
	global_store_b32 v0, v1, s[0:1] scope:SCOPE_DEV
	s_endpgm
	.section	.rodata,"a",@progbits
	.p2align	6, 0x0
	.amdhsa_kernel _ZN9rocsparseL26bsric0_2_8_unrolled_kernelILi25ELi32ELi5EfEEv20rocsparse_direction_iiPKiS3_PT2_S3_PiS3_S6_21rocsparse_index_base_
		.amdhsa_group_segment_fixed_size 888
		.amdhsa_private_segment_fixed_size 0
		.amdhsa_kernarg_size 76
		.amdhsa_user_sgpr_count 2
		.amdhsa_user_sgpr_dispatch_ptr 0
		.amdhsa_user_sgpr_queue_ptr 0
		.amdhsa_user_sgpr_kernarg_segment_ptr 1
		.amdhsa_user_sgpr_dispatch_id 0
		.amdhsa_user_sgpr_kernarg_preload_length 0
		.amdhsa_user_sgpr_kernarg_preload_offset 0
		.amdhsa_user_sgpr_private_segment_size 0
		.amdhsa_wavefront_size32 1
		.amdhsa_uses_dynamic_stack 0
		.amdhsa_enable_private_segment 0
		.amdhsa_system_sgpr_workgroup_id_x 1
		.amdhsa_system_sgpr_workgroup_id_y 0
		.amdhsa_system_sgpr_workgroup_id_z 0
		.amdhsa_system_sgpr_workgroup_info 0
		.amdhsa_system_vgpr_workitem_id 1
		.amdhsa_next_free_vgpr 42
		.amdhsa_next_free_sgpr 37
		.amdhsa_named_barrier_count 0
		.amdhsa_reserve_vcc 1
		.amdhsa_float_round_mode_32 0
		.amdhsa_float_round_mode_16_64 0
		.amdhsa_float_denorm_mode_32 3
		.amdhsa_float_denorm_mode_16_64 3
		.amdhsa_fp16_overflow 0
		.amdhsa_memory_ordered 1
		.amdhsa_forward_progress 1
		.amdhsa_inst_pref_size 57
		.amdhsa_round_robin_scheduling 0
		.amdhsa_exception_fp_ieee_invalid_op 0
		.amdhsa_exception_fp_denorm_src 0
		.amdhsa_exception_fp_ieee_div_zero 0
		.amdhsa_exception_fp_ieee_overflow 0
		.amdhsa_exception_fp_ieee_underflow 0
		.amdhsa_exception_fp_ieee_inexact 0
		.amdhsa_exception_int_div_zero 0
	.end_amdhsa_kernel
	.section	.text._ZN9rocsparseL26bsric0_2_8_unrolled_kernelILi25ELi32ELi5EfEEv20rocsparse_direction_iiPKiS3_PT2_S3_PiS3_S6_21rocsparse_index_base_,"axG",@progbits,_ZN9rocsparseL26bsric0_2_8_unrolled_kernelILi25ELi32ELi5EfEEv20rocsparse_direction_iiPKiS3_PT2_S3_PiS3_S6_21rocsparse_index_base_,comdat
.Lfunc_end6:
	.size	_ZN9rocsparseL26bsric0_2_8_unrolled_kernelILi25ELi32ELi5EfEEv20rocsparse_direction_iiPKiS3_PT2_S3_PiS3_S6_21rocsparse_index_base_, .Lfunc_end6-_ZN9rocsparseL26bsric0_2_8_unrolled_kernelILi25ELi32ELi5EfEEv20rocsparse_direction_iiPKiS3_PT2_S3_PiS3_S6_21rocsparse_index_base_
                                        ; -- End function
	.set _ZN9rocsparseL26bsric0_2_8_unrolled_kernelILi25ELi32ELi5EfEEv20rocsparse_direction_iiPKiS3_PT2_S3_PiS3_S6_21rocsparse_index_base_.num_vgpr, 42
	.set _ZN9rocsparseL26bsric0_2_8_unrolled_kernelILi25ELi32ELi5EfEEv20rocsparse_direction_iiPKiS3_PT2_S3_PiS3_S6_21rocsparse_index_base_.num_agpr, 0
	.set _ZN9rocsparseL26bsric0_2_8_unrolled_kernelILi25ELi32ELi5EfEEv20rocsparse_direction_iiPKiS3_PT2_S3_PiS3_S6_21rocsparse_index_base_.numbered_sgpr, 37
	.set _ZN9rocsparseL26bsric0_2_8_unrolled_kernelILi25ELi32ELi5EfEEv20rocsparse_direction_iiPKiS3_PT2_S3_PiS3_S6_21rocsparse_index_base_.num_named_barrier, 0
	.set _ZN9rocsparseL26bsric0_2_8_unrolled_kernelILi25ELi32ELi5EfEEv20rocsparse_direction_iiPKiS3_PT2_S3_PiS3_S6_21rocsparse_index_base_.private_seg_size, 0
	.set _ZN9rocsparseL26bsric0_2_8_unrolled_kernelILi25ELi32ELi5EfEEv20rocsparse_direction_iiPKiS3_PT2_S3_PiS3_S6_21rocsparse_index_base_.uses_vcc, 1
	.set _ZN9rocsparseL26bsric0_2_8_unrolled_kernelILi25ELi32ELi5EfEEv20rocsparse_direction_iiPKiS3_PT2_S3_PiS3_S6_21rocsparse_index_base_.uses_flat_scratch, 0
	.set _ZN9rocsparseL26bsric0_2_8_unrolled_kernelILi25ELi32ELi5EfEEv20rocsparse_direction_iiPKiS3_PT2_S3_PiS3_S6_21rocsparse_index_base_.has_dyn_sized_stack, 0
	.set _ZN9rocsparseL26bsric0_2_8_unrolled_kernelILi25ELi32ELi5EfEEv20rocsparse_direction_iiPKiS3_PT2_S3_PiS3_S6_21rocsparse_index_base_.has_recursion, 0
	.set _ZN9rocsparseL26bsric0_2_8_unrolled_kernelILi25ELi32ELi5EfEEv20rocsparse_direction_iiPKiS3_PT2_S3_PiS3_S6_21rocsparse_index_base_.has_indirect_call, 0
	.section	.AMDGPU.csdata,"",@progbits
; Kernel info:
; codeLenInByte = 7264
; TotalNumSgprs: 39
; NumVgprs: 42
; ScratchSize: 0
; MemoryBound: 0
; FloatMode: 240
; IeeeMode: 1
; LDSByteSize: 888 bytes/workgroup (compile time only)
; SGPRBlocks: 0
; VGPRBlocks: 2
; NumSGPRsForWavesPerEU: 39
; NumVGPRsForWavesPerEU: 42
; NamedBarCnt: 0
; Occupancy: 16
; WaveLimiterHint : 1
; COMPUTE_PGM_RSRC2:SCRATCH_EN: 0
; COMPUTE_PGM_RSRC2:USER_SGPR: 2
; COMPUTE_PGM_RSRC2:TRAP_HANDLER: 0
; COMPUTE_PGM_RSRC2:TGID_X_EN: 1
; COMPUTE_PGM_RSRC2:TGID_Y_EN: 0
; COMPUTE_PGM_RSRC2:TGID_Z_EN: 0
; COMPUTE_PGM_RSRC2:TIDIG_COMP_CNT: 1
	.section	.text._ZN9rocsparseL26bsric0_2_8_unrolled_kernelILi36ELi32ELi6EfEEv20rocsparse_direction_iiPKiS3_PT2_S3_PiS3_S6_21rocsparse_index_base_,"axG",@progbits,_ZN9rocsparseL26bsric0_2_8_unrolled_kernelILi36ELi32ELi6EfEEv20rocsparse_direction_iiPKiS3_PT2_S3_PiS3_S6_21rocsparse_index_base_,comdat
	.globl	_ZN9rocsparseL26bsric0_2_8_unrolled_kernelILi36ELi32ELi6EfEEv20rocsparse_direction_iiPKiS3_PT2_S3_PiS3_S6_21rocsparse_index_base_ ; -- Begin function _ZN9rocsparseL26bsric0_2_8_unrolled_kernelILi36ELi32ELi6EfEEv20rocsparse_direction_iiPKiS3_PT2_S3_PiS3_S6_21rocsparse_index_base_
	.p2align	8
	.type	_ZN9rocsparseL26bsric0_2_8_unrolled_kernelILi36ELi32ELi6EfEEv20rocsparse_direction_iiPKiS3_PT2_S3_PiS3_S6_21rocsparse_index_base_,@function
_ZN9rocsparseL26bsric0_2_8_unrolled_kernelILi36ELi32ELi6EfEEv20rocsparse_direction_iiPKiS3_PT2_S3_PiS3_S6_21rocsparse_index_base_: ; @_ZN9rocsparseL26bsric0_2_8_unrolled_kernelILi36ELi32ELi6EfEEv20rocsparse_direction_iiPKiS3_PT2_S3_PiS3_S6_21rocsparse_index_base_
; %bb.0:
	s_load_b256 s[4:11], s[0:1], 0x28
	s_bfe_u32 s2, ttmp6, 0x4000c
	s_and_b32 s3, ttmp6, 15
	s_add_co_i32 s2, s2, 1
	s_getreg_b32 s12, hwreg(HW_REG_IB_STS2, 6, 4)
	s_mul_i32 s2, ttmp9, s2
	v_and_b32_e32 v4, 0x3ff, v0
	s_add_co_i32 s3, s3, s2
	s_cmp_eq_u32 s12, 0
	v_bfe_u32 v5, v0, 10, 10
	s_cselect_b32 s2, ttmp9, s3
	s_wait_kmcnt 0x0
	s_load_b32 s8, s[8:9], s2 offset:0x0 scale_offset
	s_wait_kmcnt 0x0
	s_ashr_i32 s9, s8, 31
	s_delay_alu instid0(SALU_CYCLE_1) | instskip(NEXT) | instid1(SALU_CYCLE_1)
	s_lshl_b64 s[2:3], s[8:9], 2
	s_add_nc_u64 s[12:13], s[4:5], s[2:3]
	s_load_b32 s26, s[12:13], 0x0
	s_load_b32 s9, s[0:1], 0x48
	s_wait_kmcnt 0x0
	s_cmp_lg_u32 s26, -1
	s_cbranch_scc0 .LBB7_121
; %bb.1:
	s_clause 0x1
	s_load_b128 s[12:15], s[0:1], 0x10
	s_load_b64 s[16:17], s[0:1], 0x20
	v_mad_u32_u24 v6, v5, 6, v4
	v_mul_u32_u24_e32 v12, 6, v5
	s_wait_kmcnt 0x0
	s_add_nc_u64 s[18:19], s[12:13], s[2:3]
	s_load_b32 s19, s[18:19], 0x0
	s_wait_xcnt 0x0
	s_mov_b32 s18, exec_lo
	s_wait_kmcnt 0x0
	s_sub_co_i32 s27, s19, s9
	s_delay_alu instid0(SALU_CYCLE_1) | instskip(NEXT) | instid1(VALU_DEP_1)
	v_add_nc_u32_e32 v0, s27, v6
	v_cmpx_ge_i32_e64 s26, v0
	s_cbranch_execz .LBB7_14
; %bb.2:
	v_add_nc_u32_e32 v1, s19, v4
	s_add_co_i32 s20, s26, 1
	s_mov_b32 s21, -1
	s_delay_alu instid0(VALU_DEP_1) | instskip(NEXT) | instid1(VALU_DEP_1)
	v_add_nc_u32_e32 v2, v1, v12
	v_subrev_nc_u32_e32 v2, s9, v2
	s_delay_alu instid0(VALU_DEP_1) | instskip(SKIP_1) | instid1(VALU_DEP_1)
	v_add_max_i32_e64 v2, v2, 36, s20
	s_mov_b32 s20, exec_lo
	v_add_nc_u32_e32 v2, s9, v2
	s_delay_alu instid0(VALU_DEP_1) | instskip(NEXT) | instid1(VALU_DEP_1)
	v_sub_nc_u32_e32 v1, v2, v1
	v_subrev_nc_u32_e32 v1, 36, v1
	s_delay_alu instid0(VALU_DEP_1) | instskip(SKIP_1) | instid1(VALU_DEP_1)
	v_cmp_ne_u32_e32 vcc_lo, v1, v12
	v_cndmask_b32_e64 v2, 0, 1, vcc_lo
	v_or_b32_e32 v2, v12, v2
	s_delay_alu instid0(VALU_DEP_1) | instskip(NEXT) | instid1(VALU_DEP_1)
	v_sub_nc_u32_e32 v1, v1, v2
	v_mul_hi_u32 v1, 0x38e38e39, v1
	s_delay_alu instid0(VALU_DEP_1) | instskip(NEXT) | instid1(VALU_DEP_1)
	v_lshrrev_b32_e32 v1, 3, v1
	v_add_co_ci_u32_e64 v7, null, 0, v1, vcc_lo
	s_delay_alu instid0(VALU_DEP_1)
	v_cmpx_ne_u32_e32 0, v7
	s_cbranch_execz .LBB7_11
; %bb.3:
	v_add_nc_u32_e32 v1, -1, v7
	s_mov_b32 s21, exec_lo
	s_delay_alu instid0(VALU_DEP_1) | instskip(NEXT) | instid1(VALU_DEP_1)
	v_dual_lshrrev_b32 v2, 1, v1 :: v_dual_add_nc_u32 v1, 36, v0
	v_add_nc_u32_e32 v8, 1, v2
	s_delay_alu instid0(VALU_DEP_2)
	v_mov_b64_e32 v[2:3], v[0:1]
	v_cmpx_lt_u32_e32 14, v7
	s_cbranch_execz .LBB7_7
; %bb.4:
	v_mov_b64_e32 v[2:3], v[0:1]
	v_and_b32_e32 v9, -8, v8
	s_mov_b32 s22, 0
.LBB7_5:                                ; =>This Inner Loop Header: Depth=1
	s_clause 0x1
	global_load_b32 v1, v2, s[14:15] scale_offset
	global_load_b32 v10, v3, s[14:15] scale_offset
	v_add_nc_u32_e32 v18, 0x120, v3
	v_add_nc_u32_e32 v16, 0xd8, v3
	;; [unrolled: 1-line block ×14, first 2 shown]
	s_clause 0xd
	global_load_b32 v26, v18, s[14:15] scale_offset
	global_load_b32 v27, v16, s[14:15] scale_offset
	;; [unrolled: 1-line block ×14, first 2 shown]
	v_subrev_nc_u32_e32 v40, s27, v2
	v_subrev_nc_u32_e32 v41, s27, v3
	v_add_nc_u32_e32 v9, -8, v9
	s_wait_xcnt 0xa
	v_subrev_nc_u32_e32 v11, s27, v11
	s_wait_xcnt 0x9
	v_subrev_nc_u32_e32 v13, s27, v13
	v_dual_lshlrev_b32 v40, 2, v40 :: v_dual_lshlrev_b32 v41, 2, v41
	s_wait_xcnt 0x8
	v_subrev_nc_u32_e32 v15, s27, v15
	v_subrev_nc_u32_e32 v14, s27, v14
	v_cmp_eq_u32_e32 vcc_lo, 0, v9
	s_wait_xcnt 0x7
	v_subrev_nc_u32_e32 v17, s27, v17
	v_add_nc_u32_e32 v3, 0x240, v3
	v_subrev_nc_u32_e32 v16, s27, v16
	v_subrev_nc_u32_e32 v18, s27, v18
	s_wait_xcnt 0x6
	v_subrev_nc_u32_e32 v19, s27, v19
	s_wait_xcnt 0x3
	;; [unrolled: 2-line block ×3, first 2 shown]
	v_subrev_nc_u32_e32 v21, s27, v21
	v_subrev_nc_u32_e32 v22, s27, v22
	s_wait_xcnt 0x1
	v_subrev_nc_u32_e32 v23, s27, v23
	v_subrev_nc_u32_e32 v24, s27, v24
	s_wait_xcnt 0x0
	v_subrev_nc_u32_e32 v25, s27, v25
	v_add_nc_u32_e32 v2, 0x240, v2
	v_dual_lshlrev_b32 v13, 2, v13 :: v_dual_lshlrev_b32 v15, 2, v15
	v_dual_lshlrev_b32 v11, 2, v11 :: v_dual_lshlrev_b32 v14, 2, v14
	v_lshlrev_b32_e32 v17, 2, v17
	s_or_b32 s22, vcc_lo, s22
	v_dual_lshlrev_b32 v16, 2, v16 :: v_dual_lshlrev_b32 v19, 2, v19
	v_dual_lshlrev_b32 v18, 2, v18 :: v_dual_lshlrev_b32 v21, 2, v21
	;; [unrolled: 1-line block ×4, first 2 shown]
	v_lshlrev_b32_e32 v24, 2, v24
	s_wait_loadcnt 0xf
	v_subrev_nc_u32_e32 v1, s9, v1
	s_wait_loadcnt 0xe
	v_subrev_nc_u32_e32 v10, s9, v10
	ds_store_b32 v40, v1 offset:960
	ds_store_b32 v41, v10 offset:960
	s_wait_loadcnt 0xa
	v_subrev_nc_u32_e32 v1, s9, v29
	s_wait_loadcnt 0x9
	v_subrev_nc_u32_e32 v10, s9, v30
	;; [unrolled: 2-line block ×3, first 2 shown]
	v_subrev_nc_u32_e32 v28, s9, v28
	s_wait_loadcnt 0x7
	v_subrev_nc_u32_e32 v30, s9, v32
	v_subrev_nc_u32_e32 v27, s9, v27
	;; [unrolled: 1-line block ×3, first 2 shown]
	s_wait_loadcnt 0x6
	v_subrev_nc_u32_e32 v31, s9, v33
	s_wait_loadcnt 0x3
	v_subrev_nc_u32_e32 v32, s9, v36
	;; [unrolled: 2-line block ×3, first 2 shown]
	v_subrev_nc_u32_e32 v35, s9, v35
	s_wait_loadcnt 0x1
	v_subrev_nc_u32_e32 v36, s9, v38
	v_subrev_nc_u32_e32 v34, s9, v34
	s_wait_loadcnt 0x0
	v_subrev_nc_u32_e32 v37, s9, v39
	ds_store_b32 v13, v10 offset:960
	ds_store_b32 v11, v1 offset:960
	;; [unrolled: 1-line block ×14, first 2 shown]
	s_and_not1_b32 exec_lo, exec_lo, s22
	s_cbranch_execnz .LBB7_5
; %bb.6:
	s_or_b32 exec_lo, exec_lo, s22
.LBB7_7:
	s_delay_alu instid0(SALU_CYCLE_1) | instskip(SKIP_3) | instid1(VALU_DEP_1)
	s_or_b32 exec_lo, exec_lo, s21
	v_and_b32_e32 v1, 7, v8
	s_mov_b32 s22, 0
	s_mov_b32 s21, exec_lo
	v_cmpx_ne_u32_e32 0, v1
	s_cbranch_execz .LBB7_10
; %bb.8:
	v_sub_nc_u32_e32 v1, 0, v1
.LBB7_9:                                ; =>This Inner Loop Header: Depth=1
	s_clause 0x1
	global_load_b32 v8, v3, s[14:15] scale_offset
	global_load_b32 v9, v2, s[14:15] scale_offset
	v_subrev_nc_u32_e32 v10, s27, v2
	v_subrev_nc_u32_e32 v11, s27, v3
	s_wait_xcnt 0x1
	v_add_nc_u32_e32 v3, 0x48, v3
	s_wait_xcnt 0x0
	v_add_nc_u32_e32 v2, 0x48, v2
	v_add_co_u32 v1, s23, v1, 1
	v_dual_lshlrev_b32 v10, 2, v10 :: v_dual_lshlrev_b32 v11, 2, v11
	s_or_b32 s22, s23, s22
	s_wait_loadcnt 0x1
	v_subrev_nc_u32_e32 v8, s9, v8
	s_wait_loadcnt 0x0
	v_subrev_nc_u32_e32 v9, s9, v9
	ds_store_b32 v10, v9 offset:960
	ds_store_b32 v11, v8 offset:960
	s_and_not1_b32 exec_lo, exec_lo, s22
	s_cbranch_execnz .LBB7_9
.LBB7_10:
	s_or_b32 exec_lo, exec_lo, s21
	v_add_nc_u32_e32 v1, 1, v7
	s_delay_alu instid0(VALU_DEP_1) | instskip(NEXT) | instid1(VALU_DEP_1)
	v_and_b32_e32 v2, 0x1ffffffe, v1
	v_mad_u32 v0, v2, 36, v0
	v_cmp_ne_u32_e32 vcc_lo, v1, v2
	s_or_not1_b32 s21, vcc_lo, exec_lo
.LBB7_11:
	s_or_b32 exec_lo, exec_lo, s20
	s_delay_alu instid0(SALU_CYCLE_1)
	s_and_b32 exec_lo, exec_lo, s21
	s_cbranch_execz .LBB7_14
; %bb.12:
	s_delay_alu instid0(VALU_DEP_2) | instskip(NEXT) | instid1(VALU_DEP_1)
	v_add_nc_u32_e32 v1, s9, v0
	v_subrev_nc_u32_e32 v2, s19, v1
	v_ashrrev_i32_e32 v1, 31, v0
	s_mov_b32 s19, 0
	s_delay_alu instid0(VALU_DEP_2) | instskip(NEXT) | instid1(VALU_DEP_2)
	v_lshl_add_u32 v7, v2, 2, 0x3c0
	v_lshl_add_u64 v[2:3], v[0:1], 2, s[14:15]
.LBB7_13:                               ; =>This Inner Loop Header: Depth=1
	global_load_b32 v1, v[2:3], off
	v_add_nc_u32_e32 v0, 36, v0
	s_wait_xcnt 0x0
	v_add_nc_u64_e32 v[2:3], 0x90, v[2:3]
	s_delay_alu instid0(VALU_DEP_2)
	v_cmp_lt_i32_e32 vcc_lo, s26, v0
	s_or_b32 s19, vcc_lo, s19
	s_wait_loadcnt 0x0
	v_subrev_nc_u32_e32 v1, s9, v1
	ds_store_b32 v7, v1
	v_add_nc_u32_e32 v7, 0x90, v7
	s_and_not1_b32 exec_lo, exec_lo, s19
	s_cbranch_execnz .LBB7_13
.LBB7_14:
	s_or_b32 exec_lo, exec_lo, s18
	s_load_b32 s1, s[0:1], 0x0
	v_mad_u32_u24 v11, v5, 28, 0x210
	v_mov_b32_e32 v13, 0
	v_mad_u32_u24 v7, v4, 6, v5
	v_mad_u32_u24 v10, v5, 28, 0x160
	;; [unrolled: 1-line block ×3, first 2 shown]
	v_lshl_add_u32 v8, v4, 2, v11
	s_cmp_ge_i32 s27, s26
	ds_store_b32 v8, v13
	s_wait_dscnt 0x0
	s_cbranch_scc1 .LBB7_65
; %bb.15:
	s_wait_kmcnt 0x0
	s_cmp_lg_u32 s1, 0
	v_dual_lshlrev_b32 v0, 2, v4 :: v_dual_bitop2_b32 v1, v4, v5 bitop3:0x54
	v_mad_u32_u24 v15, v5, 28, 0xb0
	v_mad_u32_u24 v2, v4, 6, v5
	s_cselect_b32 s28, -1, 0
	s_cmp_eq_u32 s1, 0
	v_mul_u32_u24_e32 v14, 6, v4
	s_cselect_b32 vcc_lo, -1, 0
	v_dual_add_nc_u32 v16, v10, v0 :: v_dual_add_nc_u32 v18, v15, v0
	v_mad_u32_u24 v17, v5, 28, v0
	v_cmp_ne_u32_e64 s0, 0, v1
	v_cndmask_b32_e32 v19, v2, v6, vcc_lo
	s_mov_b32 s18, s27
	s_branch .LBB7_19
.LBB7_16:                               ;   in Loop: Header=BB7_19 Depth=1
	s_wait_xcnt 0x0
	s_or_b32 exec_lo, exec_lo, s21
	v_mov_b32_e32 v3, 1.0
.LBB7_17:                               ;   in Loop: Header=BB7_19 Depth=1
	s_or_b32 exec_lo, exec_lo, s20
	ds_load_2addr_b32 v[20:21], v13 offset0:35 offset1:36
	ds_load_b32 v28, v15 offset:20
	ds_load_2addr_b32 v[22:23], v10 offset1:1
	ds_load_2addr_b32 v[24:25], v10 offset0:2 offset1:3
	ds_load_2addr_b32 v[26:27], v13 offset0:37 offset1:38
	ds_load_b32 v29, v13 offset:156
	ds_load_b32 v30, v10 offset:16
	s_add_co_i32 s18, s18, 1
	s_delay_alu instid0(SALU_CYCLE_1) | instskip(SKIP_3) | instid1(VALU_DEP_1)
	s_cmp_ge_i32 s18, s26
	s_cselect_b32 s24, -1, 0
	s_wait_dscnt 0x4
	v_fmac_f32_e32 v28, v20, v22
	v_fmac_f32_e32 v28, v21, v23
	s_wait_dscnt 0x2
	s_delay_alu instid0(VALU_DEP_1) | instskip(NEXT) | instid1(VALU_DEP_1)
	v_fmac_f32_e32 v28, v26, v24
	v_fmac_f32_e32 v28, v27, v25
	s_wait_dscnt 0x0
	s_delay_alu instid0(VALU_DEP_1) | instskip(NEXT) | instid1(VALU_DEP_1)
	v_fmac_f32_e32 v28, v29, v30
	v_sub_f32_e32 v2, v2, v28
	s_delay_alu instid0(VALU_DEP_1) | instskip(SKIP_1) | instid1(VALU_DEP_2)
	v_div_scale_f32 v20, null, v3, v3, v2
	v_div_scale_f32 v23, vcc_lo, v2, v3, v2
	v_rcp_f32_e32 v21, v20
	v_nop
	s_delay_alu instid0(TRANS32_DEP_1) | instskip(NEXT) | instid1(VALU_DEP_1)
	v_fma_f32 v22, -v20, v21, 1.0
	v_fmac_f32_e32 v21, v22, v21
	s_delay_alu instid0(VALU_DEP_1) | instskip(NEXT) | instid1(VALU_DEP_1)
	v_mul_f32_e32 v22, v23, v21
	v_fma_f32 v24, -v20, v22, v23
	s_delay_alu instid0(VALU_DEP_1) | instskip(NEXT) | instid1(VALU_DEP_1)
	v_fmac_f32_e32 v22, v24, v21
	v_fma_f32 v20, -v20, v22, v23
	s_delay_alu instid0(VALU_DEP_1) | instskip(NEXT) | instid1(VALU_DEP_1)
	v_div_fmas_f32 v20, v20, v21, v22
	v_div_fixup_f32 v2, v20, v3, v2
	ds_store_b32 v10, v2 offset:20
	s_wait_storecnt_dscnt 0x0
	ds_load_b32 v3, v9 offset:20
	ds_load_b32 v20, v8
	s_wait_dscnt 0x0
	v_fmac_f32_e32 v20, v2, v3
	ds_store_b32 v8, v20
	s_wait_dscnt 0x0
	ds_load_b32 v2, v16
	s_wait_dscnt 0x0
	global_store_b32 v[0:1], v2, off
	global_wb scope:SCOPE_DEV
	s_wait_storecnt 0x0
	global_inv scope:SCOPE_DEV
.LBB7_18:                               ;   in Loop: Header=BB7_19 Depth=1
	s_and_b32 vcc_lo, exec_lo, s24
	s_cbranch_vccnz .LBB7_65
.LBB7_19:                               ; =>This Loop Header: Depth=1
                                        ;     Child Loop BB7_22 Depth 2
                                        ;     Child Loop BB7_33 Depth 2
	;; [unrolled: 1-line block ×3, first 2 shown]
	s_ashr_i32 s19, s18, 31
	s_delay_alu instid0(SALU_CYCLE_1) | instskip(NEXT) | instid1(SALU_CYCLE_1)
	s_lshl_b64 s[20:21], s[18:19], 2
	s_add_nc_u64 s[20:21], s[14:15], s[20:21]
	s_load_b32 s19, s[20:21], 0x0
	s_wait_kmcnt 0x0
	s_sub_co_i32 s22, s19, s9
	s_delay_alu instid0(SALU_CYCLE_1) | instskip(SKIP_2) | instid1(SALU_CYCLE_1)
	s_ashr_i32 s23, s22, 31
	s_wait_xcnt 0x0
	s_lshl_b64 s[20:21], s[22:23], 2
	s_add_nc_u64 s[24:25], s[4:5], s[20:21]
	s_load_b32 s23, s[24:25], 0x0
	s_wait_xcnt 0x0
	s_mov_b32 s24, -1
	s_wait_kmcnt 0x0
	s_cmp_eq_u32 s23, -1
	s_cbranch_scc1 .LBB7_18
; %bb.20:                               ;   in Loop: Header=BB7_19 Depth=1
	v_mad_u32 v0, s18, 36, v19
	s_add_nc_u64 s[24:25], s[12:13], s[20:21]
	ds_load_b32 v2, v13 offset:960
	s_load_b32 s24, s[24:25], 0x0
	global_load_b32 v1, v0, s[16:17] scale_offset
	s_wait_dscnt 0x0
	v_cmp_ge_i32_e32 vcc_lo, s22, v2
	s_wait_kmcnt 0x0
	s_sub_co_i32 s24, s24, s9
	s_delay_alu instid0(SALU_CYCLE_1) | instskip(SKIP_1) | instid1(SALU_CYCLE_1)
	s_cmp_le_i32 s24, s23
	s_cselect_b32 s25, -1, 0
	s_and_b32 s25, s25, vcc_lo
	s_delay_alu instid0(SALU_CYCLE_1)
	s_and_not1_b32 vcc_lo, exec_lo, s25
	s_mov_b32 s25, 0
	s_wait_loadcnt 0x0
	ds_store_b32 v16, v1
	s_cbranch_vccnz .LBB7_32
; %bb.21:                               ;   in Loop: Header=BB7_19 Depth=1
	s_mov_b32 s29, 0
	s_mov_b32 s30, 0
.LBB7_22:                               ;   Parent Loop BB7_19 Depth=1
                                        ; =>  This Inner Loop Header: Depth=2
	s_ashr_i32 s25, s24, 31
	s_lshl_b32 s31, s30, 2
	s_lshl_b64 s[34:35], s[24:25], 2
	v_mov_b32_e32 v1, s31
	s_add_nc_u64 s[34:35], s[14:15], s[34:35]
                                        ; implicit-def: $sgpr33
	s_load_b32 s25, s[34:35], 0x0
	s_wait_xcnt 0x0
	s_mov_b32 s35, -1
	ds_load_b32 v1, v1 offset:960
                                        ; implicit-def: $sgpr34
	s_wait_kmcnt 0x0
	s_sub_co_i32 s36, s25, s9
                                        ; implicit-def: $sgpr25
	s_wait_dscnt 0x0
	v_readfirstlane_b32 s31, v1
	v_cmp_ge_i32_e32 vcc_lo, s36, v1
	s_cbranch_vccz .LBB7_28
; %bb.23:                               ;   in Loop: Header=BB7_22 Depth=2
	s_cmp_le_i32 s36, s31
                                        ; implicit-def: $sgpr25
                                        ; implicit-def: $sgpr34
                                        ; implicit-def: $sgpr33
	s_cbranch_scc0 .LBB7_25
; %bb.24:                               ;   in Loop: Header=BB7_22 Depth=2
	s_add_co_i32 s25, s30, s27
	s_lshl_b32 s33, s29, 2
	s_mul_i32 s25, s25, 36
	s_delay_alu instid0(SALU_CYCLE_1)
	v_dual_mov_b32 v1, s33 :: v_dual_mov_b32 v2, s25
	s_mul_i32 s33, s24, 36
	s_add_co_i32 s34, s24, 1
	v_mov_b32_e32 v3, s33
	s_add_co_i32 s33, s30, 1
	s_add_co_i32 s25, s29, 1
	s_mov_b32 s35, 0
	ds_store_2addr_b32 v1, v3, v2 offset0:176 offset1:208
.LBB7_25:                               ;   in Loop: Header=BB7_22 Depth=2
	s_and_not1_b32 vcc_lo, exec_lo, s35
	s_cbranch_vccnz .LBB7_27
; %bb.26:                               ;   in Loop: Header=BB7_22 Depth=2
	s_add_co_i32 s33, s30, 1
	s_mov_b32 s25, s29
	s_mov_b32 s34, s24
.LBB7_27:                               ;   in Loop: Header=BB7_22 Depth=2
	s_mov_b32 s35, 0
.LBB7_28:                               ;   in Loop: Header=BB7_22 Depth=2
	s_delay_alu instid0(SALU_CYCLE_1)
	s_and_not1_b32 vcc_lo, exec_lo, s35
	s_cbranch_vccnz .LBB7_30
; %bb.29:                               ;   in Loop: Header=BB7_22 Depth=2
	s_add_co_i32 s34, s24, 1
	s_mov_b32 s33, s30
	s_mov_b32 s25, s29
.LBB7_30:                               ;   in Loop: Header=BB7_22 Depth=2
	s_cmp_le_i32 s34, s23
	s_cselect_b32 s24, -1, 0
	s_cmp_le_i32 s31, s22
	s_cselect_b32 s29, -1, 0
	s_delay_alu instid0(SALU_CYCLE_1) | instskip(NEXT) | instid1(SALU_CYCLE_1)
	s_and_b32 s24, s24, s29
	s_and_b32 vcc_lo, exec_lo, s24
	s_cbranch_vccz .LBB7_32
; %bb.31:                               ;   in Loop: Header=BB7_22 Depth=2
	s_mov_b32 s29, s25
	s_mov_b32 s24, s34
	;; [unrolled: 1-line block ×3, first 2 shown]
	s_branch .LBB7_22
.LBB7_32:                               ;   in Loop: Header=BB7_19 Depth=1
	v_ashrrev_i32_e32 v1, 31, v0
	s_add_nc_u64 s[20:21], s[6:7], s[20:21]
	s_wait_dscnt 0x0
	s_wait_xcnt 0x0
	s_delay_alu instid0(VALU_DEP_1)
	v_lshl_add_u64 v[0:1], v[0:1], 2, s[16:17]
.LBB7_33:                               ;   Parent Loop BB7_19 Depth=1
                                        ; =>  This Inner Loop Header: Depth=2
	global_load_b32 v2, v13, s[20:21] scope:SCOPE_DEV
	s_wait_loadcnt 0x0
	v_cmp_eq_u32_e32 vcc_lo, 0, v2
	s_cbranch_vccnz .LBB7_33
; %bb.34:                               ;   in Loop: Header=BB7_19 Depth=1
	v_mad_u32 v2, s23, 36, v19
	global_inv scope:SCOPE_DEV
	v_mov_b32_e32 v21, 0
	s_cmp_lt_i32 s25, 2
	global_load_b32 v2, v2, s[16:17] scale_offset
	s_wait_loadcnt 0x0
	ds_store_b32 v17, v2
	s_wait_dscnt 0x0
	s_cbranch_scc1 .LBB7_42
; %bb.35:                               ;   in Loop: Header=BB7_19 Depth=1
	v_mov_b32_e32 v20, 0
	s_add_co_i32 s20, s25, -1
	s_movk_i32 s21, 0x2c0
.LBB7_36:                               ;   Parent Loop BB7_19 Depth=1
                                        ; =>  This Inner Loop Header: Depth=2
	s_wait_dscnt 0x0
	v_mov_b32_e32 v2, s21
	s_and_b32 vcc_lo, exec_lo, s28
	s_mov_b32 s22, -1
                                        ; implicit-def: $vgpr21
	ds_load_2addr_b32 v[2:3], v2 offset1:32
	s_cbranch_vccz .LBB7_39
; %bb.37:                               ;   in Loop: Header=BB7_36 Depth=2
	s_wait_dscnt 0x0
	v_dual_add_nc_u32 v21, v2, v4 :: v_dual_add_nc_u32 v22, v3, v5
	s_clause 0x1
	global_load_b32 v25, v21, s[16:17] scale_offset
	global_load_b32 v26, v22, s[16:17] scale_offset
	v_dual_add_nc_u32 v23, 6, v21 :: v_dual_add_nc_u32 v24, 6, v22
	v_add_nc_u32_e32 v27, 12, v21
	s_clause 0x1
	global_load_b32 v28, v23, s[16:17] scale_offset
	global_load_b32 v29, v24, s[16:17] scale_offset
	s_wait_xcnt 0x0
	v_dual_add_nc_u32 v23, 12, v22 :: v_dual_add_nc_u32 v24, 18, v21
	v_add_nc_u32_e32 v30, 18, v22
	s_clause 0x3
	global_load_b32 v31, v27, s[16:17] scale_offset
	global_load_b32 v32, v23, s[16:17] scale_offset
	;; [unrolled: 1-line block ×4, first 2 shown]
	s_wait_xcnt 0x1
	v_dual_add_nc_u32 v23, 24, v21 :: v_dual_add_nc_u32 v24, 24, v22
	v_dual_add_nc_u32 v21, 30, v21 :: v_dual_add_nc_u32 v22, 30, v22
	s_clause 0x3
	global_load_b32 v27, v23, s[16:17] scale_offset
	global_load_b32 v30, v24, s[16:17] scale_offset
	;; [unrolled: 1-line block ×4, first 2 shown]
	s_wait_loadcnt 0xa
	s_wait_xcnt 0x1
	v_fma_f32 v21, v25, v26, v20
	s_wait_loadcnt 0x8
	s_delay_alu instid0(VALU_DEP_1) | instskip(SKIP_1) | instid1(VALU_DEP_1)
	v_fmac_f32_e32 v21, v28, v29
	s_wait_loadcnt 0x6
	v_fmac_f32_e32 v21, v31, v32
	s_wait_loadcnt 0x4
	s_delay_alu instid0(VALU_DEP_1) | instskip(SKIP_1) | instid1(VALU_DEP_1)
	v_fmac_f32_e32 v21, v33, v34
	s_wait_loadcnt 0x2
	v_fmac_f32_e32 v21, v27, v30
	s_wait_loadcnt 0x0
	s_delay_alu instid0(VALU_DEP_1)
	v_fmac_f32_e32 v21, v35, v36
	s_cbranch_execz .LBB7_40
.LBB7_38:                               ;   in Loop: Header=BB7_36 Depth=2
	s_add_co_i32 s20, s20, -1
	s_add_co_i32 s21, s21, 4
	s_cmp_eq_u32 s20, 0
	s_cbranch_scc0 .LBB7_41
	s_branch .LBB7_42
.LBB7_39:                               ;   in Loop: Header=BB7_36 Depth=2
	s_and_not1_b32 vcc_lo, exec_lo, s22
	s_cbranch_vccnz .LBB7_38
.LBB7_40:                               ;   in Loop: Header=BB7_36 Depth=2
	s_wait_dscnt 0x0
	v_dual_add_nc_u32 v22, v3, v12 :: v_dual_add_nc_u32 v2, v2, v14
	s_delay_alu instid0(VALU_DEP_1) | instskip(NEXT) | instid1(VALU_DEP_2)
	v_ashrrev_i32_e32 v23, 31, v22
	v_ashrrev_i32_e32 v3, 31, v2
	s_delay_alu instid0(VALU_DEP_2) | instskip(NEXT) | instid1(VALU_DEP_2)
	v_lshl_add_u64 v[30:31], v[22:23], 2, s[16:17]
	v_lshl_add_u64 v[2:3], v[2:3], 2, s[16:17]
	s_clause 0x3
	global_load_b128 v[22:25], v[30:31], off
	global_load_b128 v[26:29], v[2:3], off
	global_load_b64 v[32:33], v[2:3], off offset:16
	global_load_b64 v[34:35], v[30:31], off offset:16
	s_wait_loadcnt 0x2
	v_fmac_f32_e32 v20, v26, v22
	s_delay_alu instid0(VALU_DEP_1) | instskip(NEXT) | instid1(VALU_DEP_1)
	v_fmac_f32_e32 v20, v27, v23
	v_fmac_f32_e32 v20, v28, v24
	s_delay_alu instid0(VALU_DEP_1) | instskip(SKIP_1) | instid1(VALU_DEP_1)
	v_fmac_f32_e32 v20, v29, v25
	s_wait_loadcnt 0x0
	v_fmac_f32_e32 v20, v32, v34
	s_delay_alu instid0(VALU_DEP_1) | instskip(NEXT) | instid1(VALU_DEP_1)
	v_fmac_f32_e32 v20, v33, v35
	v_mov_b32_e32 v21, v20
	s_add_co_i32 s20, s20, -1
	s_add_co_i32 s21, s21, 4
	s_cmp_eq_u32 s20, 0
	s_cbranch_scc1 .LBB7_42
.LBB7_41:                               ;   in Loop: Header=BB7_36 Depth=2
	v_mov_b32_e32 v20, v21
	s_branch .LBB7_36
.LBB7_42:                               ;   in Loop: Header=BB7_19 Depth=1
	ds_store_b32 v18, v21
	s_wait_dscnt 0x0
	ds_load_b32 v3, v13
	ds_load_b32 v2, v10
	s_wait_dscnt 0x1
	v_readfirstlane_b32 s20, v3
	s_cmp_neq_f32 s20, 0
	s_cselect_b32 vcc_lo, -1, 0
	v_cndmask_b32_e32 v3, 1.0, v3, vcc_lo
	s_nor_b32 s21, vcc_lo, s0
	s_delay_alu instid0(SALU_CYCLE_1)
	s_and_saveexec_b32 s20, s21
	s_cbranch_execz .LBB7_46
; %bb.43:                               ;   in Loop: Header=BB7_19 Depth=1
	v_mbcnt_lo_u32_b32 v3, exec_lo, 0
	s_mov_b32 s21, exec_lo
	s_delay_alu instid0(VALU_DEP_1)
	v_cmpx_eq_u32_e32 0, v3
	s_cbranch_execz .LBB7_45
; %bb.44:                               ;   in Loop: Header=BB7_19 Depth=1
	v_mov_b32_e32 v3, s19
	global_atomic_min_i32 v13, v3, s[10:11] scope:SCOPE_DEV
.LBB7_45:                               ;   in Loop: Header=BB7_19 Depth=1
	s_wait_xcnt 0x0
	s_or_b32 exec_lo, exec_lo, s21
	v_mov_b32_e32 v3, 1.0
.LBB7_46:                               ;   in Loop: Header=BB7_19 Depth=1
	s_or_b32 exec_lo, exec_lo, s20
	ds_load_b32 v20, v15
	s_wait_dscnt 0x0
	v_sub_f32_e32 v2, v2, v20
	s_delay_alu instid0(VALU_DEP_1) | instskip(SKIP_1) | instid1(VALU_DEP_2)
	v_div_scale_f32 v20, null, v3, v3, v2
	v_div_scale_f32 v23, vcc_lo, v2, v3, v2
	v_rcp_f32_e32 v21, v20
	v_nop
	s_delay_alu instid0(TRANS32_DEP_1) | instskip(NEXT) | instid1(VALU_DEP_1)
	v_fma_f32 v22, -v20, v21, 1.0
	v_fmac_f32_e32 v21, v22, v21
	s_delay_alu instid0(VALU_DEP_1) | instskip(NEXT) | instid1(VALU_DEP_1)
	v_mul_f32_e32 v22, v23, v21
	v_fma_f32 v24, -v20, v22, v23
	s_delay_alu instid0(VALU_DEP_1) | instskip(NEXT) | instid1(VALU_DEP_1)
	v_fmac_f32_e32 v22, v24, v21
	v_fma_f32 v20, -v20, v22, v23
	s_delay_alu instid0(VALU_DEP_1) | instskip(NEXT) | instid1(VALU_DEP_1)
	v_div_fmas_f32 v20, v20, v21, v22
	v_div_fixup_f32 v2, v20, v3, v2
	ds_store_b32 v10, v2
	s_wait_storecnt_dscnt 0x0
	ds_load_b32 v3, v9
	ds_load_b32 v20, v8
	s_wait_dscnt 0x0
	v_fmac_f32_e32 v20, v2, v3
	ds_store_b32 v8, v20
	s_wait_dscnt 0x0
	ds_load_b32 v3, v13 offset:32
	ds_load_b32 v2, v10 offset:4
	s_wait_dscnt 0x1
	v_readfirstlane_b32 s20, v3
	s_cmp_neq_f32 s20, 0
	s_cselect_b32 vcc_lo, -1, 0
	v_cndmask_b32_e32 v3, 1.0, v3, vcc_lo
	s_nor_b32 s21, vcc_lo, s0
	s_delay_alu instid0(SALU_CYCLE_1)
	s_and_saveexec_b32 s20, s21
	s_cbranch_execz .LBB7_50
; %bb.47:                               ;   in Loop: Header=BB7_19 Depth=1
	v_mbcnt_lo_u32_b32 v3, exec_lo, 0
	s_mov_b32 s21, exec_lo
	s_delay_alu instid0(VALU_DEP_1)
	v_cmpx_eq_u32_e32 0, v3
	s_cbranch_execz .LBB7_49
; %bb.48:                               ;   in Loop: Header=BB7_19 Depth=1
	v_mov_b32_e32 v3, s19
	global_atomic_min_i32 v13, v3, s[10:11] scope:SCOPE_DEV
.LBB7_49:                               ;   in Loop: Header=BB7_19 Depth=1
	s_wait_xcnt 0x0
	s_or_b32 exec_lo, exec_lo, s21
	v_mov_b32_e32 v3, 1.0
.LBB7_50:                               ;   in Loop: Header=BB7_19 Depth=1
	s_or_b32 exec_lo, exec_lo, s20
	ds_load_b32 v20, v13 offset:28
	ds_load_b32 v21, v10
	ds_load_b32 v22, v15 offset:4
	s_wait_dscnt 0x0
	v_fmac_f32_e32 v22, v20, v21
	s_delay_alu instid0(VALU_DEP_1) | instskip(NEXT) | instid1(VALU_DEP_1)
	v_sub_f32_e32 v2, v2, v22
	v_div_scale_f32 v20, null, v3, v3, v2
	v_div_scale_f32 v23, vcc_lo, v2, v3, v2
	s_delay_alu instid0(VALU_DEP_2) | instskip(SKIP_1) | instid1(TRANS32_DEP_1)
	v_rcp_f32_e32 v21, v20
	v_nop
	v_fma_f32 v22, -v20, v21, 1.0
	s_delay_alu instid0(VALU_DEP_1) | instskip(NEXT) | instid1(VALU_DEP_1)
	v_fmac_f32_e32 v21, v22, v21
	v_mul_f32_e32 v22, v23, v21
	s_delay_alu instid0(VALU_DEP_1) | instskip(NEXT) | instid1(VALU_DEP_1)
	v_fma_f32 v24, -v20, v22, v23
	v_fmac_f32_e32 v22, v24, v21
	s_delay_alu instid0(VALU_DEP_1) | instskip(NEXT) | instid1(VALU_DEP_1)
	v_fma_f32 v20, -v20, v22, v23
	v_div_fmas_f32 v20, v20, v21, v22
	s_delay_alu instid0(VALU_DEP_1)
	v_div_fixup_f32 v2, v20, v3, v2
	ds_store_b32 v10, v2 offset:4
	s_wait_storecnt_dscnt 0x0
	ds_load_b32 v3, v9 offset:4
	ds_load_b32 v20, v8
	s_wait_dscnt 0x0
	v_fmac_f32_e32 v20, v2, v3
	ds_store_b32 v8, v20
	s_wait_dscnt 0x0
	ds_load_b32 v3, v13 offset:64
	ds_load_b32 v2, v10 offset:8
	s_wait_dscnt 0x1
	v_readfirstlane_b32 s20, v3
	s_cmp_neq_f32 s20, 0
	s_cselect_b32 vcc_lo, -1, 0
	v_cndmask_b32_e32 v3, 1.0, v3, vcc_lo
	s_nor_b32 s21, vcc_lo, s0
	s_delay_alu instid0(SALU_CYCLE_1)
	s_and_saveexec_b32 s20, s21
	s_cbranch_execz .LBB7_54
; %bb.51:                               ;   in Loop: Header=BB7_19 Depth=1
	v_mbcnt_lo_u32_b32 v3, exec_lo, 0
	s_mov_b32 s21, exec_lo
	s_delay_alu instid0(VALU_DEP_1)
	v_cmpx_eq_u32_e32 0, v3
	s_cbranch_execz .LBB7_53
; %bb.52:                               ;   in Loop: Header=BB7_19 Depth=1
	v_mov_b32_e32 v3, s19
	global_atomic_min_i32 v13, v3, s[10:11] scope:SCOPE_DEV
.LBB7_53:                               ;   in Loop: Header=BB7_19 Depth=1
	s_wait_xcnt 0x0
	s_or_b32 exec_lo, exec_lo, s21
	v_mov_b32_e32 v3, 1.0
.LBB7_54:                               ;   in Loop: Header=BB7_19 Depth=1
	s_or_b32 exec_lo, exec_lo, s20
	ds_load_b64 v[20:21], v13 offset:56
	ds_load_2addr_b32 v[22:23], v10 offset1:1
	ds_load_b32 v24, v15 offset:8
	s_wait_dscnt 0x0
	v_fmac_f32_e32 v24, v20, v22
	s_delay_alu instid0(VALU_DEP_1) | instskip(NEXT) | instid1(VALU_DEP_1)
	v_fmac_f32_e32 v24, v21, v23
	v_sub_f32_e32 v2, v2, v24
	s_delay_alu instid0(VALU_DEP_1) | instskip(SKIP_1) | instid1(VALU_DEP_2)
	v_div_scale_f32 v20, null, v3, v3, v2
	v_div_scale_f32 v23, vcc_lo, v2, v3, v2
	v_rcp_f32_e32 v21, v20
	v_nop
	s_delay_alu instid0(TRANS32_DEP_1) | instskip(NEXT) | instid1(VALU_DEP_1)
	v_fma_f32 v22, -v20, v21, 1.0
	v_fmac_f32_e32 v21, v22, v21
	s_delay_alu instid0(VALU_DEP_1) | instskip(NEXT) | instid1(VALU_DEP_1)
	v_mul_f32_e32 v22, v23, v21
	v_fma_f32 v24, -v20, v22, v23
	s_delay_alu instid0(VALU_DEP_1) | instskip(NEXT) | instid1(VALU_DEP_1)
	v_fmac_f32_e32 v22, v24, v21
	v_fma_f32 v20, -v20, v22, v23
	s_delay_alu instid0(VALU_DEP_1) | instskip(NEXT) | instid1(VALU_DEP_1)
	v_div_fmas_f32 v20, v20, v21, v22
	v_div_fixup_f32 v2, v20, v3, v2
	ds_store_b32 v10, v2 offset:8
	s_wait_storecnt_dscnt 0x0
	ds_load_b32 v3, v9 offset:8
	ds_load_b32 v20, v8
	s_wait_dscnt 0x0
	v_fmac_f32_e32 v20, v2, v3
	ds_store_b32 v8, v20
	s_wait_dscnt 0x0
	ds_load_b32 v3, v13 offset:96
	ds_load_b32 v2, v10 offset:12
	s_wait_dscnt 0x1
	v_readfirstlane_b32 s20, v3
	s_cmp_neq_f32 s20, 0
	s_cselect_b32 vcc_lo, -1, 0
	v_cndmask_b32_e32 v3, 1.0, v3, vcc_lo
	s_nor_b32 s21, vcc_lo, s0
	s_delay_alu instid0(SALU_CYCLE_1)
	s_and_saveexec_b32 s20, s21
	s_cbranch_execz .LBB7_58
; %bb.55:                               ;   in Loop: Header=BB7_19 Depth=1
	v_mbcnt_lo_u32_b32 v3, exec_lo, 0
	s_mov_b32 s21, exec_lo
	s_delay_alu instid0(VALU_DEP_1)
	v_cmpx_eq_u32_e32 0, v3
	s_cbranch_execz .LBB7_57
; %bb.56:                               ;   in Loop: Header=BB7_19 Depth=1
	v_mov_b32_e32 v3, s19
	global_atomic_min_i32 v13, v3, s[10:11] scope:SCOPE_DEV
.LBB7_57:                               ;   in Loop: Header=BB7_19 Depth=1
	s_wait_xcnt 0x0
	s_or_b32 exec_lo, exec_lo, s21
	v_mov_b32_e32 v3, 1.0
.LBB7_58:                               ;   in Loop: Header=BB7_19 Depth=1
	s_or_b32 exec_lo, exec_lo, s20
	ds_load_2addr_b32 v[20:21], v10 offset1:1
	ds_load_2addr_b32 v[22:23], v13 offset0:21 offset1:22
	ds_load_b32 v24, v15 offset:12
	ds_load_b32 v25, v13 offset:92
	;; [unrolled: 1-line block ×3, first 2 shown]
	s_wait_dscnt 0x2
	v_fmac_f32_e32 v24, v22, v20
	s_delay_alu instid0(VALU_DEP_1) | instskip(SKIP_1) | instid1(VALU_DEP_1)
	v_fmac_f32_e32 v24, v23, v21
	s_wait_dscnt 0x0
	v_fmac_f32_e32 v24, v25, v26
	s_delay_alu instid0(VALU_DEP_1) | instskip(NEXT) | instid1(VALU_DEP_1)
	v_sub_f32_e32 v2, v2, v24
	v_div_scale_f32 v20, null, v3, v3, v2
	v_div_scale_f32 v23, vcc_lo, v2, v3, v2
	s_delay_alu instid0(VALU_DEP_2) | instskip(SKIP_1) | instid1(TRANS32_DEP_1)
	v_rcp_f32_e32 v21, v20
	v_nop
	v_fma_f32 v22, -v20, v21, 1.0
	s_delay_alu instid0(VALU_DEP_1) | instskip(NEXT) | instid1(VALU_DEP_1)
	v_fmac_f32_e32 v21, v22, v21
	v_mul_f32_e32 v22, v23, v21
	s_delay_alu instid0(VALU_DEP_1) | instskip(NEXT) | instid1(VALU_DEP_1)
	v_fma_f32 v24, -v20, v22, v23
	v_fmac_f32_e32 v22, v24, v21
	s_delay_alu instid0(VALU_DEP_1) | instskip(NEXT) | instid1(VALU_DEP_1)
	v_fma_f32 v20, -v20, v22, v23
	v_div_fmas_f32 v20, v20, v21, v22
	s_delay_alu instid0(VALU_DEP_1)
	v_div_fixup_f32 v2, v20, v3, v2
	ds_store_b32 v10, v2 offset:12
	s_wait_storecnt_dscnt 0x0
	ds_load_b32 v3, v9 offset:12
	ds_load_b32 v20, v8
	s_wait_dscnt 0x0
	v_fmac_f32_e32 v20, v2, v3
	ds_store_b32 v8, v20
	s_wait_dscnt 0x0
	ds_load_b32 v3, v13 offset:128
	ds_load_b32 v2, v10 offset:16
	s_wait_dscnt 0x1
	v_readfirstlane_b32 s20, v3
	s_cmp_neq_f32 s20, 0
	s_cselect_b32 vcc_lo, -1, 0
	v_cndmask_b32_e32 v3, 1.0, v3, vcc_lo
	s_nor_b32 s21, vcc_lo, s0
	s_delay_alu instid0(SALU_CYCLE_1)
	s_and_saveexec_b32 s20, s21
	s_cbranch_execz .LBB7_62
; %bb.59:                               ;   in Loop: Header=BB7_19 Depth=1
	v_mbcnt_lo_u32_b32 v3, exec_lo, 0
	s_mov_b32 s21, exec_lo
	s_delay_alu instid0(VALU_DEP_1)
	v_cmpx_eq_u32_e32 0, v3
	s_cbranch_execz .LBB7_61
; %bb.60:                               ;   in Loop: Header=BB7_19 Depth=1
	v_mov_b32_e32 v3, s19
	global_atomic_min_i32 v13, v3, s[10:11] scope:SCOPE_DEV
.LBB7_61:                               ;   in Loop: Header=BB7_19 Depth=1
	s_wait_xcnt 0x0
	s_or_b32 exec_lo, exec_lo, s21
	v_mov_b32_e32 v3, 1.0
.LBB7_62:                               ;   in Loop: Header=BB7_19 Depth=1
	s_or_b32 exec_lo, exec_lo, s20
	ds_load_b128 v[20:23], v13 offset:112
	ds_load_b32 v28, v15 offset:16
	ds_load_2addr_b32 v[24:25], v10 offset1:1
	ds_load_2addr_b32 v[26:27], v10 offset0:2 offset1:3
	s_wait_dscnt 0x1
	v_fmac_f32_e32 v28, v20, v24
	s_delay_alu instid0(VALU_DEP_1) | instskip(SKIP_1) | instid1(VALU_DEP_1)
	v_fmac_f32_e32 v28, v21, v25
	s_wait_dscnt 0x0
	v_fmac_f32_e32 v28, v22, v26
	s_delay_alu instid0(VALU_DEP_1) | instskip(NEXT) | instid1(VALU_DEP_1)
	v_fmac_f32_e32 v28, v23, v27
	v_sub_f32_e32 v2, v2, v28
	s_delay_alu instid0(VALU_DEP_1) | instskip(SKIP_1) | instid1(VALU_DEP_2)
	v_div_scale_f32 v20, null, v3, v3, v2
	v_div_scale_f32 v23, vcc_lo, v2, v3, v2
	v_rcp_f32_e32 v21, v20
	v_nop
	s_delay_alu instid0(TRANS32_DEP_1) | instskip(NEXT) | instid1(VALU_DEP_1)
	v_fma_f32 v22, -v20, v21, 1.0
	v_fmac_f32_e32 v21, v22, v21
	s_delay_alu instid0(VALU_DEP_1) | instskip(NEXT) | instid1(VALU_DEP_1)
	v_mul_f32_e32 v22, v23, v21
	v_fma_f32 v24, -v20, v22, v23
	s_delay_alu instid0(VALU_DEP_1) | instskip(NEXT) | instid1(VALU_DEP_1)
	v_fmac_f32_e32 v22, v24, v21
	v_fma_f32 v20, -v20, v22, v23
	s_delay_alu instid0(VALU_DEP_1) | instskip(NEXT) | instid1(VALU_DEP_1)
	v_div_fmas_f32 v20, v20, v21, v22
	v_div_fixup_f32 v2, v20, v3, v2
	ds_store_b32 v10, v2 offset:16
	s_wait_storecnt_dscnt 0x0
	ds_load_b32 v3, v9 offset:16
	ds_load_b32 v20, v8
	s_wait_dscnt 0x0
	v_fmac_f32_e32 v20, v2, v3
	ds_store_b32 v8, v20
	s_wait_dscnt 0x0
	ds_load_b32 v3, v13 offset:160
	ds_load_b32 v2, v10 offset:20
	s_wait_dscnt 0x1
	v_readfirstlane_b32 s20, v3
	s_cmp_neq_f32 s20, 0
	s_cselect_b32 vcc_lo, -1, 0
	v_cndmask_b32_e32 v3, 1.0, v3, vcc_lo
	s_nor_b32 s21, vcc_lo, s0
	s_delay_alu instid0(SALU_CYCLE_1)
	s_and_saveexec_b32 s20, s21
	s_cbranch_execz .LBB7_17
; %bb.63:                               ;   in Loop: Header=BB7_19 Depth=1
	v_mbcnt_lo_u32_b32 v3, exec_lo, 0
	s_mov_b32 s21, exec_lo
	s_delay_alu instid0(VALU_DEP_1)
	v_cmpx_eq_u32_e32 0, v3
	s_cbranch_execz .LBB7_16
; %bb.64:                               ;   in Loop: Header=BB7_19 Depth=1
	v_mov_b32_e32 v3, s19
	global_atomic_min_i32 v13, v3, s[10:11] scope:SCOPE_DEV
	s_branch .LBB7_16
.LBB7_65:
	s_wait_xcnt 0x0
	v_mov_b32_e32 v0, v6
	s_wait_kmcnt 0x0
	s_cmp_lg_u32 s1, 0
	s_cselect_b32 s4, -1, 0
	s_cmp_eq_u32 s1, 0
	s_cbranch_scc1 .LBB7_67
; %bb.66:
	v_mad_u32_u24 v0, v4, 6, v5
.LBB7_67:
	s_mul_i32 s26, s26, 36
	s_mov_b32 s1, exec_lo
	s_delay_alu instid0(VALU_DEP_1)
	v_add_nc_u32_e32 v0, s26, v0
	v_cmp_ne_u32_e32 vcc_lo, 0, v5
	global_load_b32 v1, v0, s[16:17] scale_offset
	s_wait_xcnt 0x0
	v_lshl_add_u32 v0, v4, 2, v10
	s_wait_loadcnt 0x0
	ds_store_b32 v0, v1
	s_wait_dscnt 0x0
	v_cmpx_eq_u32_e32 0, v5
	s_cbranch_execz .LBB7_69
; %bb.68:
	v_mov_b32_e32 v1, 0
	ds_load_2addr_b32 v[2:3], v1 offset0:88 offset1:132
	s_wait_dscnt 0x0
	v_readfirstlane_b32 s0, v2
	v_readfirstlane_b32 s5, v3
	s_sub_f32 s0, s0, s5
	s_delay_alu instid0(SALU_CYCLE_3) | instskip(SKIP_2) | instid1(SALU_CYCLE_1)
	s_xor_b32 s5, s0, 0x80000000
	s_cmp_lt_f32 s0, 0
	s_cselect_b32 s0, s5, s0
	s_mul_f32 s5, s0, 0x4f800000
	s_cmp_lt_f32 s0, 0xf800000
	s_delay_alu instid0(SALU_CYCLE_2) | instskip(NEXT) | instid1(SALU_CYCLE_1)
	s_cselect_b32 s5, s5, s0
	v_s_sqrt_f32 s12, s5
	s_mov_b32 s14, s5
	s_delay_alu instid0(TRANS32_DEP_1) | instskip(NEXT) | instid1(SALU_CYCLE_1)
	s_add_co_i32 s13, s12, -1
	s_xor_b32 s15, s13, 0x80000000
	s_delay_alu instid0(SALU_CYCLE_1) | instskip(SKIP_1) | instid1(SALU_CYCLE_2)
	s_fmac_f32 s14, s15, s12
	s_mov_b32 s15, s5
	s_cmp_le_f32 s14, 0
	s_cselect_b32 s13, s13, s12
	s_add_co_i32 s14, s12, 1
	s_delay_alu instid0(SALU_CYCLE_1) | instskip(NEXT) | instid1(SALU_CYCLE_1)
	s_xor_b32 s18, s14, 0x80000000
	s_fmac_f32 s15, s18, s12
	s_delay_alu instid0(SALU_CYCLE_3) | instskip(SKIP_4) | instid1(SALU_CYCLE_2)
	s_cmp_gt_f32 s15, 0
	s_cselect_b32 s12, s14, s13
	s_cmp_lt_f32 s0, 0xf800000
	s_mul_f32 s0, s12, 0x37800000
	v_cmp_class_f32_e64 s13, s5, 0x260
	s_cselect_b32 s0, s0, s12
	s_and_b32 s12, s13, exec_lo
	s_cselect_b32 s0, s5, s0
	s_delay_alu instid0(SALU_CYCLE_1)
	v_mov_b32_e32 v2, s0
	ds_store_b32 v1, v2 offset:352
.LBB7_69:
	s_or_b32 exec_lo, exec_lo, s1
	v_mov_b32_e32 v1, 0
	s_wait_dscnt 0x0
	s_add_co_i32 s5, s8, s9
	ds_load_b32 v2, v1 offset:352
	v_or_b32_e32 v1, v4, v5
	s_wait_dscnt 0x0
	v_readfirstlane_b32 s0, v2
	s_cmp_neq_f32 s0, 0
	v_cmp_ne_u32_e64 s0, 0, v1
	s_cselect_b32 s1, -1, 0
	s_delay_alu instid0(SALU_CYCLE_1) | instskip(SKIP_1) | instid1(SALU_CYCLE_1)
	v_cndmask_b32_e64 v2, 1.0, v2, s1
	s_nor_b32 s1, s1, s0
	s_and_saveexec_b32 s12, s1
	s_cbranch_execz .LBB7_73
; %bb.70:
	v_mbcnt_lo_u32_b32 v2, exec_lo, 0
	s_mov_b32 s13, exec_lo
	s_delay_alu instid0(VALU_DEP_1)
	v_cmpx_eq_u32_e32 0, v2
	s_cbranch_execz .LBB7_72
; %bb.71:
	v_dual_mov_b32 v2, 0 :: v_dual_mov_b32 v3, s5
	global_atomic_min_i32 v2, v3, s[10:11] scope:SCOPE_DEV
.LBB7_72:
	s_wait_xcnt 0x0
	s_or_b32 exec_lo, exec_lo, s13
	v_mov_b32_e32 v2, 1.0
.LBB7_73:
	s_or_b32 exec_lo, exec_lo, s12
	s_and_saveexec_b32 s1, vcc_lo
	s_cbranch_execz .LBB7_75
; %bb.74:
	ds_load_b32 v3, v10
	ds_load_b32 v12, v11
	s_wait_dscnt 0x0
	v_sub_f32_e32 v3, v3, v12
	s_delay_alu instid0(VALU_DEP_1) | instskip(NEXT) | instid1(VALU_DEP_1)
	v_div_scale_f32 v12, null, v2, v2, v3
	v_rcp_f32_e32 v13, v12
	v_nop
	s_delay_alu instid0(TRANS32_DEP_1) | instskip(NEXT) | instid1(VALU_DEP_1)
	v_fma_f32 v14, -v12, v13, 1.0
	v_fmac_f32_e32 v13, v14, v13
	v_div_scale_f32 v15, vcc_lo, v3, v2, v3
	s_delay_alu instid0(VALU_DEP_1) | instskip(NEXT) | instid1(VALU_DEP_1)
	v_mul_f32_e32 v14, v15, v13
	v_fma_f32 v16, -v12, v14, v15
	s_delay_alu instid0(VALU_DEP_1) | instskip(NEXT) | instid1(VALU_DEP_1)
	v_fmac_f32_e32 v14, v16, v13
	v_fma_f32 v12, -v12, v14, v15
	s_delay_alu instid0(VALU_DEP_1) | instskip(NEXT) | instid1(VALU_DEP_1)
	v_div_fmas_f32 v12, v12, v13, v14
	v_div_fixup_f32 v2, v12, v2, v3
	ds_store_b32 v10, v2
	s_wait_storecnt_dscnt 0x0
	ds_load_b32 v3, v9
	ds_load_b32 v12, v8
	s_wait_dscnt 0x0
	v_fmac_f32_e32 v12, v2, v3
	ds_store_b32 v8, v12
.LBB7_75:
	s_or_b32 exec_lo, exec_lo, s1
	s_delay_alu instid0(SALU_CYCLE_1)
	s_mov_b32 s1, exec_lo
	s_wait_storecnt_dscnt 0x0
	v_cmpx_eq_u32_e32 1, v5
	s_cbranch_execz .LBB7_77
; %bb.76:
	v_mov_b32_e32 v12, 0
	ds_load_2addr_b32 v[2:3], v12 offset0:96 offset1:140
	s_wait_dscnt 0x0
	v_readfirstlane_b32 s12, v2
	v_readfirstlane_b32 s13, v3
	s_sub_f32 s12, s12, s13
	s_delay_alu instid0(SALU_CYCLE_3) | instskip(SKIP_2) | instid1(SALU_CYCLE_1)
	s_xor_b32 s13, s12, 0x80000000
	s_cmp_lt_f32 s12, 0
	s_cselect_b32 s12, s13, s12
	s_mul_f32 s13, s12, 0x4f800000
	s_cmp_lt_f32 s12, 0xf800000
	s_delay_alu instid0(SALU_CYCLE_2) | instskip(NEXT) | instid1(SALU_CYCLE_1)
	s_cselect_b32 s13, s13, s12
	v_s_sqrt_f32 s14, s13
	s_mov_b32 s18, s13
	s_delay_alu instid0(TRANS32_DEP_1) | instskip(NEXT) | instid1(SALU_CYCLE_1)
	s_add_co_i32 s15, s14, -1
	s_xor_b32 s19, s15, 0x80000000
	s_delay_alu instid0(SALU_CYCLE_1) | instskip(SKIP_1) | instid1(SALU_CYCLE_2)
	s_fmac_f32 s18, s19, s14
	s_mov_b32 s19, s13
	s_cmp_le_f32 s18, 0
	s_cselect_b32 s15, s15, s14
	s_add_co_i32 s18, s14, 1
	s_delay_alu instid0(SALU_CYCLE_1) | instskip(NEXT) | instid1(SALU_CYCLE_1)
	s_xor_b32 s20, s18, 0x80000000
	s_fmac_f32 s19, s20, s14
	s_delay_alu instid0(SALU_CYCLE_3) | instskip(SKIP_4) | instid1(SALU_CYCLE_2)
	s_cmp_gt_f32 s19, 0
	s_cselect_b32 s14, s18, s15
	s_cmp_lt_f32 s12, 0xf800000
	s_mul_f32 s12, s14, 0x37800000
	v_cmp_class_f32_e64 s15, s13, 0x260
	s_cselect_b32 s12, s12, s14
	s_and_b32 s14, s15, exec_lo
	s_cselect_b32 s12, s13, s12
	s_delay_alu instid0(SALU_CYCLE_1)
	v_mov_b32_e32 v2, s12
	ds_store_b32 v12, v2 offset:384
.LBB7_77:
	s_or_b32 exec_lo, exec_lo, s1
	v_mov_b32_e32 v2, 0
	s_wait_dscnt 0x0
	ds_load_b32 v2, v2 offset:384
	s_wait_dscnt 0x0
	v_readfirstlane_b32 s1, v2
	s_cmp_neq_f32 s1, 0
	s_cselect_b32 vcc_lo, -1, 0
	v_cndmask_b32_e32 v2, 1.0, v2, vcc_lo
	s_nor_b32 s12, vcc_lo, s0
	s_delay_alu instid0(SALU_CYCLE_1)
	s_and_saveexec_b32 s1, s12
	s_cbranch_execz .LBB7_81
; %bb.78:
	v_mbcnt_lo_u32_b32 v2, exec_lo, 0
	s_mov_b32 s12, exec_lo
	s_delay_alu instid0(VALU_DEP_1)
	v_cmpx_eq_u32_e32 0, v2
	s_cbranch_execz .LBB7_80
; %bb.79:
	v_dual_mov_b32 v2, 0 :: v_dual_mov_b32 v3, s5
	global_atomic_min_i32 v2, v3, s[10:11] scope:SCOPE_DEV
.LBB7_80:
	s_wait_xcnt 0x0
	s_or_b32 exec_lo, exec_lo, s12
	v_mov_b32_e32 v2, 1.0
.LBB7_81:
	s_or_b32 exec_lo, exec_lo, s1
	s_delay_alu instid0(SALU_CYCLE_1)
	s_mov_b32 s1, exec_lo
	v_cmpx_lt_u32_e32 1, v5
	s_cbranch_execz .LBB7_83
; %bb.82:
	ds_load_b32 v3, v10 offset:4
	ds_load_b32 v12, v11 offset:4
	s_wait_dscnt 0x0
	v_sub_f32_e32 v3, v3, v12
	s_delay_alu instid0(VALU_DEP_1) | instskip(NEXT) | instid1(VALU_DEP_1)
	v_div_scale_f32 v12, null, v2, v2, v3
	v_rcp_f32_e32 v13, v12
	v_nop
	s_delay_alu instid0(TRANS32_DEP_1) | instskip(NEXT) | instid1(VALU_DEP_1)
	v_fma_f32 v14, -v12, v13, 1.0
	v_fmac_f32_e32 v13, v14, v13
	v_div_scale_f32 v15, vcc_lo, v3, v2, v3
	s_delay_alu instid0(VALU_DEP_1) | instskip(NEXT) | instid1(VALU_DEP_1)
	v_mul_f32_e32 v14, v15, v13
	v_fma_f32 v16, -v12, v14, v15
	s_delay_alu instid0(VALU_DEP_1) | instskip(NEXT) | instid1(VALU_DEP_1)
	v_fmac_f32_e32 v14, v16, v13
	v_fma_f32 v12, -v12, v14, v15
	s_delay_alu instid0(VALU_DEP_1) | instskip(NEXT) | instid1(VALU_DEP_1)
	v_div_fmas_f32 v12, v12, v13, v14
	v_div_fixup_f32 v2, v12, v2, v3
	ds_store_b32 v10, v2 offset:4
	s_wait_storecnt_dscnt 0x0
	ds_load_b32 v3, v9 offset:4
	ds_load_b32 v12, v8
	s_wait_dscnt 0x0
	v_fmac_f32_e32 v12, v2, v3
	ds_store_b32 v8, v12
.LBB7_83:
	s_or_b32 exec_lo, exec_lo, s1
	s_delay_alu instid0(SALU_CYCLE_1)
	s_mov_b32 s1, exec_lo
	s_wait_storecnt_dscnt 0x0
	v_cmpx_eq_u32_e32 2, v5
	s_cbranch_execz .LBB7_85
; %bb.84:
	v_mov_b32_e32 v12, 0
	ds_load_2addr_b32 v[2:3], v12 offset0:104 offset1:148
	s_wait_dscnt 0x0
	v_readfirstlane_b32 s12, v2
	v_readfirstlane_b32 s13, v3
	s_sub_f32 s12, s12, s13
	s_delay_alu instid0(SALU_CYCLE_3) | instskip(SKIP_2) | instid1(SALU_CYCLE_1)
	s_xor_b32 s13, s12, 0x80000000
	s_cmp_lt_f32 s12, 0
	s_cselect_b32 s12, s13, s12
	s_mul_f32 s13, s12, 0x4f800000
	s_cmp_lt_f32 s12, 0xf800000
	s_delay_alu instid0(SALU_CYCLE_2) | instskip(NEXT) | instid1(SALU_CYCLE_1)
	s_cselect_b32 s13, s13, s12
	v_s_sqrt_f32 s14, s13
	s_mov_b32 s18, s13
	s_delay_alu instid0(TRANS32_DEP_1) | instskip(NEXT) | instid1(SALU_CYCLE_1)
	s_add_co_i32 s15, s14, -1
	s_xor_b32 s19, s15, 0x80000000
	s_delay_alu instid0(SALU_CYCLE_1) | instskip(SKIP_1) | instid1(SALU_CYCLE_2)
	s_fmac_f32 s18, s19, s14
	s_mov_b32 s19, s13
	s_cmp_le_f32 s18, 0
	s_cselect_b32 s15, s15, s14
	s_add_co_i32 s18, s14, 1
	s_delay_alu instid0(SALU_CYCLE_1) | instskip(NEXT) | instid1(SALU_CYCLE_1)
	s_xor_b32 s20, s18, 0x80000000
	s_fmac_f32 s19, s20, s14
	s_delay_alu instid0(SALU_CYCLE_3) | instskip(SKIP_4) | instid1(SALU_CYCLE_2)
	s_cmp_gt_f32 s19, 0
	s_cselect_b32 s14, s18, s15
	s_cmp_lt_f32 s12, 0xf800000
	s_mul_f32 s12, s14, 0x37800000
	v_cmp_class_f32_e64 s15, s13, 0x260
	s_cselect_b32 s12, s12, s14
	s_and_b32 s14, s15, exec_lo
	s_cselect_b32 s12, s13, s12
	s_delay_alu instid0(SALU_CYCLE_1)
	v_mov_b32_e32 v2, s12
	ds_store_b32 v12, v2 offset:416
.LBB7_85:
	s_or_b32 exec_lo, exec_lo, s1
	v_mov_b32_e32 v2, 0
	s_wait_dscnt 0x0
	ds_load_b32 v2, v2 offset:416
	s_wait_dscnt 0x0
	v_readfirstlane_b32 s1, v2
	s_cmp_neq_f32 s1, 0
	s_cselect_b32 vcc_lo, -1, 0
	v_cndmask_b32_e32 v2, 1.0, v2, vcc_lo
	s_nor_b32 s12, vcc_lo, s0
	s_delay_alu instid0(SALU_CYCLE_1)
	s_and_saveexec_b32 s1, s12
	s_cbranch_execz .LBB7_89
; %bb.86:
	v_mbcnt_lo_u32_b32 v2, exec_lo, 0
	s_mov_b32 s12, exec_lo
	s_delay_alu instid0(VALU_DEP_1)
	v_cmpx_eq_u32_e32 0, v2
	s_cbranch_execz .LBB7_88
; %bb.87:
	v_dual_mov_b32 v2, 0 :: v_dual_mov_b32 v3, s5
	global_atomic_min_i32 v2, v3, s[10:11] scope:SCOPE_DEV
.LBB7_88:
	s_wait_xcnt 0x0
	s_or_b32 exec_lo, exec_lo, s12
	v_mov_b32_e32 v2, 1.0
.LBB7_89:
	s_or_b32 exec_lo, exec_lo, s1
	s_delay_alu instid0(SALU_CYCLE_1)
	s_mov_b32 s1, exec_lo
	v_cmpx_lt_u32_e32 2, v5
	s_cbranch_execz .LBB7_91
; %bb.90:
	ds_load_b32 v3, v10 offset:8
	ds_load_b32 v12, v11 offset:8
	s_wait_dscnt 0x0
	v_sub_f32_e32 v3, v3, v12
	s_delay_alu instid0(VALU_DEP_1) | instskip(NEXT) | instid1(VALU_DEP_1)
	v_div_scale_f32 v12, null, v2, v2, v3
	v_rcp_f32_e32 v13, v12
	v_nop
	s_delay_alu instid0(TRANS32_DEP_1) | instskip(NEXT) | instid1(VALU_DEP_1)
	v_fma_f32 v14, -v12, v13, 1.0
	v_fmac_f32_e32 v13, v14, v13
	v_div_scale_f32 v15, vcc_lo, v3, v2, v3
	s_delay_alu instid0(VALU_DEP_1) | instskip(NEXT) | instid1(VALU_DEP_1)
	v_mul_f32_e32 v14, v15, v13
	v_fma_f32 v16, -v12, v14, v15
	s_delay_alu instid0(VALU_DEP_1) | instskip(NEXT) | instid1(VALU_DEP_1)
	v_fmac_f32_e32 v14, v16, v13
	v_fma_f32 v12, -v12, v14, v15
	s_delay_alu instid0(VALU_DEP_1) | instskip(NEXT) | instid1(VALU_DEP_1)
	v_div_fmas_f32 v12, v12, v13, v14
	v_div_fixup_f32 v2, v12, v2, v3
	ds_store_b32 v10, v2 offset:8
	s_wait_storecnt_dscnt 0x0
	ds_load_b32 v3, v9 offset:8
	ds_load_b32 v12, v8
	s_wait_dscnt 0x0
	v_fmac_f32_e32 v12, v2, v3
	ds_store_b32 v8, v12
.LBB7_91:
	s_or_b32 exec_lo, exec_lo, s1
	s_delay_alu instid0(SALU_CYCLE_1)
	s_mov_b32 s1, exec_lo
	s_wait_storecnt_dscnt 0x0
	v_cmpx_eq_u32_e32 3, v5
	s_cbranch_execz .LBB7_93
; %bb.92:
	v_mov_b32_e32 v12, 0
	ds_load_2addr_b32 v[2:3], v12 offset0:112 offset1:156
	s_wait_dscnt 0x0
	v_readfirstlane_b32 s12, v2
	v_readfirstlane_b32 s13, v3
	s_sub_f32 s12, s12, s13
	s_delay_alu instid0(SALU_CYCLE_3) | instskip(SKIP_2) | instid1(SALU_CYCLE_1)
	s_xor_b32 s13, s12, 0x80000000
	s_cmp_lt_f32 s12, 0
	s_cselect_b32 s12, s13, s12
	s_mul_f32 s13, s12, 0x4f800000
	s_cmp_lt_f32 s12, 0xf800000
	s_delay_alu instid0(SALU_CYCLE_2) | instskip(NEXT) | instid1(SALU_CYCLE_1)
	s_cselect_b32 s13, s13, s12
	v_s_sqrt_f32 s14, s13
	s_mov_b32 s18, s13
	s_delay_alu instid0(TRANS32_DEP_1) | instskip(NEXT) | instid1(SALU_CYCLE_1)
	s_add_co_i32 s15, s14, -1
	s_xor_b32 s19, s15, 0x80000000
	s_delay_alu instid0(SALU_CYCLE_1) | instskip(SKIP_1) | instid1(SALU_CYCLE_2)
	s_fmac_f32 s18, s19, s14
	s_mov_b32 s19, s13
	s_cmp_le_f32 s18, 0
	s_cselect_b32 s15, s15, s14
	s_add_co_i32 s18, s14, 1
	s_delay_alu instid0(SALU_CYCLE_1) | instskip(NEXT) | instid1(SALU_CYCLE_1)
	s_xor_b32 s20, s18, 0x80000000
	s_fmac_f32 s19, s20, s14
	s_delay_alu instid0(SALU_CYCLE_3) | instskip(SKIP_4) | instid1(SALU_CYCLE_2)
	s_cmp_gt_f32 s19, 0
	s_cselect_b32 s14, s18, s15
	s_cmp_lt_f32 s12, 0xf800000
	s_mul_f32 s12, s14, 0x37800000
	v_cmp_class_f32_e64 s15, s13, 0x260
	s_cselect_b32 s12, s12, s14
	s_and_b32 s14, s15, exec_lo
	s_cselect_b32 s12, s13, s12
	s_delay_alu instid0(SALU_CYCLE_1)
	v_mov_b32_e32 v2, s12
	ds_store_b32 v12, v2 offset:448
.LBB7_93:
	s_or_b32 exec_lo, exec_lo, s1
	v_mov_b32_e32 v2, 0
	s_wait_dscnt 0x0
	ds_load_b32 v2, v2 offset:448
	s_wait_dscnt 0x0
	v_readfirstlane_b32 s1, v2
	s_cmp_neq_f32 s1, 0
	s_cselect_b32 vcc_lo, -1, 0
	v_cndmask_b32_e32 v2, 1.0, v2, vcc_lo
	s_nor_b32 s12, vcc_lo, s0
	s_delay_alu instid0(SALU_CYCLE_1)
	s_and_saveexec_b32 s1, s12
	s_cbranch_execz .LBB7_97
; %bb.94:
	v_mbcnt_lo_u32_b32 v2, exec_lo, 0
	s_mov_b32 s12, exec_lo
	s_delay_alu instid0(VALU_DEP_1)
	v_cmpx_eq_u32_e32 0, v2
	s_cbranch_execz .LBB7_96
; %bb.95:
	v_dual_mov_b32 v2, 0 :: v_dual_mov_b32 v3, s5
	global_atomic_min_i32 v2, v3, s[10:11] scope:SCOPE_DEV
.LBB7_96:
	s_wait_xcnt 0x0
	s_or_b32 exec_lo, exec_lo, s12
	v_mov_b32_e32 v2, 1.0
.LBB7_97:
	s_or_b32 exec_lo, exec_lo, s1
	s_delay_alu instid0(SALU_CYCLE_1)
	s_mov_b32 s1, exec_lo
	v_cmpx_lt_u32_e32 3, v5
	s_cbranch_execz .LBB7_99
; %bb.98:
	ds_load_b32 v3, v10 offset:12
	ds_load_b32 v12, v11 offset:12
	s_wait_dscnt 0x0
	v_sub_f32_e32 v3, v3, v12
	s_delay_alu instid0(VALU_DEP_1) | instskip(NEXT) | instid1(VALU_DEP_1)
	v_div_scale_f32 v12, null, v2, v2, v3
	v_rcp_f32_e32 v13, v12
	v_nop
	s_delay_alu instid0(TRANS32_DEP_1) | instskip(NEXT) | instid1(VALU_DEP_1)
	v_fma_f32 v14, -v12, v13, 1.0
	v_fmac_f32_e32 v13, v14, v13
	v_div_scale_f32 v15, vcc_lo, v3, v2, v3
	s_delay_alu instid0(VALU_DEP_1) | instskip(NEXT) | instid1(VALU_DEP_1)
	v_mul_f32_e32 v14, v15, v13
	v_fma_f32 v16, -v12, v14, v15
	s_delay_alu instid0(VALU_DEP_1) | instskip(NEXT) | instid1(VALU_DEP_1)
	v_fmac_f32_e32 v14, v16, v13
	v_fma_f32 v12, -v12, v14, v15
	s_delay_alu instid0(VALU_DEP_1) | instskip(NEXT) | instid1(VALU_DEP_1)
	v_div_fmas_f32 v12, v12, v13, v14
	v_div_fixup_f32 v2, v12, v2, v3
	ds_store_b32 v10, v2 offset:12
	s_wait_storecnt_dscnt 0x0
	ds_load_b32 v3, v9 offset:12
	ds_load_b32 v12, v8
	s_wait_dscnt 0x0
	v_fmac_f32_e32 v12, v2, v3
	ds_store_b32 v8, v12
.LBB7_99:
	s_or_b32 exec_lo, exec_lo, s1
	s_delay_alu instid0(SALU_CYCLE_1)
	s_mov_b32 s1, exec_lo
	s_wait_storecnt_dscnt 0x0
	v_cmpx_eq_u32_e32 4, v5
	s_cbranch_execz .LBB7_101
; %bb.100:
	v_mov_b32_e32 v12, 0
	ds_load_2addr_b32 v[2:3], v12 offset0:120 offset1:164
	s_wait_dscnt 0x0
	v_readfirstlane_b32 s12, v2
	v_readfirstlane_b32 s13, v3
	s_sub_f32 s12, s12, s13
	s_delay_alu instid0(SALU_CYCLE_3) | instskip(SKIP_2) | instid1(SALU_CYCLE_1)
	s_xor_b32 s13, s12, 0x80000000
	s_cmp_lt_f32 s12, 0
	s_cselect_b32 s12, s13, s12
	s_mul_f32 s13, s12, 0x4f800000
	s_cmp_lt_f32 s12, 0xf800000
	s_delay_alu instid0(SALU_CYCLE_2) | instskip(NEXT) | instid1(SALU_CYCLE_1)
	s_cselect_b32 s13, s13, s12
	v_s_sqrt_f32 s14, s13
	s_mov_b32 s18, s13
	s_delay_alu instid0(TRANS32_DEP_1) | instskip(NEXT) | instid1(SALU_CYCLE_1)
	s_add_co_i32 s15, s14, -1
	s_xor_b32 s19, s15, 0x80000000
	s_delay_alu instid0(SALU_CYCLE_1) | instskip(SKIP_1) | instid1(SALU_CYCLE_2)
	s_fmac_f32 s18, s19, s14
	s_mov_b32 s19, s13
	s_cmp_le_f32 s18, 0
	s_cselect_b32 s15, s15, s14
	s_add_co_i32 s18, s14, 1
	s_delay_alu instid0(SALU_CYCLE_1) | instskip(NEXT) | instid1(SALU_CYCLE_1)
	s_xor_b32 s20, s18, 0x80000000
	s_fmac_f32 s19, s20, s14
	s_delay_alu instid0(SALU_CYCLE_3) | instskip(SKIP_4) | instid1(SALU_CYCLE_2)
	s_cmp_gt_f32 s19, 0
	s_cselect_b32 s14, s18, s15
	s_cmp_lt_f32 s12, 0xf800000
	s_mul_f32 s12, s14, 0x37800000
	v_cmp_class_f32_e64 s15, s13, 0x260
	s_cselect_b32 s12, s12, s14
	s_and_b32 s14, s15, exec_lo
	s_cselect_b32 s12, s13, s12
	s_delay_alu instid0(SALU_CYCLE_1)
	v_mov_b32_e32 v2, s12
	ds_store_b32 v12, v2 offset:480
.LBB7_101:
	s_or_b32 exec_lo, exec_lo, s1
	v_mov_b32_e32 v2, 0
	s_wait_dscnt 0x0
	ds_load_b32 v2, v2 offset:480
	s_wait_dscnt 0x0
	v_readfirstlane_b32 s1, v2
	s_cmp_neq_f32 s1, 0
	s_cselect_b32 vcc_lo, -1, 0
	v_cndmask_b32_e32 v2, 1.0, v2, vcc_lo
	s_nor_b32 s12, vcc_lo, s0
	s_delay_alu instid0(SALU_CYCLE_1)
	s_and_saveexec_b32 s1, s12
	s_cbranch_execz .LBB7_105
; %bb.102:
	v_mbcnt_lo_u32_b32 v2, exec_lo, 0
	s_mov_b32 s12, exec_lo
	s_delay_alu instid0(VALU_DEP_1)
	v_cmpx_eq_u32_e32 0, v2
	s_cbranch_execz .LBB7_104
; %bb.103:
	v_dual_mov_b32 v2, 0 :: v_dual_mov_b32 v3, s5
	global_atomic_min_i32 v2, v3, s[10:11] scope:SCOPE_DEV
.LBB7_104:
	s_wait_xcnt 0x0
	s_or_b32 exec_lo, exec_lo, s12
	v_mov_b32_e32 v2, 1.0
.LBB7_105:
	s_or_b32 exec_lo, exec_lo, s1
	s_delay_alu instid0(SALU_CYCLE_1)
	s_mov_b32 s1, exec_lo
	v_cmpx_lt_u32_e32 4, v5
	s_cbranch_execz .LBB7_107
; %bb.106:
	ds_load_b32 v3, v10 offset:16
	ds_load_b32 v12, v11 offset:16
	s_wait_dscnt 0x0
	v_sub_f32_e32 v3, v3, v12
	s_delay_alu instid0(VALU_DEP_1) | instskip(NEXT) | instid1(VALU_DEP_1)
	v_div_scale_f32 v12, null, v2, v2, v3
	v_rcp_f32_e32 v13, v12
	v_nop
	s_delay_alu instid0(TRANS32_DEP_1) | instskip(NEXT) | instid1(VALU_DEP_1)
	v_fma_f32 v14, -v12, v13, 1.0
	v_fmac_f32_e32 v13, v14, v13
	v_div_scale_f32 v15, vcc_lo, v3, v2, v3
	s_delay_alu instid0(VALU_DEP_1) | instskip(NEXT) | instid1(VALU_DEP_1)
	v_mul_f32_e32 v14, v15, v13
	v_fma_f32 v16, -v12, v14, v15
	s_delay_alu instid0(VALU_DEP_1) | instskip(NEXT) | instid1(VALU_DEP_1)
	v_fmac_f32_e32 v14, v16, v13
	v_fma_f32 v12, -v12, v14, v15
	s_delay_alu instid0(VALU_DEP_1) | instskip(NEXT) | instid1(VALU_DEP_1)
	v_div_fmas_f32 v12, v12, v13, v14
	v_div_fixup_f32 v2, v12, v2, v3
	ds_store_b32 v10, v2 offset:16
	s_wait_storecnt_dscnt 0x0
	ds_load_b32 v3, v9 offset:16
	ds_load_b32 v12, v8
	s_wait_dscnt 0x0
	v_fmac_f32_e32 v12, v2, v3
	ds_store_b32 v8, v12
.LBB7_107:
	s_or_b32 exec_lo, exec_lo, s1
	s_delay_alu instid0(SALU_CYCLE_1)
	s_mov_b32 s1, exec_lo
	s_wait_storecnt_dscnt 0x0
	v_cmpx_eq_u32_e32 5, v5
	s_cbranch_execz .LBB7_109
; %bb.108:
	v_mov_b32_e32 v12, 0
	ds_load_2addr_b32 v[2:3], v12 offset0:128 offset1:172
	s_wait_dscnt 0x0
	v_readfirstlane_b32 s12, v2
	v_readfirstlane_b32 s13, v3
	s_sub_f32 s12, s12, s13
	s_delay_alu instid0(SALU_CYCLE_3) | instskip(SKIP_2) | instid1(SALU_CYCLE_1)
	s_xor_b32 s13, s12, 0x80000000
	s_cmp_lt_f32 s12, 0
	s_cselect_b32 s12, s13, s12
	s_mul_f32 s13, s12, 0x4f800000
	s_cmp_lt_f32 s12, 0xf800000
	s_delay_alu instid0(SALU_CYCLE_2) | instskip(NEXT) | instid1(SALU_CYCLE_1)
	s_cselect_b32 s13, s13, s12
	v_s_sqrt_f32 s14, s13
	s_mov_b32 s18, s13
	s_delay_alu instid0(TRANS32_DEP_1) | instskip(NEXT) | instid1(SALU_CYCLE_1)
	s_add_co_i32 s15, s14, -1
	s_xor_b32 s19, s15, 0x80000000
	s_delay_alu instid0(SALU_CYCLE_1) | instskip(SKIP_1) | instid1(SALU_CYCLE_2)
	s_fmac_f32 s18, s19, s14
	s_mov_b32 s19, s13
	s_cmp_le_f32 s18, 0
	s_cselect_b32 s15, s15, s14
	s_add_co_i32 s18, s14, 1
	s_delay_alu instid0(SALU_CYCLE_1) | instskip(NEXT) | instid1(SALU_CYCLE_1)
	s_xor_b32 s20, s18, 0x80000000
	s_fmac_f32 s19, s20, s14
	s_delay_alu instid0(SALU_CYCLE_3) | instskip(SKIP_4) | instid1(SALU_CYCLE_2)
	s_cmp_gt_f32 s19, 0
	s_cselect_b32 s14, s18, s15
	s_cmp_lt_f32 s12, 0xf800000
	s_mul_f32 s12, s14, 0x37800000
	v_cmp_class_f32_e64 s15, s13, 0x260
	s_cselect_b32 s12, s12, s14
	s_and_b32 s14, s15, exec_lo
	s_cselect_b32 s12, s13, s12
	s_delay_alu instid0(SALU_CYCLE_1)
	v_mov_b32_e32 v2, s12
	ds_store_b32 v12, v2 offset:512
.LBB7_109:
	s_or_b32 exec_lo, exec_lo, s1
	v_mov_b32_e32 v2, 0
	s_wait_dscnt 0x0
	ds_load_b32 v2, v2 offset:512
	s_wait_dscnt 0x0
	v_readfirstlane_b32 s1, v2
	s_cmp_neq_f32 s1, 0
	s_cselect_b32 vcc_lo, -1, 0
	v_cndmask_b32_e32 v2, 1.0, v2, vcc_lo
	s_nor_b32 s1, vcc_lo, s0
	s_delay_alu instid0(SALU_CYCLE_1)
	s_and_saveexec_b32 s0, s1
	s_cbranch_execz .LBB7_113
; %bb.110:
	v_mbcnt_lo_u32_b32 v2, exec_lo, 0
	s_mov_b32 s1, exec_lo
	s_delay_alu instid0(VALU_DEP_1)
	v_cmpx_eq_u32_e32 0, v2
	s_cbranch_execz .LBB7_112
; %bb.111:
	v_dual_mov_b32 v2, 0 :: v_dual_mov_b32 v3, s5
	global_atomic_min_i32 v2, v3, s[10:11] scope:SCOPE_DEV
.LBB7_112:
	s_wait_xcnt 0x0
	s_or_b32 exec_lo, exec_lo, s1
	v_mov_b32_e32 v2, 1.0
.LBB7_113:
	s_or_b32 exec_lo, exec_lo, s0
	s_delay_alu instid0(SALU_CYCLE_1)
	s_mov_b32 s0, exec_lo
	v_cmpx_lt_u32_e32 5, v5
	s_cbranch_execz .LBB7_115
; %bb.114:
	ds_load_b32 v3, v10 offset:20
	ds_load_b32 v11, v11 offset:20
	s_wait_dscnt 0x0
	v_sub_f32_e32 v3, v3, v11
	s_delay_alu instid0(VALU_DEP_1) | instskip(NEXT) | instid1(VALU_DEP_1)
	v_div_scale_f32 v11, null, v2, v2, v3
	v_rcp_f32_e32 v12, v11
	v_nop
	s_delay_alu instid0(TRANS32_DEP_1) | instskip(NEXT) | instid1(VALU_DEP_1)
	v_fma_f32 v13, -v11, v12, 1.0
	v_fmac_f32_e32 v12, v13, v12
	v_div_scale_f32 v14, vcc_lo, v3, v2, v3
	s_delay_alu instid0(VALU_DEP_1) | instskip(NEXT) | instid1(VALU_DEP_1)
	v_mul_f32_e32 v13, v14, v12
	v_fma_f32 v15, -v11, v13, v14
	s_delay_alu instid0(VALU_DEP_1) | instskip(NEXT) | instid1(VALU_DEP_1)
	v_fmac_f32_e32 v13, v15, v12
	v_fma_f32 v11, -v11, v13, v14
	s_delay_alu instid0(VALU_DEP_1) | instskip(NEXT) | instid1(VALU_DEP_1)
	v_div_fmas_f32 v11, v11, v12, v13
	v_div_fixup_f32 v2, v11, v2, v3
	ds_store_b32 v10, v2 offset:20
	s_wait_storecnt_dscnt 0x0
	ds_load_b32 v3, v9 offset:20
	ds_load_b32 v9, v8
	s_wait_dscnt 0x0
	v_fmac_f32_e32 v9, v2, v3
	ds_store_b32 v8, v9
.LBB7_115:
	s_or_b32 exec_lo, exec_lo, s0
	s_wait_storecnt_dscnt 0x0
	ds_load_b32 v0, v0
	s_and_not1_b32 vcc_lo, exec_lo, s4
	s_cbranch_vccnz .LBB7_117
; %bb.116:
	v_mov_b32_e32 v6, v7
.LBB7_117:
	s_delay_alu instid0(VALU_DEP_1)
	v_add_nc_u32_e32 v2, s26, v6
	s_mov_b32 s0, 0
	s_mov_b32 s1, exec_lo
	s_wait_dscnt 0x0
	global_store_b32 v2, v0, s[16:17] scale_offset
	s_wait_xcnt 0x0
	v_cmpx_eq_u32_e32 0, v1
	s_cbranch_execz .LBB7_119
; %bb.118:
	v_dual_mov_b32 v0, 0 :: v_dual_mov_b32 v1, 1
	s_add_nc_u64 s[4:5], s[6:7], s[2:3]
	global_wb scope:SCOPE_DEV
	s_wait_storecnt 0x0
	global_store_b32 v0, v1, s[4:5] scope:SCOPE_DEV
.LBB7_119:
	s_wait_xcnt 0x0
	s_or_b32 exec_lo, exec_lo, s1
	s_delay_alu instid0(SALU_CYCLE_1)
	s_and_b32 vcc_lo, exec_lo, s0
	s_cbranch_vccnz .LBB7_122
.LBB7_120:
	s_endpgm
.LBB7_121:
	s_cbranch_execz .LBB7_120
.LBB7_122:
	v_or_b32_e32 v0, v4, v5
	s_mov_b32 s0, exec_lo
	s_delay_alu instid0(VALU_DEP_1)
	v_cmpx_eq_u32_e32 0, v0
	s_cbranch_execz .LBB7_120
; %bb.123:
	v_mbcnt_lo_u32_b32 v0, exec_lo, 0
	s_mov_b32 s0, exec_lo
	s_delay_alu instid0(VALU_DEP_1)
	v_cmpx_eq_u32_e32 0, v0
	s_cbranch_execz .LBB7_125
; %bb.124:
	s_add_co_i32 s1, s8, s9
	s_delay_alu instid0(SALU_CYCLE_1)
	v_dual_mov_b32 v0, 0 :: v_dual_mov_b32 v1, s1
	global_atomic_min_i32 v0, v1, s[10:11] scope:SCOPE_DEV
.LBB7_125:
	s_wait_xcnt 0x0
	s_or_b32 exec_lo, exec_lo, s0
	v_dual_mov_b32 v0, 0 :: v_dual_mov_b32 v1, 1
	s_add_nc_u64 s[0:1], s[6:7], s[2:3]
	global_wb scope:SCOPE_DEV
	s_wait_storecnt 0x0
	global_store_b32 v0, v1, s[0:1] scope:SCOPE_DEV
	s_endpgm
	.section	.rodata,"a",@progbits
	.p2align	6, 0x0
	.amdhsa_kernel _ZN9rocsparseL26bsric0_2_8_unrolled_kernelILi36ELi32ELi6EfEEv20rocsparse_direction_iiPKiS3_PT2_S3_PiS3_S6_21rocsparse_index_base_
		.amdhsa_group_segment_fixed_size 1088
		.amdhsa_private_segment_fixed_size 0
		.amdhsa_kernarg_size 76
		.amdhsa_user_sgpr_count 2
		.amdhsa_user_sgpr_dispatch_ptr 0
		.amdhsa_user_sgpr_queue_ptr 0
		.amdhsa_user_sgpr_kernarg_segment_ptr 1
		.amdhsa_user_sgpr_dispatch_id 0
		.amdhsa_user_sgpr_kernarg_preload_length 0
		.amdhsa_user_sgpr_kernarg_preload_offset 0
		.amdhsa_user_sgpr_private_segment_size 0
		.amdhsa_wavefront_size32 1
		.amdhsa_uses_dynamic_stack 0
		.amdhsa_enable_private_segment 0
		.amdhsa_system_sgpr_workgroup_id_x 1
		.amdhsa_system_sgpr_workgroup_id_y 0
		.amdhsa_system_sgpr_workgroup_id_z 0
		.amdhsa_system_sgpr_workgroup_info 0
		.amdhsa_system_vgpr_workitem_id 1
		.amdhsa_next_free_vgpr 42
		.amdhsa_next_free_sgpr 37
		.amdhsa_named_barrier_count 0
		.amdhsa_reserve_vcc 1
		.amdhsa_float_round_mode_32 0
		.amdhsa_float_round_mode_16_64 0
		.amdhsa_float_denorm_mode_32 3
		.amdhsa_float_denorm_mode_16_64 3
		.amdhsa_fp16_overflow 0
		.amdhsa_memory_ordered 1
		.amdhsa_forward_progress 1
		.amdhsa_inst_pref_size 65
		.amdhsa_round_robin_scheduling 0
		.amdhsa_exception_fp_ieee_invalid_op 0
		.amdhsa_exception_fp_denorm_src 0
		.amdhsa_exception_fp_ieee_div_zero 0
		.amdhsa_exception_fp_ieee_overflow 0
		.amdhsa_exception_fp_ieee_underflow 0
		.amdhsa_exception_fp_ieee_inexact 0
		.amdhsa_exception_int_div_zero 0
	.end_amdhsa_kernel
	.section	.text._ZN9rocsparseL26bsric0_2_8_unrolled_kernelILi36ELi32ELi6EfEEv20rocsparse_direction_iiPKiS3_PT2_S3_PiS3_S6_21rocsparse_index_base_,"axG",@progbits,_ZN9rocsparseL26bsric0_2_8_unrolled_kernelILi36ELi32ELi6EfEEv20rocsparse_direction_iiPKiS3_PT2_S3_PiS3_S6_21rocsparse_index_base_,comdat
.Lfunc_end7:
	.size	_ZN9rocsparseL26bsric0_2_8_unrolled_kernelILi36ELi32ELi6EfEEv20rocsparse_direction_iiPKiS3_PT2_S3_PiS3_S6_21rocsparse_index_base_, .Lfunc_end7-_ZN9rocsparseL26bsric0_2_8_unrolled_kernelILi36ELi32ELi6EfEEv20rocsparse_direction_iiPKiS3_PT2_S3_PiS3_S6_21rocsparse_index_base_
                                        ; -- End function
	.set _ZN9rocsparseL26bsric0_2_8_unrolled_kernelILi36ELi32ELi6EfEEv20rocsparse_direction_iiPKiS3_PT2_S3_PiS3_S6_21rocsparse_index_base_.num_vgpr, 42
	.set _ZN9rocsparseL26bsric0_2_8_unrolled_kernelILi36ELi32ELi6EfEEv20rocsparse_direction_iiPKiS3_PT2_S3_PiS3_S6_21rocsparse_index_base_.num_agpr, 0
	.set _ZN9rocsparseL26bsric0_2_8_unrolled_kernelILi36ELi32ELi6EfEEv20rocsparse_direction_iiPKiS3_PT2_S3_PiS3_S6_21rocsparse_index_base_.numbered_sgpr, 37
	.set _ZN9rocsparseL26bsric0_2_8_unrolled_kernelILi36ELi32ELi6EfEEv20rocsparse_direction_iiPKiS3_PT2_S3_PiS3_S6_21rocsparse_index_base_.num_named_barrier, 0
	.set _ZN9rocsparseL26bsric0_2_8_unrolled_kernelILi36ELi32ELi6EfEEv20rocsparse_direction_iiPKiS3_PT2_S3_PiS3_S6_21rocsparse_index_base_.private_seg_size, 0
	.set _ZN9rocsparseL26bsric0_2_8_unrolled_kernelILi36ELi32ELi6EfEEv20rocsparse_direction_iiPKiS3_PT2_S3_PiS3_S6_21rocsparse_index_base_.uses_vcc, 1
	.set _ZN9rocsparseL26bsric0_2_8_unrolled_kernelILi36ELi32ELi6EfEEv20rocsparse_direction_iiPKiS3_PT2_S3_PiS3_S6_21rocsparse_index_base_.uses_flat_scratch, 0
	.set _ZN9rocsparseL26bsric0_2_8_unrolled_kernelILi36ELi32ELi6EfEEv20rocsparse_direction_iiPKiS3_PT2_S3_PiS3_S6_21rocsparse_index_base_.has_dyn_sized_stack, 0
	.set _ZN9rocsparseL26bsric0_2_8_unrolled_kernelILi36ELi32ELi6EfEEv20rocsparse_direction_iiPKiS3_PT2_S3_PiS3_S6_21rocsparse_index_base_.has_recursion, 0
	.set _ZN9rocsparseL26bsric0_2_8_unrolled_kernelILi36ELi32ELi6EfEEv20rocsparse_direction_iiPKiS3_PT2_S3_PiS3_S6_21rocsparse_index_base_.has_indirect_call, 0
	.section	.AMDGPU.csdata,"",@progbits
; Kernel info:
; codeLenInByte = 8220
; TotalNumSgprs: 39
; NumVgprs: 42
; ScratchSize: 0
; MemoryBound: 0
; FloatMode: 240
; IeeeMode: 1
; LDSByteSize: 1088 bytes/workgroup (compile time only)
; SGPRBlocks: 0
; VGPRBlocks: 2
; NumSGPRsForWavesPerEU: 39
; NumVGPRsForWavesPerEU: 42
; NamedBarCnt: 0
; Occupancy: 16
; WaveLimiterHint : 1
; COMPUTE_PGM_RSRC2:SCRATCH_EN: 0
; COMPUTE_PGM_RSRC2:USER_SGPR: 2
; COMPUTE_PGM_RSRC2:TRAP_HANDLER: 0
; COMPUTE_PGM_RSRC2:TGID_X_EN: 1
; COMPUTE_PGM_RSRC2:TGID_Y_EN: 0
; COMPUTE_PGM_RSRC2:TGID_Z_EN: 0
; COMPUTE_PGM_RSRC2:TIDIG_COMP_CNT: 1
	.section	.text._ZN9rocsparseL26bsric0_2_8_unrolled_kernelILi49ELi32ELi7EfEEv20rocsparse_direction_iiPKiS3_PT2_S3_PiS3_S6_21rocsparse_index_base_,"axG",@progbits,_ZN9rocsparseL26bsric0_2_8_unrolled_kernelILi49ELi32ELi7EfEEv20rocsparse_direction_iiPKiS3_PT2_S3_PiS3_S6_21rocsparse_index_base_,comdat
	.globl	_ZN9rocsparseL26bsric0_2_8_unrolled_kernelILi49ELi32ELi7EfEEv20rocsparse_direction_iiPKiS3_PT2_S3_PiS3_S6_21rocsparse_index_base_ ; -- Begin function _ZN9rocsparseL26bsric0_2_8_unrolled_kernelILi49ELi32ELi7EfEEv20rocsparse_direction_iiPKiS3_PT2_S3_PiS3_S6_21rocsparse_index_base_
	.p2align	8
	.type	_ZN9rocsparseL26bsric0_2_8_unrolled_kernelILi49ELi32ELi7EfEEv20rocsparse_direction_iiPKiS3_PT2_S3_PiS3_S6_21rocsparse_index_base_,@function
_ZN9rocsparseL26bsric0_2_8_unrolled_kernelILi49ELi32ELi7EfEEv20rocsparse_direction_iiPKiS3_PT2_S3_PiS3_S6_21rocsparse_index_base_: ; @_ZN9rocsparseL26bsric0_2_8_unrolled_kernelILi49ELi32ELi7EfEEv20rocsparse_direction_iiPKiS3_PT2_S3_PiS3_S6_21rocsparse_index_base_
; %bb.0:
	s_load_b256 s[4:11], s[0:1], 0x28
	s_bfe_u32 s2, ttmp6, 0x4000c
	s_and_b32 s3, ttmp6, 15
	s_add_co_i32 s2, s2, 1
	s_getreg_b32 s12, hwreg(HW_REG_IB_STS2, 6, 4)
	s_mul_i32 s2, ttmp9, s2
	v_and_b32_e32 v4, 0x3ff, v0
	s_add_co_i32 s3, s3, s2
	s_cmp_eq_u32 s12, 0
	v_bfe_u32 v5, v0, 10, 10
	s_cselect_b32 s2, ttmp9, s3
	s_wait_kmcnt 0x0
	s_load_b32 s8, s[8:9], s2 offset:0x0 scale_offset
	s_wait_kmcnt 0x0
	s_ashr_i32 s9, s8, 31
	s_delay_alu instid0(SALU_CYCLE_1) | instskip(NEXT) | instid1(SALU_CYCLE_1)
	s_lshl_b64 s[2:3], s[8:9], 2
	s_add_nc_u64 s[12:13], s[4:5], s[2:3]
	s_load_b32 s26, s[12:13], 0x0
	s_load_b32 s9, s[0:1], 0x48
	s_wait_kmcnt 0x0
	s_cmp_lg_u32 s26, -1
	s_cbranch_scc0 .LBB8_133
; %bb.1:
	s_clause 0x1
	s_load_b128 s[12:15], s[0:1], 0x10
	s_load_b64 s[16:17], s[0:1], 0x20
	v_mad_u32_u24 v6, v5, 7, v4
	v_mul_u32_u24_e32 v11, 7, v5
	s_wait_kmcnt 0x0
	s_add_nc_u64 s[18:19], s[12:13], s[2:3]
	s_load_b32 s19, s[18:19], 0x0
	s_wait_xcnt 0x0
	s_mov_b32 s18, exec_lo
	s_wait_kmcnt 0x0
	s_sub_co_i32 s27, s19, s9
	s_delay_alu instid0(SALU_CYCLE_1) | instskip(NEXT) | instid1(VALU_DEP_1)
	v_add_nc_u32_e32 v0, s27, v6
	v_cmpx_ge_i32_e64 s26, v0
	s_cbranch_execz .LBB8_14
; %bb.2:
	v_add_nc_u32_e32 v1, s19, v4
	s_add_co_i32 s20, s26, 1
	s_mov_b32 s21, -1
	s_delay_alu instid0(VALU_DEP_1) | instskip(NEXT) | instid1(VALU_DEP_1)
	v_add_nc_u32_e32 v2, v1, v11
	v_subrev_nc_u32_e32 v2, s9, v2
	s_delay_alu instid0(VALU_DEP_1) | instskip(SKIP_1) | instid1(VALU_DEP_1)
	v_add_max_i32_e64 v2, v2, 49, s20
	s_mov_b32 s20, exec_lo
	v_add_nc_u32_e32 v2, s9, v2
	s_delay_alu instid0(VALU_DEP_1) | instskip(NEXT) | instid1(VALU_DEP_1)
	v_sub_nc_u32_e32 v1, v2, v1
	v_subrev_nc_u32_e32 v1, 49, v1
	s_delay_alu instid0(VALU_DEP_1) | instskip(SKIP_1) | instid1(VALU_DEP_1)
	v_cmp_ne_u32_e32 vcc_lo, v1, v11
	v_add_co_ci_u32_e64 v2, null, 0, v11, vcc_lo
	v_sub_nc_u32_e32 v1, v1, v2
	s_delay_alu instid0(VALU_DEP_1) | instskip(NEXT) | instid1(VALU_DEP_1)
	v_mul_hi_u32 v1, 0x5397829d, v1
	v_lshrrev_b32_e32 v1, 4, v1
	s_delay_alu instid0(VALU_DEP_1) | instskip(NEXT) | instid1(VALU_DEP_1)
	v_add_co_ci_u32_e64 v7, null, 0, v1, vcc_lo
	v_cmpx_ne_u32_e32 0, v7
	s_cbranch_execz .LBB8_11
; %bb.3:
	v_add_nc_u32_e32 v1, -1, v7
	s_mov_b32 s21, exec_lo
	s_delay_alu instid0(VALU_DEP_1) | instskip(NEXT) | instid1(VALU_DEP_1)
	v_dual_lshrrev_b32 v2, 1, v1 :: v_dual_add_nc_u32 v1, 49, v0
	v_add_nc_u32_e32 v8, 1, v2
	s_delay_alu instid0(VALU_DEP_2)
	v_mov_b64_e32 v[2:3], v[0:1]
	v_cmpx_lt_u32_e32 14, v7
	s_cbranch_execz .LBB8_7
; %bb.4:
	v_mov_b64_e32 v[2:3], v[0:1]
	v_and_b32_e32 v9, -8, v8
	s_mov_b32 s22, 0
.LBB8_5:                                ; =>This Inner Loop Header: Depth=1
	s_clause 0x1
	global_load_b32 v1, v2, s[14:15] scale_offset
	global_load_b32 v10, v3, s[14:15] scale_offset
	v_add_nc_u32_e32 v18, 0x188, v3
	v_add_nc_u32_e32 v16, 0x126, v3
	v_add_nc_u32_e32 v14, 0xc4, v3
	v_add_nc_u32_e32 v12, 0x62, v3
	v_add_nc_u32_e32 v13, 0x62, v2
	v_add_nc_u32_e32 v15, 0xc4, v2
	v_add_nc_u32_e32 v17, 0x126, v2
	v_add_nc_u32_e32 v19, 0x188, v2
	v_add_nc_u32_e32 v20, 0x1ea, v3
	v_add_nc_u32_e32 v21, 0x1ea, v2
	v_add_nc_u32_e32 v22, 0x24c, v3
	v_add_nc_u32_e32 v23, 0x24c, v2
	v_add_nc_u32_e32 v24, 0x2ae, v3
	v_add_nc_u32_e32 v25, 0x2ae, v2
	s_clause 0xd
	global_load_b32 v26, v18, s[14:15] scale_offset
	global_load_b32 v27, v16, s[14:15] scale_offset
	global_load_b32 v28, v14, s[14:15] scale_offset
	global_load_b32 v29, v12, s[14:15] scale_offset
	global_load_b32 v30, v13, s[14:15] scale_offset
	global_load_b32 v31, v15, s[14:15] scale_offset
	global_load_b32 v32, v17, s[14:15] scale_offset
	global_load_b32 v33, v19, s[14:15] scale_offset
	global_load_b32 v34, v24, s[14:15] scale_offset
	global_load_b32 v35, v22, s[14:15] scale_offset
	global_load_b32 v36, v20, s[14:15] scale_offset
	global_load_b32 v37, v21, s[14:15] scale_offset
	global_load_b32 v38, v23, s[14:15] scale_offset
	global_load_b32 v39, v25, s[14:15] scale_offset
	v_subrev_nc_u32_e32 v40, s27, v2
	v_subrev_nc_u32_e32 v41, s27, v3
	v_add_nc_u32_e32 v9, -8, v9
	s_wait_xcnt 0xa
	v_subrev_nc_u32_e32 v12, s27, v12
	s_wait_xcnt 0x9
	v_subrev_nc_u32_e32 v13, s27, v13
	v_dual_lshlrev_b32 v40, 2, v40 :: v_dual_lshlrev_b32 v41, 2, v41
	s_wait_xcnt 0x8
	v_subrev_nc_u32_e32 v15, s27, v15
	v_subrev_nc_u32_e32 v14, s27, v14
	v_cmp_eq_u32_e32 vcc_lo, 0, v9
	s_wait_xcnt 0x7
	v_subrev_nc_u32_e32 v17, s27, v17
	v_add_nc_u32_e32 v3, 0x310, v3
	v_subrev_nc_u32_e32 v16, s27, v16
	v_subrev_nc_u32_e32 v18, s27, v18
	s_wait_xcnt 0x6
	v_subrev_nc_u32_e32 v19, s27, v19
	s_wait_xcnt 0x3
	;; [unrolled: 2-line block ×3, first 2 shown]
	v_subrev_nc_u32_e32 v21, s27, v21
	v_subrev_nc_u32_e32 v22, s27, v22
	s_wait_xcnt 0x1
	v_subrev_nc_u32_e32 v23, s27, v23
	v_subrev_nc_u32_e32 v24, s27, v24
	s_wait_xcnt 0x0
	v_subrev_nc_u32_e32 v25, s27, v25
	v_add_nc_u32_e32 v2, 0x310, v2
	v_dual_lshlrev_b32 v13, 2, v13 :: v_dual_lshlrev_b32 v15, 2, v15
	v_dual_lshlrev_b32 v12, 2, v12 :: v_dual_lshlrev_b32 v14, 2, v14
	v_lshlrev_b32_e32 v17, 2, v17
	s_or_b32 s22, vcc_lo, s22
	v_dual_lshlrev_b32 v16, 2, v16 :: v_dual_lshlrev_b32 v19, 2, v19
	v_dual_lshlrev_b32 v18, 2, v18 :: v_dual_lshlrev_b32 v21, 2, v21
	;; [unrolled: 1-line block ×4, first 2 shown]
	v_lshlrev_b32_e32 v24, 2, v24
	s_wait_loadcnt 0xf
	v_subrev_nc_u32_e32 v1, s9, v1
	s_wait_loadcnt 0xe
	v_subrev_nc_u32_e32 v10, s9, v10
	ds_store_b32 v40, v1 offset:1152
	ds_store_b32 v41, v10 offset:1152
	s_wait_loadcnt 0xa
	v_subrev_nc_u32_e32 v1, s9, v29
	s_wait_loadcnt 0x9
	v_subrev_nc_u32_e32 v10, s9, v30
	;; [unrolled: 2-line block ×3, first 2 shown]
	v_subrev_nc_u32_e32 v28, s9, v28
	s_wait_loadcnt 0x7
	v_subrev_nc_u32_e32 v30, s9, v32
	v_subrev_nc_u32_e32 v27, s9, v27
	;; [unrolled: 1-line block ×3, first 2 shown]
	s_wait_loadcnt 0x6
	v_subrev_nc_u32_e32 v31, s9, v33
	s_wait_loadcnt 0x3
	v_subrev_nc_u32_e32 v32, s9, v36
	s_wait_loadcnt 0x2
	v_subrev_nc_u32_e32 v33, s9, v37
	v_subrev_nc_u32_e32 v35, s9, v35
	s_wait_loadcnt 0x1
	v_subrev_nc_u32_e32 v36, s9, v38
	v_subrev_nc_u32_e32 v34, s9, v34
	s_wait_loadcnt 0x0
	v_subrev_nc_u32_e32 v37, s9, v39
	ds_store_b32 v13, v10 offset:1152
	ds_store_b32 v12, v1 offset:1152
	;; [unrolled: 1-line block ×14, first 2 shown]
	s_and_not1_b32 exec_lo, exec_lo, s22
	s_cbranch_execnz .LBB8_5
; %bb.6:
	s_or_b32 exec_lo, exec_lo, s22
.LBB8_7:
	s_delay_alu instid0(SALU_CYCLE_1) | instskip(SKIP_3) | instid1(VALU_DEP_1)
	s_or_b32 exec_lo, exec_lo, s21
	v_and_b32_e32 v1, 7, v8
	s_mov_b32 s22, 0
	s_mov_b32 s21, exec_lo
	v_cmpx_ne_u32_e32 0, v1
	s_cbranch_execz .LBB8_10
; %bb.8:
	v_sub_nc_u32_e32 v1, 0, v1
.LBB8_9:                                ; =>This Inner Loop Header: Depth=1
	s_clause 0x1
	global_load_b32 v8, v3, s[14:15] scale_offset
	global_load_b32 v9, v2, s[14:15] scale_offset
	v_subrev_nc_u32_e32 v10, s27, v2
	v_subrev_nc_u32_e32 v12, s27, v3
	s_wait_xcnt 0x1
	v_add_nc_u32_e32 v3, 0x62, v3
	s_wait_xcnt 0x0
	v_add_nc_u32_e32 v2, 0x62, v2
	v_add_co_u32 v1, s23, v1, 1
	v_dual_lshlrev_b32 v10, 2, v10 :: v_dual_lshlrev_b32 v12, 2, v12
	s_or_b32 s22, s23, s22
	s_wait_loadcnt 0x1
	v_subrev_nc_u32_e32 v8, s9, v8
	s_wait_loadcnt 0x0
	v_subrev_nc_u32_e32 v9, s9, v9
	ds_store_b32 v10, v9 offset:1152
	ds_store_b32 v12, v8 offset:1152
	s_and_not1_b32 exec_lo, exec_lo, s22
	s_cbranch_execnz .LBB8_9
.LBB8_10:
	s_or_b32 exec_lo, exec_lo, s21
	v_add_nc_u32_e32 v1, 1, v7
	s_delay_alu instid0(VALU_DEP_1) | instskip(NEXT) | instid1(VALU_DEP_1)
	v_and_b32_e32 v2, 0x1ffffffe, v1
	v_mad_u32 v0, v2, 49, v0
	v_cmp_ne_u32_e32 vcc_lo, v1, v2
	s_or_not1_b32 s21, vcc_lo, exec_lo
.LBB8_11:
	s_or_b32 exec_lo, exec_lo, s20
	s_delay_alu instid0(SALU_CYCLE_1)
	s_and_b32 exec_lo, exec_lo, s21
	s_cbranch_execz .LBB8_14
; %bb.12:
	s_delay_alu instid0(VALU_DEP_2) | instskip(NEXT) | instid1(VALU_DEP_1)
	v_add_nc_u32_e32 v1, s9, v0
	v_subrev_nc_u32_e32 v2, s19, v1
	v_ashrrev_i32_e32 v1, 31, v0
	s_mov_b32 s19, 0
	s_delay_alu instid0(VALU_DEP_2) | instskip(NEXT) | instid1(VALU_DEP_2)
	v_lshl_add_u32 v7, v2, 2, 0x480
	v_lshl_add_u64 v[2:3], v[0:1], 2, s[14:15]
.LBB8_13:                               ; =>This Inner Loop Header: Depth=1
	global_load_b32 v1, v[2:3], off
	v_add_nc_u32_e32 v0, 49, v0
	s_wait_xcnt 0x0
	v_add_nc_u64_e32 v[2:3], 0xc4, v[2:3]
	s_delay_alu instid0(VALU_DEP_2)
	v_cmp_lt_i32_e32 vcc_lo, s26, v0
	s_or_b32 s19, vcc_lo, s19
	s_wait_loadcnt 0x0
	v_subrev_nc_u32_e32 v1, s9, v1
	ds_store_b32 v7, v1
	v_add_nc_u32_e32 v7, 0xc4, v7
	s_and_not1_b32 exec_lo, exec_lo, s19
	s_cbranch_execnz .LBB8_13
.LBB8_14:
	s_or_b32 exec_lo, exec_lo, s18
	s_load_b32 s1, s[0:1], 0x0
	v_lshl_add_u32 v10, v5, 5, 0x2a0
	v_mov_b32_e32 v12, 0
	v_mad_u32_u24 v7, v4, 7, v5
	v_lshl_add_u32 v9, v4, 5, 0x1c0
	s_cmp_ge_i32 s27, s26
	v_lshl_add_u32 v8, v4, 2, v10
	ds_store_b32 v8, v12
	s_wait_dscnt 0x0
	s_cbranch_scc1 .LBB8_69
; %bb.15:
	s_wait_kmcnt 0x0
	s_cmp_lg_u32 s1, 0
	v_dual_lshlrev_b32 v0, 5, v5 :: v_dual_lshlrev_b32 v2, 2, v4
	v_mad_u32_u24 v1, v4, 7, v5
	s_cselect_b32 s28, -1, 0
	s_cmp_eq_u32 s1, 0
	s_delay_alu instid0(VALU_DEP_2)
	v_add_nc_u32_e32 v15, 0xe0, v0
	s_cselect_b32 vcc_lo, -1, 0
	v_dual_cndmask_b32 v19, v1, v6 :: v_dual_add_nc_u32 v14, 0x1c0, v0
	v_or_b32_e32 v3, v4, v5
	v_mul_u32_u24_e32 v13, 7, v4
	v_dual_add_nc_u32 v17, v0, v2 :: v_dual_add_nc_u32 v18, v15, v2
	s_delay_alu instid0(VALU_DEP_4) | instskip(NEXT) | instid1(VALU_DEP_4)
	v_add_nc_u32_e32 v16, v14, v2
	v_cmp_ne_u32_e64 s0, 0, v3
	s_mov_b32 s18, s27
	s_branch .LBB8_19
.LBB8_16:                               ;   in Loop: Header=BB8_19 Depth=1
	s_wait_xcnt 0x0
	s_or_b32 exec_lo, exec_lo, s21
	v_mov_b32_e32 v3, 1.0
.LBB8_17:                               ;   in Loop: Header=BB8_19 Depth=1
	s_or_b32 exec_lo, exec_lo, s20
	ds_load_b128 v[20:23], v14
	ds_load_b128 v[24:27], v12 offset:192
	ds_load_b32 v32, v15 offset:24
	ds_load_b64 v[28:29], v12 offset:208
	ds_load_b64 v[30:31], v14 offset:16
	s_add_co_i32 s18, s18, 1
	s_delay_alu instid0(SALU_CYCLE_1) | instskip(SKIP_3) | instid1(VALU_DEP_1)
	s_cmp_ge_i32 s18, s26
	s_cselect_b32 s24, -1, 0
	s_wait_dscnt 0x2
	v_fmac_f32_e32 v32, v24, v20
	v_fmac_f32_e32 v32, v25, v21
	s_delay_alu instid0(VALU_DEP_1) | instskip(NEXT) | instid1(VALU_DEP_1)
	v_fmac_f32_e32 v32, v26, v22
	v_fmac_f32_e32 v32, v27, v23
	s_wait_dscnt 0x0
	s_delay_alu instid0(VALU_DEP_1) | instskip(NEXT) | instid1(VALU_DEP_1)
	v_fmac_f32_e32 v32, v28, v30
	v_fmac_f32_e32 v32, v29, v31
	s_delay_alu instid0(VALU_DEP_1) | instskip(NEXT) | instid1(VALU_DEP_1)
	v_sub_f32_e32 v2, v2, v32
	v_div_scale_f32 v20, null, v3, v3, v2
	v_div_scale_f32 v23, vcc_lo, v2, v3, v2
	s_delay_alu instid0(VALU_DEP_2) | instskip(SKIP_1) | instid1(TRANS32_DEP_1)
	v_rcp_f32_e32 v21, v20
	v_nop
	v_fma_f32 v22, -v20, v21, 1.0
	s_delay_alu instid0(VALU_DEP_1) | instskip(NEXT) | instid1(VALU_DEP_1)
	v_fmac_f32_e32 v21, v22, v21
	v_mul_f32_e32 v22, v23, v21
	s_delay_alu instid0(VALU_DEP_1) | instskip(NEXT) | instid1(VALU_DEP_1)
	v_fma_f32 v24, -v20, v22, v23
	v_fmac_f32_e32 v22, v24, v21
	s_delay_alu instid0(VALU_DEP_1) | instskip(NEXT) | instid1(VALU_DEP_1)
	v_fma_f32 v20, -v20, v22, v23
	v_div_fmas_f32 v20, v20, v21, v22
	s_delay_alu instid0(VALU_DEP_1)
	v_div_fixup_f32 v2, v20, v3, v2
	ds_store_b32 v14, v2 offset:24
	s_wait_storecnt_dscnt 0x0
	ds_load_b32 v3, v9 offset:24
	ds_load_b32 v20, v8
	s_wait_dscnt 0x0
	v_fmac_f32_e32 v20, v2, v3
	ds_store_b32 v8, v20
	s_wait_dscnt 0x0
	ds_load_b32 v2, v16
	s_wait_dscnt 0x0
	global_store_b32 v[0:1], v2, off
	global_wb scope:SCOPE_DEV
	s_wait_storecnt 0x0
	global_inv scope:SCOPE_DEV
.LBB8_18:                               ;   in Loop: Header=BB8_19 Depth=1
	s_and_b32 vcc_lo, exec_lo, s24
	s_cbranch_vccnz .LBB8_69
.LBB8_19:                               ; =>This Loop Header: Depth=1
                                        ;     Child Loop BB8_22 Depth 2
                                        ;     Child Loop BB8_33 Depth 2
	;; [unrolled: 1-line block ×3, first 2 shown]
	s_ashr_i32 s19, s18, 31
	s_delay_alu instid0(SALU_CYCLE_1) | instskip(NEXT) | instid1(SALU_CYCLE_1)
	s_lshl_b64 s[20:21], s[18:19], 2
	s_add_nc_u64 s[20:21], s[14:15], s[20:21]
	s_load_b32 s19, s[20:21], 0x0
	s_wait_kmcnt 0x0
	s_sub_co_i32 s22, s19, s9
	s_delay_alu instid0(SALU_CYCLE_1) | instskip(SKIP_2) | instid1(SALU_CYCLE_1)
	s_ashr_i32 s23, s22, 31
	s_wait_xcnt 0x0
	s_lshl_b64 s[20:21], s[22:23], 2
	s_add_nc_u64 s[24:25], s[4:5], s[20:21]
	s_load_b32 s23, s[24:25], 0x0
	s_wait_xcnt 0x0
	s_mov_b32 s24, -1
	s_wait_kmcnt 0x0
	s_cmp_eq_u32 s23, -1
	s_cbranch_scc1 .LBB8_18
; %bb.20:                               ;   in Loop: Header=BB8_19 Depth=1
	v_mad_u32 v0, s18, 49, v19
	s_add_nc_u64 s[24:25], s[12:13], s[20:21]
	ds_load_b32 v2, v12 offset:1152
	s_load_b32 s24, s[24:25], 0x0
	global_load_b32 v1, v0, s[16:17] scale_offset
	s_wait_dscnt 0x0
	v_cmp_ge_i32_e32 vcc_lo, s22, v2
	s_wait_kmcnt 0x0
	s_sub_co_i32 s24, s24, s9
	s_delay_alu instid0(SALU_CYCLE_1) | instskip(SKIP_1) | instid1(SALU_CYCLE_1)
	s_cmp_le_i32 s24, s23
	s_cselect_b32 s25, -1, 0
	s_and_b32 s25, s25, vcc_lo
	s_delay_alu instid0(SALU_CYCLE_1)
	s_and_not1_b32 vcc_lo, exec_lo, s25
	s_mov_b32 s25, 0
	s_wait_loadcnt 0x0
	ds_store_b32 v16, v1
	s_cbranch_vccnz .LBB8_32
; %bb.21:                               ;   in Loop: Header=BB8_19 Depth=1
	s_mov_b32 s29, 0
	s_mov_b32 s30, 0
.LBB8_22:                               ;   Parent Loop BB8_19 Depth=1
                                        ; =>  This Inner Loop Header: Depth=2
	s_ashr_i32 s25, s24, 31
	s_lshl_b32 s31, s30, 2
	s_lshl_b64 s[34:35], s[24:25], 2
	v_mov_b32_e32 v1, s31
	s_add_nc_u64 s[34:35], s[14:15], s[34:35]
                                        ; implicit-def: $sgpr33
	s_load_b32 s25, s[34:35], 0x0
	s_wait_xcnt 0x0
	s_mov_b32 s35, -1
	ds_load_b32 v1, v1 offset:1152
                                        ; implicit-def: $sgpr34
	s_wait_kmcnt 0x0
	s_sub_co_i32 s36, s25, s9
                                        ; implicit-def: $sgpr25
	s_wait_dscnt 0x0
	v_readfirstlane_b32 s31, v1
	v_cmp_ge_i32_e32 vcc_lo, s36, v1
	s_cbranch_vccz .LBB8_28
; %bb.23:                               ;   in Loop: Header=BB8_22 Depth=2
	s_cmp_le_i32 s36, s31
                                        ; implicit-def: $sgpr25
                                        ; implicit-def: $sgpr34
                                        ; implicit-def: $sgpr33
	s_cbranch_scc0 .LBB8_25
; %bb.24:                               ;   in Loop: Header=BB8_22 Depth=2
	s_add_co_i32 s25, s30, s27
	s_lshl_b32 s33, s29, 2
	s_mul_i32 s25, s25, 49
	s_mul_i32 s34, s24, 49
	s_delay_alu instid0(SALU_CYCLE_1)
	v_dual_mov_b32 v1, s25 :: v_dual_mov_b32 v2, s34
	v_add_nc_u32_e64 v3, 0x200, s33
	s_add_co_i32 s33, s30, 1
	s_add_co_i32 s34, s24, 1
	;; [unrolled: 1-line block ×3, first 2 shown]
	s_mov_b32 s35, 0
	ds_store_2addr_b32 v3, v2, v1 offset0:96 offset1:128
.LBB8_25:                               ;   in Loop: Header=BB8_22 Depth=2
	s_and_not1_b32 vcc_lo, exec_lo, s35
	s_cbranch_vccnz .LBB8_27
; %bb.26:                               ;   in Loop: Header=BB8_22 Depth=2
	s_add_co_i32 s33, s30, 1
	s_mov_b32 s25, s29
	s_mov_b32 s34, s24
.LBB8_27:                               ;   in Loop: Header=BB8_22 Depth=2
	s_mov_b32 s35, 0
.LBB8_28:                               ;   in Loop: Header=BB8_22 Depth=2
	s_delay_alu instid0(SALU_CYCLE_1)
	s_and_not1_b32 vcc_lo, exec_lo, s35
	s_cbranch_vccnz .LBB8_30
; %bb.29:                               ;   in Loop: Header=BB8_22 Depth=2
	s_add_co_i32 s34, s24, 1
	s_mov_b32 s33, s30
	s_mov_b32 s25, s29
.LBB8_30:                               ;   in Loop: Header=BB8_22 Depth=2
	s_cmp_le_i32 s34, s23
	s_cselect_b32 s24, -1, 0
	s_cmp_le_i32 s31, s22
	s_cselect_b32 s29, -1, 0
	s_delay_alu instid0(SALU_CYCLE_1) | instskip(NEXT) | instid1(SALU_CYCLE_1)
	s_and_b32 s24, s24, s29
	s_and_b32 vcc_lo, exec_lo, s24
	s_cbranch_vccz .LBB8_32
; %bb.31:                               ;   in Loop: Header=BB8_22 Depth=2
	s_mov_b32 s29, s25
	s_mov_b32 s24, s34
	;; [unrolled: 1-line block ×3, first 2 shown]
	s_branch .LBB8_22
.LBB8_32:                               ;   in Loop: Header=BB8_19 Depth=1
	v_ashrrev_i32_e32 v1, 31, v0
	s_add_nc_u64 s[20:21], s[6:7], s[20:21]
	s_wait_dscnt 0x0
	s_wait_xcnt 0x0
	s_delay_alu instid0(VALU_DEP_1)
	v_lshl_add_u64 v[0:1], v[0:1], 2, s[16:17]
.LBB8_33:                               ;   Parent Loop BB8_19 Depth=1
                                        ; =>  This Inner Loop Header: Depth=2
	global_load_b32 v2, v12, s[20:21] scope:SCOPE_DEV
	s_wait_loadcnt 0x0
	v_cmp_eq_u32_e32 vcc_lo, 0, v2
	s_cbranch_vccnz .LBB8_33
; %bb.34:                               ;   in Loop: Header=BB8_19 Depth=1
	v_mad_u32 v2, s23, 49, v19
	global_inv scope:SCOPE_DEV
	v_mov_b32_e32 v21, 0
	s_cmp_lt_i32 s25, 2
	global_load_b32 v2, v2, s[16:17] scale_offset
	s_wait_loadcnt 0x0
	ds_store_b32 v17, v2
	s_wait_dscnt 0x0
	s_cbranch_scc1 .LBB8_42
; %bb.35:                               ;   in Loop: Header=BB8_19 Depth=1
	v_mov_b32_e32 v20, 0
	s_add_co_i32 s20, s25, -1
	s_movk_i32 s21, 0x380
.LBB8_36:                               ;   Parent Loop BB8_19 Depth=1
                                        ; =>  This Inner Loop Header: Depth=2
	s_wait_dscnt 0x0
	v_mov_b32_e32 v2, s21
	s_and_b32 vcc_lo, exec_lo, s28
	s_mov_b32 s22, -1
                                        ; implicit-def: $vgpr21
	ds_load_2addr_b32 v[2:3], v2 offset1:32
	s_cbranch_vccz .LBB8_39
; %bb.37:                               ;   in Loop: Header=BB8_36 Depth=2
	s_wait_dscnt 0x0
	v_dual_add_nc_u32 v21, v2, v4 :: v_dual_add_nc_u32 v22, v3, v5
	s_clause 0x1
	global_load_b32 v23, v21, s[16:17] scale_offset
	global_load_b32 v24, v22, s[16:17] scale_offset
	v_dual_add_nc_u32 v25, 7, v21 :: v_dual_add_nc_u32 v26, 7, v22
	v_dual_add_nc_u32 v27, 14, v21 :: v_dual_add_nc_u32 v28, 14, v22
	s_clause 0x3
	global_load_b32 v29, v25, s[16:17] scale_offset
	global_load_b32 v30, v26, s[16:17] scale_offset
	;; [unrolled: 1-line block ×4, first 2 shown]
	s_wait_xcnt 0x2
	v_dual_add_nc_u32 v25, 21, v21 :: v_dual_add_nc_u32 v26, 21, v22
	s_wait_xcnt 0x0
	v_dual_add_nc_u32 v27, 28, v21 :: v_dual_add_nc_u32 v28, 28, v22
	s_clause 0x3
	global_load_b32 v33, v25, s[16:17] scale_offset
	global_load_b32 v34, v26, s[16:17] scale_offset
	;; [unrolled: 1-line block ×4, first 2 shown]
	s_wait_xcnt 0x2
	v_dual_add_nc_u32 v25, 35, v21 :: v_dual_add_nc_u32 v26, 35, v22
	v_dual_add_nc_u32 v21, 42, v21 :: v_dual_add_nc_u32 v22, 42, v22
	s_clause 0x3
	global_load_b32 v27, v25, s[16:17] scale_offset
	global_load_b32 v28, v26, s[16:17] scale_offset
	;; [unrolled: 1-line block ×4, first 2 shown]
	s_wait_loadcnt 0xc
	s_wait_xcnt 0x1
	v_fma_f32 v21, v23, v24, v20
	s_wait_loadcnt 0xa
	s_delay_alu instid0(VALU_DEP_1) | instskip(SKIP_1) | instid1(VALU_DEP_1)
	v_fmac_f32_e32 v21, v29, v30
	s_wait_loadcnt 0x8
	v_fmac_f32_e32 v21, v31, v32
	s_wait_loadcnt 0x6
	s_delay_alu instid0(VALU_DEP_1) | instskip(SKIP_1) | instid1(VALU_DEP_1)
	v_fmac_f32_e32 v21, v33, v34
	s_wait_loadcnt 0x4
	v_fmac_f32_e32 v21, v35, v36
	;; [unrolled: 5-line block ×3, first 2 shown]
	s_cbranch_execz .LBB8_40
.LBB8_38:                               ;   in Loop: Header=BB8_36 Depth=2
	s_add_co_i32 s20, s20, -1
	s_add_co_i32 s21, s21, 4
	s_cmp_eq_u32 s20, 0
	s_cbranch_scc0 .LBB8_41
	s_branch .LBB8_42
.LBB8_39:                               ;   in Loop: Header=BB8_36 Depth=2
	s_and_not1_b32 vcc_lo, exec_lo, s22
	s_cbranch_vccnz .LBB8_38
.LBB8_40:                               ;   in Loop: Header=BB8_36 Depth=2
	s_wait_dscnt 0x0
	v_dual_add_nc_u32 v22, v3, v11 :: v_dual_add_nc_u32 v2, v2, v13
	s_delay_alu instid0(VALU_DEP_1) | instskip(NEXT) | instid1(VALU_DEP_2)
	v_ashrrev_i32_e32 v23, 31, v22
	v_ashrrev_i32_e32 v3, 31, v2
	s_delay_alu instid0(VALU_DEP_2) | instskip(NEXT) | instid1(VALU_DEP_2)
	v_lshl_add_u64 v[38:39], v[22:23], 2, s[16:17]
	v_lshl_add_u64 v[2:3], v[2:3], 2, s[16:17]
	s_clause 0x3
	global_load_b128 v[22:25], v[38:39], off
	global_load_b128 v[26:29], v[2:3], off
	global_load_b96 v[30:32], v[2:3], off offset:16
	global_load_b96 v[34:36], v[38:39], off offset:16
	s_wait_loadcnt 0x2
	v_fmac_f32_e32 v20, v26, v22
	s_delay_alu instid0(VALU_DEP_1) | instskip(NEXT) | instid1(VALU_DEP_1)
	v_fmac_f32_e32 v20, v27, v23
	v_fmac_f32_e32 v20, v28, v24
	s_delay_alu instid0(VALU_DEP_1) | instskip(SKIP_1) | instid1(VALU_DEP_1)
	v_fmac_f32_e32 v20, v29, v25
	s_wait_loadcnt 0x0
	v_fmac_f32_e32 v20, v30, v34
	s_delay_alu instid0(VALU_DEP_1) | instskip(NEXT) | instid1(VALU_DEP_1)
	v_fmac_f32_e32 v20, v31, v35
	v_fmac_f32_e32 v20, v32, v36
	s_delay_alu instid0(VALU_DEP_1)
	v_mov_b32_e32 v21, v20
	s_add_co_i32 s20, s20, -1
	s_add_co_i32 s21, s21, 4
	s_cmp_eq_u32 s20, 0
	s_cbranch_scc1 .LBB8_42
.LBB8_41:                               ;   in Loop: Header=BB8_36 Depth=2
	v_mov_b32_e32 v20, v21
	s_branch .LBB8_36
.LBB8_42:                               ;   in Loop: Header=BB8_19 Depth=1
	ds_store_b32 v18, v21
	s_wait_dscnt 0x0
	ds_load_b32 v3, v12
	ds_load_b32 v2, v14
	s_wait_dscnt 0x1
	v_readfirstlane_b32 s20, v3
	s_cmp_neq_f32 s20, 0
	s_cselect_b32 vcc_lo, -1, 0
	v_cndmask_b32_e32 v3, 1.0, v3, vcc_lo
	s_nor_b32 s21, vcc_lo, s0
	s_delay_alu instid0(SALU_CYCLE_1)
	s_and_saveexec_b32 s20, s21
	s_cbranch_execz .LBB8_46
; %bb.43:                               ;   in Loop: Header=BB8_19 Depth=1
	v_mbcnt_lo_u32_b32 v3, exec_lo, 0
	s_mov_b32 s21, exec_lo
	s_delay_alu instid0(VALU_DEP_1)
	v_cmpx_eq_u32_e32 0, v3
	s_cbranch_execz .LBB8_45
; %bb.44:                               ;   in Loop: Header=BB8_19 Depth=1
	v_mov_b32_e32 v3, s19
	global_atomic_min_i32 v12, v3, s[10:11] scope:SCOPE_DEV
.LBB8_45:                               ;   in Loop: Header=BB8_19 Depth=1
	s_wait_xcnt 0x0
	s_or_b32 exec_lo, exec_lo, s21
	v_mov_b32_e32 v3, 1.0
.LBB8_46:                               ;   in Loop: Header=BB8_19 Depth=1
	s_or_b32 exec_lo, exec_lo, s20
	ds_load_b32 v20, v15
	s_wait_dscnt 0x0
	v_sub_f32_e32 v2, v2, v20
	s_delay_alu instid0(VALU_DEP_1) | instskip(SKIP_1) | instid1(VALU_DEP_2)
	v_div_scale_f32 v20, null, v3, v3, v2
	v_div_scale_f32 v23, vcc_lo, v2, v3, v2
	v_rcp_f32_e32 v21, v20
	v_nop
	s_delay_alu instid0(TRANS32_DEP_1) | instskip(NEXT) | instid1(VALU_DEP_1)
	v_fma_f32 v22, -v20, v21, 1.0
	v_fmac_f32_e32 v21, v22, v21
	s_delay_alu instid0(VALU_DEP_1) | instskip(NEXT) | instid1(VALU_DEP_1)
	v_mul_f32_e32 v22, v23, v21
	v_fma_f32 v24, -v20, v22, v23
	s_delay_alu instid0(VALU_DEP_1) | instskip(NEXT) | instid1(VALU_DEP_1)
	v_fmac_f32_e32 v22, v24, v21
	v_fma_f32 v20, -v20, v22, v23
	s_delay_alu instid0(VALU_DEP_1) | instskip(NEXT) | instid1(VALU_DEP_1)
	v_div_fmas_f32 v20, v20, v21, v22
	v_div_fixup_f32 v2, v20, v3, v2
	ds_store_b32 v14, v2
	s_wait_storecnt_dscnt 0x0
	ds_load_b32 v3, v9
	ds_load_b32 v20, v8
	s_wait_dscnt 0x0
	v_fmac_f32_e32 v20, v2, v3
	ds_store_b32 v8, v20
	s_wait_dscnt 0x0
	ds_load_b32 v3, v12 offset:36
	ds_load_b32 v2, v14 offset:4
	s_wait_dscnt 0x1
	v_readfirstlane_b32 s20, v3
	s_cmp_neq_f32 s20, 0
	s_cselect_b32 vcc_lo, -1, 0
	v_cndmask_b32_e32 v3, 1.0, v3, vcc_lo
	s_nor_b32 s21, vcc_lo, s0
	s_delay_alu instid0(SALU_CYCLE_1)
	s_and_saveexec_b32 s20, s21
	s_cbranch_execz .LBB8_50
; %bb.47:                               ;   in Loop: Header=BB8_19 Depth=1
	v_mbcnt_lo_u32_b32 v3, exec_lo, 0
	s_mov_b32 s21, exec_lo
	s_delay_alu instid0(VALU_DEP_1)
	v_cmpx_eq_u32_e32 0, v3
	s_cbranch_execz .LBB8_49
; %bb.48:                               ;   in Loop: Header=BB8_19 Depth=1
	v_mov_b32_e32 v3, s19
	global_atomic_min_i32 v12, v3, s[10:11] scope:SCOPE_DEV
.LBB8_49:                               ;   in Loop: Header=BB8_19 Depth=1
	s_wait_xcnt 0x0
	s_or_b32 exec_lo, exec_lo, s21
	v_mov_b32_e32 v3, 1.0
.LBB8_50:                               ;   in Loop: Header=BB8_19 Depth=1
	s_or_b32 exec_lo, exec_lo, s20
	ds_load_b32 v20, v12 offset:32
	ds_load_b32 v21, v14
	ds_load_b32 v22, v15 offset:4
	s_wait_dscnt 0x0
	v_fmac_f32_e32 v22, v20, v21
	s_delay_alu instid0(VALU_DEP_1) | instskip(NEXT) | instid1(VALU_DEP_1)
	v_sub_f32_e32 v2, v2, v22
	v_div_scale_f32 v20, null, v3, v3, v2
	v_div_scale_f32 v23, vcc_lo, v2, v3, v2
	s_delay_alu instid0(VALU_DEP_2) | instskip(SKIP_1) | instid1(TRANS32_DEP_1)
	v_rcp_f32_e32 v21, v20
	v_nop
	v_fma_f32 v22, -v20, v21, 1.0
	s_delay_alu instid0(VALU_DEP_1) | instskip(NEXT) | instid1(VALU_DEP_1)
	v_fmac_f32_e32 v21, v22, v21
	v_mul_f32_e32 v22, v23, v21
	s_delay_alu instid0(VALU_DEP_1) | instskip(NEXT) | instid1(VALU_DEP_1)
	v_fma_f32 v24, -v20, v22, v23
	v_fmac_f32_e32 v22, v24, v21
	s_delay_alu instid0(VALU_DEP_1) | instskip(NEXT) | instid1(VALU_DEP_1)
	v_fma_f32 v20, -v20, v22, v23
	v_div_fmas_f32 v20, v20, v21, v22
	s_delay_alu instid0(VALU_DEP_1)
	v_div_fixup_f32 v2, v20, v3, v2
	ds_store_b32 v14, v2 offset:4
	s_wait_storecnt_dscnt 0x0
	ds_load_b32 v3, v9 offset:4
	ds_load_b32 v20, v8
	s_wait_dscnt 0x0
	v_fmac_f32_e32 v20, v2, v3
	ds_store_b32 v8, v20
	s_wait_dscnt 0x0
	ds_load_b32 v3, v12 offset:72
	ds_load_b32 v2, v14 offset:8
	s_wait_dscnt 0x1
	v_readfirstlane_b32 s20, v3
	s_cmp_neq_f32 s20, 0
	s_cselect_b32 vcc_lo, -1, 0
	v_cndmask_b32_e32 v3, 1.0, v3, vcc_lo
	s_nor_b32 s21, vcc_lo, s0
	s_delay_alu instid0(SALU_CYCLE_1)
	s_and_saveexec_b32 s20, s21
	s_cbranch_execz .LBB8_54
; %bb.51:                               ;   in Loop: Header=BB8_19 Depth=1
	v_mbcnt_lo_u32_b32 v3, exec_lo, 0
	s_mov_b32 s21, exec_lo
	s_delay_alu instid0(VALU_DEP_1)
	v_cmpx_eq_u32_e32 0, v3
	s_cbranch_execz .LBB8_53
; %bb.52:                               ;   in Loop: Header=BB8_19 Depth=1
	v_mov_b32_e32 v3, s19
	global_atomic_min_i32 v12, v3, s[10:11] scope:SCOPE_DEV
.LBB8_53:                               ;   in Loop: Header=BB8_19 Depth=1
	s_wait_xcnt 0x0
	s_or_b32 exec_lo, exec_lo, s21
	v_mov_b32_e32 v3, 1.0
.LBB8_54:                               ;   in Loop: Header=BB8_19 Depth=1
	s_or_b32 exec_lo, exec_lo, s20
	ds_load_b64 v[20:21], v12 offset:64
	ds_load_b64 v[22:23], v14
	ds_load_b32 v24, v15 offset:8
	s_wait_dscnt 0x0
	v_fmac_f32_e32 v24, v20, v22
	s_delay_alu instid0(VALU_DEP_1) | instskip(NEXT) | instid1(VALU_DEP_1)
	v_fmac_f32_e32 v24, v21, v23
	v_sub_f32_e32 v2, v2, v24
	s_delay_alu instid0(VALU_DEP_1) | instskip(SKIP_1) | instid1(VALU_DEP_2)
	v_div_scale_f32 v20, null, v3, v3, v2
	v_div_scale_f32 v23, vcc_lo, v2, v3, v2
	v_rcp_f32_e32 v21, v20
	v_nop
	s_delay_alu instid0(TRANS32_DEP_1) | instskip(NEXT) | instid1(VALU_DEP_1)
	v_fma_f32 v22, -v20, v21, 1.0
	v_fmac_f32_e32 v21, v22, v21
	s_delay_alu instid0(VALU_DEP_1) | instskip(NEXT) | instid1(VALU_DEP_1)
	v_mul_f32_e32 v22, v23, v21
	v_fma_f32 v24, -v20, v22, v23
	s_delay_alu instid0(VALU_DEP_1) | instskip(NEXT) | instid1(VALU_DEP_1)
	v_fmac_f32_e32 v22, v24, v21
	v_fma_f32 v20, -v20, v22, v23
	s_delay_alu instid0(VALU_DEP_1) | instskip(NEXT) | instid1(VALU_DEP_1)
	v_div_fmas_f32 v20, v20, v21, v22
	v_div_fixup_f32 v2, v20, v3, v2
	ds_store_b32 v14, v2 offset:8
	s_wait_storecnt_dscnt 0x0
	ds_load_b32 v3, v9 offset:8
	ds_load_b32 v20, v8
	s_wait_dscnt 0x0
	v_fmac_f32_e32 v20, v2, v3
	ds_store_b32 v8, v20
	s_wait_dscnt 0x0
	ds_load_b32 v3, v12 offset:108
	ds_load_b32 v2, v14 offset:12
	s_wait_dscnt 0x1
	v_readfirstlane_b32 s20, v3
	s_cmp_neq_f32 s20, 0
	s_cselect_b32 vcc_lo, -1, 0
	v_cndmask_b32_e32 v3, 1.0, v3, vcc_lo
	s_nor_b32 s21, vcc_lo, s0
	s_delay_alu instid0(SALU_CYCLE_1)
	s_and_saveexec_b32 s20, s21
	s_cbranch_execz .LBB8_58
; %bb.55:                               ;   in Loop: Header=BB8_19 Depth=1
	v_mbcnt_lo_u32_b32 v3, exec_lo, 0
	s_mov_b32 s21, exec_lo
	s_delay_alu instid0(VALU_DEP_1)
	v_cmpx_eq_u32_e32 0, v3
	s_cbranch_execz .LBB8_57
; %bb.56:                               ;   in Loop: Header=BB8_19 Depth=1
	v_mov_b32_e32 v3, s19
	global_atomic_min_i32 v12, v3, s[10:11] scope:SCOPE_DEV
.LBB8_57:                               ;   in Loop: Header=BB8_19 Depth=1
	s_wait_xcnt 0x0
	s_or_b32 exec_lo, exec_lo, s21
	v_mov_b32_e32 v3, 1.0
.LBB8_58:                               ;   in Loop: Header=BB8_19 Depth=1
	s_or_b32 exec_lo, exec_lo, s20
	ds_load_b96 v[20:22], v12 offset:96
	ds_load_b96 v[24:26], v14
	ds_load_b32 v23, v15 offset:12
	s_wait_dscnt 0x0
	v_fmac_f32_e32 v23, v20, v24
	s_delay_alu instid0(VALU_DEP_1) | instskip(NEXT) | instid1(VALU_DEP_1)
	v_fmac_f32_e32 v23, v21, v25
	v_fmac_f32_e32 v23, v22, v26
	s_delay_alu instid0(VALU_DEP_1) | instskip(NEXT) | instid1(VALU_DEP_1)
	v_sub_f32_e32 v2, v2, v23
	v_div_scale_f32 v20, null, v3, v3, v2
	v_div_scale_f32 v23, vcc_lo, v2, v3, v2
	s_delay_alu instid0(VALU_DEP_2) | instskip(SKIP_1) | instid1(TRANS32_DEP_1)
	v_rcp_f32_e32 v21, v20
	v_nop
	v_fma_f32 v22, -v20, v21, 1.0
	s_delay_alu instid0(VALU_DEP_1) | instskip(NEXT) | instid1(VALU_DEP_1)
	v_fmac_f32_e32 v21, v22, v21
	v_mul_f32_e32 v22, v23, v21
	s_delay_alu instid0(VALU_DEP_1) | instskip(NEXT) | instid1(VALU_DEP_1)
	v_fma_f32 v24, -v20, v22, v23
	v_fmac_f32_e32 v22, v24, v21
	s_delay_alu instid0(VALU_DEP_1) | instskip(NEXT) | instid1(VALU_DEP_1)
	v_fma_f32 v20, -v20, v22, v23
	v_div_fmas_f32 v20, v20, v21, v22
	s_delay_alu instid0(VALU_DEP_1)
	v_div_fixup_f32 v2, v20, v3, v2
	ds_store_b32 v14, v2 offset:12
	s_wait_storecnt_dscnt 0x0
	ds_load_b32 v3, v9 offset:12
	ds_load_b32 v20, v8
	s_wait_dscnt 0x0
	v_fmac_f32_e32 v20, v2, v3
	ds_store_b32 v8, v20
	s_wait_dscnt 0x0
	ds_load_b32 v3, v12 offset:144
	ds_load_b32 v2, v14 offset:16
	s_wait_dscnt 0x1
	v_readfirstlane_b32 s20, v3
	s_cmp_neq_f32 s20, 0
	s_cselect_b32 vcc_lo, -1, 0
	v_cndmask_b32_e32 v3, 1.0, v3, vcc_lo
	s_nor_b32 s21, vcc_lo, s0
	s_delay_alu instid0(SALU_CYCLE_1)
	s_and_saveexec_b32 s20, s21
	s_cbranch_execz .LBB8_62
; %bb.59:                               ;   in Loop: Header=BB8_19 Depth=1
	v_mbcnt_lo_u32_b32 v3, exec_lo, 0
	s_mov_b32 s21, exec_lo
	s_delay_alu instid0(VALU_DEP_1)
	v_cmpx_eq_u32_e32 0, v3
	s_cbranch_execz .LBB8_61
; %bb.60:                               ;   in Loop: Header=BB8_19 Depth=1
	v_mov_b32_e32 v3, s19
	global_atomic_min_i32 v12, v3, s[10:11] scope:SCOPE_DEV
.LBB8_61:                               ;   in Loop: Header=BB8_19 Depth=1
	s_wait_xcnt 0x0
	s_or_b32 exec_lo, exec_lo, s21
	v_mov_b32_e32 v3, 1.0
.LBB8_62:                               ;   in Loop: Header=BB8_19 Depth=1
	s_or_b32 exec_lo, exec_lo, s20
	ds_load_b128 v[20:23], v12 offset:128
	ds_load_b128 v[24:27], v14
	ds_load_b32 v28, v15 offset:16
	s_wait_dscnt 0x0
	v_fmac_f32_e32 v28, v20, v24
	s_delay_alu instid0(VALU_DEP_1) | instskip(NEXT) | instid1(VALU_DEP_1)
	v_fmac_f32_e32 v28, v21, v25
	v_fmac_f32_e32 v28, v22, v26
	s_delay_alu instid0(VALU_DEP_1) | instskip(NEXT) | instid1(VALU_DEP_1)
	v_fmac_f32_e32 v28, v23, v27
	v_sub_f32_e32 v2, v2, v28
	s_delay_alu instid0(VALU_DEP_1) | instskip(SKIP_1) | instid1(VALU_DEP_2)
	v_div_scale_f32 v20, null, v3, v3, v2
	v_div_scale_f32 v23, vcc_lo, v2, v3, v2
	v_rcp_f32_e32 v21, v20
	v_nop
	s_delay_alu instid0(TRANS32_DEP_1) | instskip(NEXT) | instid1(VALU_DEP_1)
	v_fma_f32 v22, -v20, v21, 1.0
	v_fmac_f32_e32 v21, v22, v21
	s_delay_alu instid0(VALU_DEP_1) | instskip(NEXT) | instid1(VALU_DEP_1)
	v_mul_f32_e32 v22, v23, v21
	v_fma_f32 v24, -v20, v22, v23
	s_delay_alu instid0(VALU_DEP_1) | instskip(NEXT) | instid1(VALU_DEP_1)
	v_fmac_f32_e32 v22, v24, v21
	v_fma_f32 v20, -v20, v22, v23
	s_delay_alu instid0(VALU_DEP_1) | instskip(NEXT) | instid1(VALU_DEP_1)
	v_div_fmas_f32 v20, v20, v21, v22
	v_div_fixup_f32 v2, v20, v3, v2
	ds_store_b32 v14, v2 offset:16
	s_wait_storecnt_dscnt 0x0
	ds_load_b32 v3, v9 offset:16
	ds_load_b32 v20, v8
	s_wait_dscnt 0x0
	v_fmac_f32_e32 v20, v2, v3
	ds_store_b32 v8, v20
	s_wait_dscnt 0x0
	ds_load_b32 v3, v12 offset:180
	ds_load_b32 v2, v14 offset:20
	s_wait_dscnt 0x1
	v_readfirstlane_b32 s20, v3
	s_cmp_neq_f32 s20, 0
	s_cselect_b32 vcc_lo, -1, 0
	v_cndmask_b32_e32 v3, 1.0, v3, vcc_lo
	s_nor_b32 s21, vcc_lo, s0
	s_delay_alu instid0(SALU_CYCLE_1)
	s_and_saveexec_b32 s20, s21
	s_cbranch_execz .LBB8_66
; %bb.63:                               ;   in Loop: Header=BB8_19 Depth=1
	v_mbcnt_lo_u32_b32 v3, exec_lo, 0
	s_mov_b32 s21, exec_lo
	s_delay_alu instid0(VALU_DEP_1)
	v_cmpx_eq_u32_e32 0, v3
	s_cbranch_execz .LBB8_65
; %bb.64:                               ;   in Loop: Header=BB8_19 Depth=1
	v_mov_b32_e32 v3, s19
	global_atomic_min_i32 v12, v3, s[10:11] scope:SCOPE_DEV
.LBB8_65:                               ;   in Loop: Header=BB8_19 Depth=1
	s_wait_xcnt 0x0
	s_or_b32 exec_lo, exec_lo, s21
	v_mov_b32_e32 v3, 1.0
.LBB8_66:                               ;   in Loop: Header=BB8_19 Depth=1
	s_or_b32 exec_lo, exec_lo, s20
	ds_load_b128 v[20:23], v12 offset:160
	ds_load_b128 v[24:27], v14
	ds_load_b32 v28, v15 offset:20
	ds_load_b32 v29, v14 offset:16
	;; [unrolled: 1-line block ×3, first 2 shown]
	s_wait_dscnt 0x2
	v_fmac_f32_e32 v28, v20, v24
	s_delay_alu instid0(VALU_DEP_1) | instskip(NEXT) | instid1(VALU_DEP_1)
	v_fmac_f32_e32 v28, v21, v25
	v_fmac_f32_e32 v28, v22, v26
	s_delay_alu instid0(VALU_DEP_1) | instskip(SKIP_1) | instid1(VALU_DEP_1)
	v_fmac_f32_e32 v28, v23, v27
	s_wait_dscnt 0x0
	v_fmac_f32_e32 v28, v30, v29
	s_delay_alu instid0(VALU_DEP_1) | instskip(NEXT) | instid1(VALU_DEP_1)
	v_sub_f32_e32 v2, v2, v28
	v_div_scale_f32 v20, null, v3, v3, v2
	v_div_scale_f32 v23, vcc_lo, v2, v3, v2
	s_delay_alu instid0(VALU_DEP_2) | instskip(SKIP_1) | instid1(TRANS32_DEP_1)
	v_rcp_f32_e32 v21, v20
	v_nop
	v_fma_f32 v22, -v20, v21, 1.0
	s_delay_alu instid0(VALU_DEP_1) | instskip(NEXT) | instid1(VALU_DEP_1)
	v_fmac_f32_e32 v21, v22, v21
	v_mul_f32_e32 v22, v23, v21
	s_delay_alu instid0(VALU_DEP_1) | instskip(NEXT) | instid1(VALU_DEP_1)
	v_fma_f32 v24, -v20, v22, v23
	v_fmac_f32_e32 v22, v24, v21
	s_delay_alu instid0(VALU_DEP_1) | instskip(NEXT) | instid1(VALU_DEP_1)
	v_fma_f32 v20, -v20, v22, v23
	v_div_fmas_f32 v20, v20, v21, v22
	s_delay_alu instid0(VALU_DEP_1)
	v_div_fixup_f32 v2, v20, v3, v2
	ds_store_b32 v14, v2 offset:20
	s_wait_storecnt_dscnt 0x0
	ds_load_b32 v3, v9 offset:20
	ds_load_b32 v20, v8
	s_wait_dscnt 0x0
	v_fmac_f32_e32 v20, v2, v3
	ds_store_b32 v8, v20
	s_wait_dscnt 0x0
	ds_load_b32 v3, v12 offset:216
	ds_load_b32 v2, v14 offset:24
	s_wait_dscnt 0x1
	v_readfirstlane_b32 s20, v3
	s_cmp_neq_f32 s20, 0
	s_cselect_b32 vcc_lo, -1, 0
	v_cndmask_b32_e32 v3, 1.0, v3, vcc_lo
	s_nor_b32 s21, vcc_lo, s0
	s_delay_alu instid0(SALU_CYCLE_1)
	s_and_saveexec_b32 s20, s21
	s_cbranch_execz .LBB8_17
; %bb.67:                               ;   in Loop: Header=BB8_19 Depth=1
	v_mbcnt_lo_u32_b32 v3, exec_lo, 0
	s_mov_b32 s21, exec_lo
	s_delay_alu instid0(VALU_DEP_1)
	v_cmpx_eq_u32_e32 0, v3
	s_cbranch_execz .LBB8_16
; %bb.68:                               ;   in Loop: Header=BB8_19 Depth=1
	v_mov_b32_e32 v3, s19
	global_atomic_min_i32 v12, v3, s[10:11] scope:SCOPE_DEV
	s_branch .LBB8_16
.LBB8_69:
	s_wait_xcnt 0x0
	v_mov_b32_e32 v0, v6
	s_wait_kmcnt 0x0
	s_cmp_lg_u32 s1, 0
	s_cselect_b32 s4, -1, 0
	s_cmp_eq_u32 s1, 0
	s_cbranch_scc1 .LBB8_71
; %bb.70:
	v_mad_u32_u24 v0, v4, 7, v5
.LBB8_71:
	s_mul_i32 s26, s26, 49
	v_lshl_add_u32 v1, v5, 5, 0x1c0
	s_delay_alu instid0(VALU_DEP_2)
	v_add_nc_u32_e32 v0, s26, v0
	s_mov_b32 s1, exec_lo
	v_cmp_ne_u32_e32 vcc_lo, 0, v5
	global_load_b32 v2, v0, s[16:17] scale_offset
	s_wait_xcnt 0x0
	v_lshl_add_u32 v0, v4, 2, v1
	s_wait_loadcnt 0x0
	ds_store_b32 v0, v2
	s_wait_dscnt 0x0
	v_cmpx_eq_u32_e32 0, v5
	s_cbranch_execz .LBB8_73
; %bb.72:
	v_mov_b32_e32 v11, 0
	ds_load_2addr_b32 v[2:3], v11 offset0:112 offset1:168
	s_wait_dscnt 0x0
	v_readfirstlane_b32 s0, v2
	v_readfirstlane_b32 s5, v3
	s_sub_f32 s0, s0, s5
	s_delay_alu instid0(SALU_CYCLE_3) | instskip(SKIP_2) | instid1(SALU_CYCLE_1)
	s_xor_b32 s5, s0, 0x80000000
	s_cmp_lt_f32 s0, 0
	s_cselect_b32 s0, s5, s0
	s_mul_f32 s5, s0, 0x4f800000
	s_cmp_lt_f32 s0, 0xf800000
	s_delay_alu instid0(SALU_CYCLE_2) | instskip(NEXT) | instid1(SALU_CYCLE_1)
	s_cselect_b32 s5, s5, s0
	v_s_sqrt_f32 s12, s5
	s_mov_b32 s14, s5
	s_delay_alu instid0(TRANS32_DEP_1) | instskip(NEXT) | instid1(SALU_CYCLE_1)
	s_add_co_i32 s13, s12, -1
	s_xor_b32 s15, s13, 0x80000000
	s_delay_alu instid0(SALU_CYCLE_1) | instskip(SKIP_1) | instid1(SALU_CYCLE_2)
	s_fmac_f32 s14, s15, s12
	s_mov_b32 s15, s5
	s_cmp_le_f32 s14, 0
	s_cselect_b32 s13, s13, s12
	s_add_co_i32 s14, s12, 1
	s_delay_alu instid0(SALU_CYCLE_1) | instskip(NEXT) | instid1(SALU_CYCLE_1)
	s_xor_b32 s18, s14, 0x80000000
	s_fmac_f32 s15, s18, s12
	s_delay_alu instid0(SALU_CYCLE_3) | instskip(SKIP_4) | instid1(SALU_CYCLE_2)
	s_cmp_gt_f32 s15, 0
	s_cselect_b32 s12, s14, s13
	s_cmp_lt_f32 s0, 0xf800000
	s_mul_f32 s0, s12, 0x37800000
	v_cmp_class_f32_e64 s13, s5, 0x260
	s_cselect_b32 s0, s0, s12
	s_and_b32 s12, s13, exec_lo
	s_cselect_b32 s0, s5, s0
	s_delay_alu instid0(SALU_CYCLE_1)
	v_mov_b32_e32 v2, s0
	ds_store_b32 v11, v2 offset:448
.LBB8_73:
	s_or_b32 exec_lo, exec_lo, s1
	v_mov_b32_e32 v2, 0
	s_wait_dscnt 0x0
	s_add_co_i32 s5, s8, s9
	ds_load_b32 v3, v2 offset:448
	v_or_b32_e32 v2, v4, v5
	s_wait_dscnt 0x0
	v_readfirstlane_b32 s0, v3
	s_cmp_neq_f32 s0, 0
	v_cmp_ne_u32_e64 s0, 0, v2
	s_cselect_b32 s1, -1, 0
	s_delay_alu instid0(SALU_CYCLE_1) | instskip(SKIP_1) | instid1(SALU_CYCLE_1)
	v_cndmask_b32_e64 v3, 1.0, v3, s1
	s_nor_b32 s1, s1, s0
	s_and_saveexec_b32 s12, s1
	s_cbranch_execz .LBB8_77
; %bb.74:
	v_mbcnt_lo_u32_b32 v3, exec_lo, 0
	s_mov_b32 s13, exec_lo
	s_delay_alu instid0(VALU_DEP_1)
	v_cmpx_eq_u32_e32 0, v3
	s_cbranch_execz .LBB8_76
; %bb.75:
	v_dual_mov_b32 v3, 0 :: v_dual_mov_b32 v11, s5
	global_atomic_min_i32 v3, v11, s[10:11] scope:SCOPE_DEV
.LBB8_76:
	s_wait_xcnt 0x0
	s_or_b32 exec_lo, exec_lo, s13
	v_mov_b32_e32 v3, 1.0
.LBB8_77:
	s_or_b32 exec_lo, exec_lo, s12
	s_and_saveexec_b32 s1, vcc_lo
	s_cbranch_execz .LBB8_79
; %bb.78:
	ds_load_b32 v11, v1
	ds_load_b32 v12, v10
	s_wait_dscnt 0x0
	v_sub_f32_e32 v11, v11, v12
	s_delay_alu instid0(VALU_DEP_1) | instskip(NEXT) | instid1(VALU_DEP_1)
	v_div_scale_f32 v12, null, v3, v3, v11
	v_rcp_f32_e32 v13, v12
	v_nop
	s_delay_alu instid0(TRANS32_DEP_1) | instskip(NEXT) | instid1(VALU_DEP_1)
	v_fma_f32 v14, -v12, v13, 1.0
	v_fmac_f32_e32 v13, v14, v13
	v_div_scale_f32 v15, vcc_lo, v11, v3, v11
	s_delay_alu instid0(VALU_DEP_1) | instskip(NEXT) | instid1(VALU_DEP_1)
	v_mul_f32_e32 v14, v15, v13
	v_fma_f32 v16, -v12, v14, v15
	s_delay_alu instid0(VALU_DEP_1) | instskip(NEXT) | instid1(VALU_DEP_1)
	v_fmac_f32_e32 v14, v16, v13
	v_fma_f32 v12, -v12, v14, v15
	s_delay_alu instid0(VALU_DEP_1) | instskip(NEXT) | instid1(VALU_DEP_1)
	v_div_fmas_f32 v12, v12, v13, v14
	v_div_fixup_f32 v3, v12, v3, v11
	ds_store_b32 v1, v3
	s_wait_storecnt_dscnt 0x0
	ds_load_b32 v11, v9
	ds_load_b32 v12, v8
	s_wait_dscnt 0x0
	v_fmac_f32_e32 v12, v3, v11
	ds_store_b32 v8, v12
.LBB8_79:
	s_or_b32 exec_lo, exec_lo, s1
	s_delay_alu instid0(SALU_CYCLE_1)
	s_mov_b32 s1, exec_lo
	s_wait_storecnt_dscnt 0x0
	v_cmpx_eq_u32_e32 1, v5
	s_cbranch_execz .LBB8_81
; %bb.80:
	v_mov_b32_e32 v3, 0
	ds_load_2addr_b32 v[12:13], v3 offset0:121 offset1:177
	s_wait_dscnt 0x0
	v_readfirstlane_b32 s12, v12
	v_readfirstlane_b32 s13, v13
	s_sub_f32 s12, s12, s13
	s_delay_alu instid0(SALU_CYCLE_3) | instskip(SKIP_2) | instid1(SALU_CYCLE_1)
	s_xor_b32 s13, s12, 0x80000000
	s_cmp_lt_f32 s12, 0
	s_cselect_b32 s12, s13, s12
	s_mul_f32 s13, s12, 0x4f800000
	s_cmp_lt_f32 s12, 0xf800000
	s_delay_alu instid0(SALU_CYCLE_2) | instskip(NEXT) | instid1(SALU_CYCLE_1)
	s_cselect_b32 s13, s13, s12
	v_s_sqrt_f32 s14, s13
	s_mov_b32 s18, s13
	s_delay_alu instid0(TRANS32_DEP_1) | instskip(NEXT) | instid1(SALU_CYCLE_1)
	s_add_co_i32 s15, s14, -1
	s_xor_b32 s19, s15, 0x80000000
	s_delay_alu instid0(SALU_CYCLE_1) | instskip(SKIP_1) | instid1(SALU_CYCLE_2)
	s_fmac_f32 s18, s19, s14
	s_mov_b32 s19, s13
	s_cmp_le_f32 s18, 0
	s_cselect_b32 s15, s15, s14
	s_add_co_i32 s18, s14, 1
	s_delay_alu instid0(SALU_CYCLE_1) | instskip(NEXT) | instid1(SALU_CYCLE_1)
	s_xor_b32 s20, s18, 0x80000000
	s_fmac_f32 s19, s20, s14
	s_delay_alu instid0(SALU_CYCLE_3) | instskip(SKIP_4) | instid1(SALU_CYCLE_2)
	s_cmp_gt_f32 s19, 0
	s_cselect_b32 s14, s18, s15
	s_cmp_lt_f32 s12, 0xf800000
	s_mul_f32 s12, s14, 0x37800000
	v_cmp_class_f32_e64 s15, s13, 0x260
	s_cselect_b32 s12, s12, s14
	s_and_b32 s14, s15, exec_lo
	s_cselect_b32 s12, s13, s12
	s_delay_alu instid0(SALU_CYCLE_1)
	v_mov_b32_e32 v11, s12
	ds_store_b32 v3, v11 offset:484
.LBB8_81:
	s_or_b32 exec_lo, exec_lo, s1
	v_mov_b32_e32 v3, 0
	s_wait_dscnt 0x0
	ds_load_b32 v3, v3 offset:484
	s_wait_dscnt 0x0
	v_readfirstlane_b32 s1, v3
	s_cmp_neq_f32 s1, 0
	s_cselect_b32 vcc_lo, -1, 0
	v_cndmask_b32_e32 v3, 1.0, v3, vcc_lo
	s_nor_b32 s12, vcc_lo, s0
	s_delay_alu instid0(SALU_CYCLE_1)
	s_and_saveexec_b32 s1, s12
	s_cbranch_execz .LBB8_85
; %bb.82:
	v_mbcnt_lo_u32_b32 v3, exec_lo, 0
	s_mov_b32 s12, exec_lo
	s_delay_alu instid0(VALU_DEP_1)
	v_cmpx_eq_u32_e32 0, v3
	s_cbranch_execz .LBB8_84
; %bb.83:
	v_dual_mov_b32 v3, 0 :: v_dual_mov_b32 v11, s5
	global_atomic_min_i32 v3, v11, s[10:11] scope:SCOPE_DEV
.LBB8_84:
	s_wait_xcnt 0x0
	s_or_b32 exec_lo, exec_lo, s12
	v_mov_b32_e32 v3, 1.0
.LBB8_85:
	s_or_b32 exec_lo, exec_lo, s1
	s_delay_alu instid0(SALU_CYCLE_1)
	s_mov_b32 s1, exec_lo
	v_cmpx_lt_u32_e32 1, v5
	s_cbranch_execz .LBB8_87
; %bb.86:
	ds_load_b32 v11, v1 offset:4
	ds_load_b32 v12, v10 offset:4
	s_wait_dscnt 0x0
	v_sub_f32_e32 v11, v11, v12
	s_delay_alu instid0(VALU_DEP_1) | instskip(NEXT) | instid1(VALU_DEP_1)
	v_div_scale_f32 v12, null, v3, v3, v11
	v_rcp_f32_e32 v13, v12
	v_nop
	s_delay_alu instid0(TRANS32_DEP_1) | instskip(NEXT) | instid1(VALU_DEP_1)
	v_fma_f32 v14, -v12, v13, 1.0
	v_fmac_f32_e32 v13, v14, v13
	v_div_scale_f32 v15, vcc_lo, v11, v3, v11
	s_delay_alu instid0(VALU_DEP_1) | instskip(NEXT) | instid1(VALU_DEP_1)
	v_mul_f32_e32 v14, v15, v13
	v_fma_f32 v16, -v12, v14, v15
	s_delay_alu instid0(VALU_DEP_1) | instskip(NEXT) | instid1(VALU_DEP_1)
	v_fmac_f32_e32 v14, v16, v13
	v_fma_f32 v12, -v12, v14, v15
	s_delay_alu instid0(VALU_DEP_1) | instskip(NEXT) | instid1(VALU_DEP_1)
	v_div_fmas_f32 v12, v12, v13, v14
	v_div_fixup_f32 v3, v12, v3, v11
	ds_store_b32 v1, v3 offset:4
	s_wait_storecnt_dscnt 0x0
	ds_load_b32 v11, v9 offset:4
	ds_load_b32 v12, v8
	s_wait_dscnt 0x0
	v_fmac_f32_e32 v12, v3, v11
	ds_store_b32 v8, v12
.LBB8_87:
	s_or_b32 exec_lo, exec_lo, s1
	s_delay_alu instid0(SALU_CYCLE_1)
	s_mov_b32 s1, exec_lo
	s_wait_storecnt_dscnt 0x0
	v_cmpx_eq_u32_e32 2, v5
	s_cbranch_execz .LBB8_89
; %bb.88:
	v_mov_b32_e32 v3, 0
	ds_load_2addr_b32 v[12:13], v3 offset0:130 offset1:186
	s_wait_dscnt 0x0
	v_readfirstlane_b32 s12, v12
	v_readfirstlane_b32 s13, v13
	s_sub_f32 s12, s12, s13
	s_delay_alu instid0(SALU_CYCLE_3) | instskip(SKIP_2) | instid1(SALU_CYCLE_1)
	s_xor_b32 s13, s12, 0x80000000
	s_cmp_lt_f32 s12, 0
	s_cselect_b32 s12, s13, s12
	s_mul_f32 s13, s12, 0x4f800000
	s_cmp_lt_f32 s12, 0xf800000
	s_delay_alu instid0(SALU_CYCLE_2) | instskip(NEXT) | instid1(SALU_CYCLE_1)
	s_cselect_b32 s13, s13, s12
	v_s_sqrt_f32 s14, s13
	s_mov_b32 s18, s13
	s_delay_alu instid0(TRANS32_DEP_1) | instskip(NEXT) | instid1(SALU_CYCLE_1)
	s_add_co_i32 s15, s14, -1
	s_xor_b32 s19, s15, 0x80000000
	s_delay_alu instid0(SALU_CYCLE_1) | instskip(SKIP_1) | instid1(SALU_CYCLE_2)
	s_fmac_f32 s18, s19, s14
	s_mov_b32 s19, s13
	s_cmp_le_f32 s18, 0
	s_cselect_b32 s15, s15, s14
	s_add_co_i32 s18, s14, 1
	s_delay_alu instid0(SALU_CYCLE_1) | instskip(NEXT) | instid1(SALU_CYCLE_1)
	s_xor_b32 s20, s18, 0x80000000
	s_fmac_f32 s19, s20, s14
	s_delay_alu instid0(SALU_CYCLE_3) | instskip(SKIP_4) | instid1(SALU_CYCLE_2)
	s_cmp_gt_f32 s19, 0
	s_cselect_b32 s14, s18, s15
	s_cmp_lt_f32 s12, 0xf800000
	s_mul_f32 s12, s14, 0x37800000
	v_cmp_class_f32_e64 s15, s13, 0x260
	s_cselect_b32 s12, s12, s14
	s_and_b32 s14, s15, exec_lo
	s_cselect_b32 s12, s13, s12
	s_delay_alu instid0(SALU_CYCLE_1)
	v_mov_b32_e32 v11, s12
	ds_store_b32 v3, v11 offset:520
.LBB8_89:
	s_or_b32 exec_lo, exec_lo, s1
	v_mov_b32_e32 v3, 0
	s_wait_dscnt 0x0
	ds_load_b32 v3, v3 offset:520
	s_wait_dscnt 0x0
	v_readfirstlane_b32 s1, v3
	s_cmp_neq_f32 s1, 0
	s_cselect_b32 vcc_lo, -1, 0
	v_cndmask_b32_e32 v3, 1.0, v3, vcc_lo
	s_nor_b32 s12, vcc_lo, s0
	s_delay_alu instid0(SALU_CYCLE_1)
	s_and_saveexec_b32 s1, s12
	s_cbranch_execz .LBB8_93
; %bb.90:
	v_mbcnt_lo_u32_b32 v3, exec_lo, 0
	s_mov_b32 s12, exec_lo
	s_delay_alu instid0(VALU_DEP_1)
	v_cmpx_eq_u32_e32 0, v3
	s_cbranch_execz .LBB8_92
; %bb.91:
	v_dual_mov_b32 v3, 0 :: v_dual_mov_b32 v11, s5
	global_atomic_min_i32 v3, v11, s[10:11] scope:SCOPE_DEV
.LBB8_92:
	s_wait_xcnt 0x0
	s_or_b32 exec_lo, exec_lo, s12
	v_mov_b32_e32 v3, 1.0
.LBB8_93:
	s_or_b32 exec_lo, exec_lo, s1
	s_delay_alu instid0(SALU_CYCLE_1)
	s_mov_b32 s1, exec_lo
	v_cmpx_lt_u32_e32 2, v5
	s_cbranch_execz .LBB8_95
; %bb.94:
	ds_load_b32 v11, v1 offset:8
	ds_load_b32 v12, v10 offset:8
	s_wait_dscnt 0x0
	v_sub_f32_e32 v11, v11, v12
	s_delay_alu instid0(VALU_DEP_1) | instskip(NEXT) | instid1(VALU_DEP_1)
	v_div_scale_f32 v12, null, v3, v3, v11
	v_rcp_f32_e32 v13, v12
	v_nop
	s_delay_alu instid0(TRANS32_DEP_1) | instskip(NEXT) | instid1(VALU_DEP_1)
	v_fma_f32 v14, -v12, v13, 1.0
	v_fmac_f32_e32 v13, v14, v13
	v_div_scale_f32 v15, vcc_lo, v11, v3, v11
	s_delay_alu instid0(VALU_DEP_1) | instskip(NEXT) | instid1(VALU_DEP_1)
	v_mul_f32_e32 v14, v15, v13
	v_fma_f32 v16, -v12, v14, v15
	s_delay_alu instid0(VALU_DEP_1) | instskip(NEXT) | instid1(VALU_DEP_1)
	v_fmac_f32_e32 v14, v16, v13
	v_fma_f32 v12, -v12, v14, v15
	s_delay_alu instid0(VALU_DEP_1) | instskip(NEXT) | instid1(VALU_DEP_1)
	v_div_fmas_f32 v12, v12, v13, v14
	v_div_fixup_f32 v3, v12, v3, v11
	ds_store_b32 v1, v3 offset:8
	s_wait_storecnt_dscnt 0x0
	ds_load_b32 v11, v9 offset:8
	ds_load_b32 v12, v8
	s_wait_dscnt 0x0
	v_fmac_f32_e32 v12, v3, v11
	ds_store_b32 v8, v12
.LBB8_95:
	s_or_b32 exec_lo, exec_lo, s1
	s_delay_alu instid0(SALU_CYCLE_1)
	s_mov_b32 s1, exec_lo
	s_wait_storecnt_dscnt 0x0
	v_cmpx_eq_u32_e32 3, v5
	s_cbranch_execz .LBB8_97
; %bb.96:
	v_mov_b32_e32 v3, 0
	ds_load_2addr_b32 v[12:13], v3 offset0:139 offset1:195
	s_wait_dscnt 0x0
	v_readfirstlane_b32 s12, v12
	v_readfirstlane_b32 s13, v13
	s_sub_f32 s12, s12, s13
	s_delay_alu instid0(SALU_CYCLE_3) | instskip(SKIP_2) | instid1(SALU_CYCLE_1)
	s_xor_b32 s13, s12, 0x80000000
	s_cmp_lt_f32 s12, 0
	s_cselect_b32 s12, s13, s12
	s_mul_f32 s13, s12, 0x4f800000
	s_cmp_lt_f32 s12, 0xf800000
	s_delay_alu instid0(SALU_CYCLE_2) | instskip(NEXT) | instid1(SALU_CYCLE_1)
	s_cselect_b32 s13, s13, s12
	v_s_sqrt_f32 s14, s13
	s_mov_b32 s18, s13
	s_delay_alu instid0(TRANS32_DEP_1) | instskip(NEXT) | instid1(SALU_CYCLE_1)
	s_add_co_i32 s15, s14, -1
	s_xor_b32 s19, s15, 0x80000000
	s_delay_alu instid0(SALU_CYCLE_1) | instskip(SKIP_1) | instid1(SALU_CYCLE_2)
	s_fmac_f32 s18, s19, s14
	s_mov_b32 s19, s13
	s_cmp_le_f32 s18, 0
	s_cselect_b32 s15, s15, s14
	s_add_co_i32 s18, s14, 1
	s_delay_alu instid0(SALU_CYCLE_1) | instskip(NEXT) | instid1(SALU_CYCLE_1)
	s_xor_b32 s20, s18, 0x80000000
	s_fmac_f32 s19, s20, s14
	s_delay_alu instid0(SALU_CYCLE_3) | instskip(SKIP_4) | instid1(SALU_CYCLE_2)
	s_cmp_gt_f32 s19, 0
	s_cselect_b32 s14, s18, s15
	s_cmp_lt_f32 s12, 0xf800000
	s_mul_f32 s12, s14, 0x37800000
	v_cmp_class_f32_e64 s15, s13, 0x260
	s_cselect_b32 s12, s12, s14
	s_and_b32 s14, s15, exec_lo
	s_cselect_b32 s12, s13, s12
	s_delay_alu instid0(SALU_CYCLE_1)
	v_mov_b32_e32 v11, s12
	ds_store_b32 v3, v11 offset:556
.LBB8_97:
	s_or_b32 exec_lo, exec_lo, s1
	v_mov_b32_e32 v3, 0
	s_wait_dscnt 0x0
	ds_load_b32 v3, v3 offset:556
	s_wait_dscnt 0x0
	v_readfirstlane_b32 s1, v3
	s_cmp_neq_f32 s1, 0
	s_cselect_b32 vcc_lo, -1, 0
	v_cndmask_b32_e32 v3, 1.0, v3, vcc_lo
	s_nor_b32 s12, vcc_lo, s0
	s_delay_alu instid0(SALU_CYCLE_1)
	s_and_saveexec_b32 s1, s12
	s_cbranch_execz .LBB8_101
; %bb.98:
	v_mbcnt_lo_u32_b32 v3, exec_lo, 0
	s_mov_b32 s12, exec_lo
	s_delay_alu instid0(VALU_DEP_1)
	v_cmpx_eq_u32_e32 0, v3
	s_cbranch_execz .LBB8_100
; %bb.99:
	v_dual_mov_b32 v3, 0 :: v_dual_mov_b32 v11, s5
	global_atomic_min_i32 v3, v11, s[10:11] scope:SCOPE_DEV
.LBB8_100:
	s_wait_xcnt 0x0
	s_or_b32 exec_lo, exec_lo, s12
	v_mov_b32_e32 v3, 1.0
.LBB8_101:
	s_or_b32 exec_lo, exec_lo, s1
	s_delay_alu instid0(SALU_CYCLE_1)
	s_mov_b32 s1, exec_lo
	v_cmpx_lt_u32_e32 3, v5
	s_cbranch_execz .LBB8_103
; %bb.102:
	ds_load_b32 v11, v1 offset:12
	ds_load_b32 v12, v10 offset:12
	s_wait_dscnt 0x0
	v_sub_f32_e32 v11, v11, v12
	s_delay_alu instid0(VALU_DEP_1) | instskip(NEXT) | instid1(VALU_DEP_1)
	v_div_scale_f32 v12, null, v3, v3, v11
	v_rcp_f32_e32 v13, v12
	v_nop
	s_delay_alu instid0(TRANS32_DEP_1) | instskip(NEXT) | instid1(VALU_DEP_1)
	v_fma_f32 v14, -v12, v13, 1.0
	v_fmac_f32_e32 v13, v14, v13
	v_div_scale_f32 v15, vcc_lo, v11, v3, v11
	s_delay_alu instid0(VALU_DEP_1) | instskip(NEXT) | instid1(VALU_DEP_1)
	v_mul_f32_e32 v14, v15, v13
	v_fma_f32 v16, -v12, v14, v15
	s_delay_alu instid0(VALU_DEP_1) | instskip(NEXT) | instid1(VALU_DEP_1)
	v_fmac_f32_e32 v14, v16, v13
	v_fma_f32 v12, -v12, v14, v15
	s_delay_alu instid0(VALU_DEP_1) | instskip(NEXT) | instid1(VALU_DEP_1)
	v_div_fmas_f32 v12, v12, v13, v14
	v_div_fixup_f32 v3, v12, v3, v11
	ds_store_b32 v1, v3 offset:12
	s_wait_storecnt_dscnt 0x0
	ds_load_b32 v11, v9 offset:12
	ds_load_b32 v12, v8
	s_wait_dscnt 0x0
	v_fmac_f32_e32 v12, v3, v11
	ds_store_b32 v8, v12
.LBB8_103:
	s_or_b32 exec_lo, exec_lo, s1
	s_delay_alu instid0(SALU_CYCLE_1)
	s_mov_b32 s1, exec_lo
	s_wait_storecnt_dscnt 0x0
	v_cmpx_eq_u32_e32 4, v5
	s_cbranch_execz .LBB8_105
; %bb.104:
	v_mov_b32_e32 v3, 0
	ds_load_2addr_b32 v[12:13], v3 offset0:148 offset1:204
	s_wait_dscnt 0x0
	v_readfirstlane_b32 s12, v12
	v_readfirstlane_b32 s13, v13
	s_sub_f32 s12, s12, s13
	s_delay_alu instid0(SALU_CYCLE_3) | instskip(SKIP_2) | instid1(SALU_CYCLE_1)
	s_xor_b32 s13, s12, 0x80000000
	s_cmp_lt_f32 s12, 0
	s_cselect_b32 s12, s13, s12
	s_mul_f32 s13, s12, 0x4f800000
	s_cmp_lt_f32 s12, 0xf800000
	s_delay_alu instid0(SALU_CYCLE_2) | instskip(NEXT) | instid1(SALU_CYCLE_1)
	s_cselect_b32 s13, s13, s12
	v_s_sqrt_f32 s14, s13
	s_mov_b32 s18, s13
	s_delay_alu instid0(TRANS32_DEP_1) | instskip(NEXT) | instid1(SALU_CYCLE_1)
	s_add_co_i32 s15, s14, -1
	s_xor_b32 s19, s15, 0x80000000
	s_delay_alu instid0(SALU_CYCLE_1) | instskip(SKIP_1) | instid1(SALU_CYCLE_2)
	s_fmac_f32 s18, s19, s14
	s_mov_b32 s19, s13
	s_cmp_le_f32 s18, 0
	s_cselect_b32 s15, s15, s14
	s_add_co_i32 s18, s14, 1
	s_delay_alu instid0(SALU_CYCLE_1) | instskip(NEXT) | instid1(SALU_CYCLE_1)
	s_xor_b32 s20, s18, 0x80000000
	s_fmac_f32 s19, s20, s14
	s_delay_alu instid0(SALU_CYCLE_3) | instskip(SKIP_4) | instid1(SALU_CYCLE_2)
	s_cmp_gt_f32 s19, 0
	s_cselect_b32 s14, s18, s15
	s_cmp_lt_f32 s12, 0xf800000
	s_mul_f32 s12, s14, 0x37800000
	v_cmp_class_f32_e64 s15, s13, 0x260
	s_cselect_b32 s12, s12, s14
	s_and_b32 s14, s15, exec_lo
	s_cselect_b32 s12, s13, s12
	s_delay_alu instid0(SALU_CYCLE_1)
	v_mov_b32_e32 v11, s12
	ds_store_b32 v3, v11 offset:592
.LBB8_105:
	s_or_b32 exec_lo, exec_lo, s1
	v_mov_b32_e32 v3, 0
	s_wait_dscnt 0x0
	ds_load_b32 v3, v3 offset:592
	s_wait_dscnt 0x0
	v_readfirstlane_b32 s1, v3
	s_cmp_neq_f32 s1, 0
	s_cselect_b32 vcc_lo, -1, 0
	v_cndmask_b32_e32 v3, 1.0, v3, vcc_lo
	s_nor_b32 s12, vcc_lo, s0
	s_delay_alu instid0(SALU_CYCLE_1)
	s_and_saveexec_b32 s1, s12
	s_cbranch_execz .LBB8_109
; %bb.106:
	v_mbcnt_lo_u32_b32 v3, exec_lo, 0
	s_mov_b32 s12, exec_lo
	s_delay_alu instid0(VALU_DEP_1)
	v_cmpx_eq_u32_e32 0, v3
	s_cbranch_execz .LBB8_108
; %bb.107:
	v_dual_mov_b32 v3, 0 :: v_dual_mov_b32 v11, s5
	global_atomic_min_i32 v3, v11, s[10:11] scope:SCOPE_DEV
.LBB8_108:
	s_wait_xcnt 0x0
	s_or_b32 exec_lo, exec_lo, s12
	v_mov_b32_e32 v3, 1.0
.LBB8_109:
	s_or_b32 exec_lo, exec_lo, s1
	s_delay_alu instid0(SALU_CYCLE_1)
	s_mov_b32 s1, exec_lo
	v_cmpx_lt_u32_e32 4, v5
	s_cbranch_execz .LBB8_111
; %bb.110:
	ds_load_b32 v11, v1 offset:16
	ds_load_b32 v12, v10 offset:16
	s_wait_dscnt 0x0
	v_sub_f32_e32 v11, v11, v12
	s_delay_alu instid0(VALU_DEP_1) | instskip(NEXT) | instid1(VALU_DEP_1)
	v_div_scale_f32 v12, null, v3, v3, v11
	v_rcp_f32_e32 v13, v12
	v_nop
	s_delay_alu instid0(TRANS32_DEP_1) | instskip(NEXT) | instid1(VALU_DEP_1)
	v_fma_f32 v14, -v12, v13, 1.0
	v_fmac_f32_e32 v13, v14, v13
	v_div_scale_f32 v15, vcc_lo, v11, v3, v11
	s_delay_alu instid0(VALU_DEP_1) | instskip(NEXT) | instid1(VALU_DEP_1)
	v_mul_f32_e32 v14, v15, v13
	v_fma_f32 v16, -v12, v14, v15
	s_delay_alu instid0(VALU_DEP_1) | instskip(NEXT) | instid1(VALU_DEP_1)
	v_fmac_f32_e32 v14, v16, v13
	v_fma_f32 v12, -v12, v14, v15
	s_delay_alu instid0(VALU_DEP_1) | instskip(NEXT) | instid1(VALU_DEP_1)
	v_div_fmas_f32 v12, v12, v13, v14
	v_div_fixup_f32 v3, v12, v3, v11
	ds_store_b32 v1, v3 offset:16
	s_wait_storecnt_dscnt 0x0
	ds_load_b32 v11, v9 offset:16
	ds_load_b32 v12, v8
	s_wait_dscnt 0x0
	v_fmac_f32_e32 v12, v3, v11
	ds_store_b32 v8, v12
.LBB8_111:
	s_or_b32 exec_lo, exec_lo, s1
	s_delay_alu instid0(SALU_CYCLE_1)
	s_mov_b32 s1, exec_lo
	s_wait_storecnt_dscnt 0x0
	v_cmpx_eq_u32_e32 5, v5
	s_cbranch_execz .LBB8_113
; %bb.112:
	v_mov_b32_e32 v3, 0
	ds_load_2addr_b32 v[12:13], v3 offset0:157 offset1:213
	s_wait_dscnt 0x0
	v_readfirstlane_b32 s12, v12
	v_readfirstlane_b32 s13, v13
	s_sub_f32 s12, s12, s13
	s_delay_alu instid0(SALU_CYCLE_3) | instskip(SKIP_2) | instid1(SALU_CYCLE_1)
	s_xor_b32 s13, s12, 0x80000000
	s_cmp_lt_f32 s12, 0
	s_cselect_b32 s12, s13, s12
	s_mul_f32 s13, s12, 0x4f800000
	s_cmp_lt_f32 s12, 0xf800000
	s_delay_alu instid0(SALU_CYCLE_2) | instskip(NEXT) | instid1(SALU_CYCLE_1)
	s_cselect_b32 s13, s13, s12
	v_s_sqrt_f32 s14, s13
	s_mov_b32 s18, s13
	s_delay_alu instid0(TRANS32_DEP_1) | instskip(NEXT) | instid1(SALU_CYCLE_1)
	s_add_co_i32 s15, s14, -1
	s_xor_b32 s19, s15, 0x80000000
	s_delay_alu instid0(SALU_CYCLE_1) | instskip(SKIP_1) | instid1(SALU_CYCLE_2)
	s_fmac_f32 s18, s19, s14
	s_mov_b32 s19, s13
	s_cmp_le_f32 s18, 0
	s_cselect_b32 s15, s15, s14
	s_add_co_i32 s18, s14, 1
	s_delay_alu instid0(SALU_CYCLE_1) | instskip(NEXT) | instid1(SALU_CYCLE_1)
	s_xor_b32 s20, s18, 0x80000000
	s_fmac_f32 s19, s20, s14
	s_delay_alu instid0(SALU_CYCLE_3) | instskip(SKIP_4) | instid1(SALU_CYCLE_2)
	s_cmp_gt_f32 s19, 0
	s_cselect_b32 s14, s18, s15
	s_cmp_lt_f32 s12, 0xf800000
	s_mul_f32 s12, s14, 0x37800000
	v_cmp_class_f32_e64 s15, s13, 0x260
	s_cselect_b32 s12, s12, s14
	s_and_b32 s14, s15, exec_lo
	s_cselect_b32 s12, s13, s12
	s_delay_alu instid0(SALU_CYCLE_1)
	v_mov_b32_e32 v11, s12
	ds_store_b32 v3, v11 offset:628
.LBB8_113:
	s_or_b32 exec_lo, exec_lo, s1
	v_mov_b32_e32 v3, 0
	s_wait_dscnt 0x0
	ds_load_b32 v3, v3 offset:628
	s_wait_dscnt 0x0
	v_readfirstlane_b32 s1, v3
	s_cmp_neq_f32 s1, 0
	s_cselect_b32 vcc_lo, -1, 0
	v_cndmask_b32_e32 v3, 1.0, v3, vcc_lo
	s_nor_b32 s12, vcc_lo, s0
	s_delay_alu instid0(SALU_CYCLE_1)
	s_and_saveexec_b32 s1, s12
	s_cbranch_execz .LBB8_117
; %bb.114:
	v_mbcnt_lo_u32_b32 v3, exec_lo, 0
	s_mov_b32 s12, exec_lo
	s_delay_alu instid0(VALU_DEP_1)
	v_cmpx_eq_u32_e32 0, v3
	s_cbranch_execz .LBB8_116
; %bb.115:
	v_dual_mov_b32 v3, 0 :: v_dual_mov_b32 v11, s5
	global_atomic_min_i32 v3, v11, s[10:11] scope:SCOPE_DEV
.LBB8_116:
	s_wait_xcnt 0x0
	s_or_b32 exec_lo, exec_lo, s12
	v_mov_b32_e32 v3, 1.0
.LBB8_117:
	s_or_b32 exec_lo, exec_lo, s1
	s_delay_alu instid0(SALU_CYCLE_1)
	s_mov_b32 s1, exec_lo
	v_cmpx_lt_u32_e32 5, v5
	s_cbranch_execz .LBB8_119
; %bb.118:
	ds_load_b32 v11, v1 offset:20
	ds_load_b32 v12, v10 offset:20
	s_wait_dscnt 0x0
	v_sub_f32_e32 v11, v11, v12
	s_delay_alu instid0(VALU_DEP_1) | instskip(NEXT) | instid1(VALU_DEP_1)
	v_div_scale_f32 v12, null, v3, v3, v11
	v_rcp_f32_e32 v13, v12
	v_nop
	s_delay_alu instid0(TRANS32_DEP_1) | instskip(NEXT) | instid1(VALU_DEP_1)
	v_fma_f32 v14, -v12, v13, 1.0
	v_fmac_f32_e32 v13, v14, v13
	v_div_scale_f32 v15, vcc_lo, v11, v3, v11
	s_delay_alu instid0(VALU_DEP_1) | instskip(NEXT) | instid1(VALU_DEP_1)
	v_mul_f32_e32 v14, v15, v13
	v_fma_f32 v16, -v12, v14, v15
	s_delay_alu instid0(VALU_DEP_1) | instskip(NEXT) | instid1(VALU_DEP_1)
	v_fmac_f32_e32 v14, v16, v13
	v_fma_f32 v12, -v12, v14, v15
	s_delay_alu instid0(VALU_DEP_1) | instskip(NEXT) | instid1(VALU_DEP_1)
	v_div_fmas_f32 v12, v12, v13, v14
	v_div_fixup_f32 v3, v12, v3, v11
	ds_store_b32 v1, v3 offset:20
	s_wait_storecnt_dscnt 0x0
	ds_load_b32 v11, v9 offset:20
	ds_load_b32 v12, v8
	s_wait_dscnt 0x0
	v_fmac_f32_e32 v12, v3, v11
	ds_store_b32 v8, v12
.LBB8_119:
	s_or_b32 exec_lo, exec_lo, s1
	s_delay_alu instid0(SALU_CYCLE_1)
	s_mov_b32 s1, exec_lo
	s_wait_storecnt_dscnt 0x0
	v_cmpx_eq_u32_e32 6, v5
	s_cbranch_execz .LBB8_121
; %bb.120:
	v_mov_b32_e32 v3, 0
	ds_load_2addr_b32 v[12:13], v3 offset0:166 offset1:222
	s_wait_dscnt 0x0
	v_readfirstlane_b32 s12, v12
	v_readfirstlane_b32 s13, v13
	s_sub_f32 s12, s12, s13
	s_delay_alu instid0(SALU_CYCLE_3) | instskip(SKIP_2) | instid1(SALU_CYCLE_1)
	s_xor_b32 s13, s12, 0x80000000
	s_cmp_lt_f32 s12, 0
	s_cselect_b32 s12, s13, s12
	s_mul_f32 s13, s12, 0x4f800000
	s_cmp_lt_f32 s12, 0xf800000
	s_delay_alu instid0(SALU_CYCLE_2) | instskip(NEXT) | instid1(SALU_CYCLE_1)
	s_cselect_b32 s13, s13, s12
	v_s_sqrt_f32 s14, s13
	s_mov_b32 s18, s13
	s_delay_alu instid0(TRANS32_DEP_1) | instskip(NEXT) | instid1(SALU_CYCLE_1)
	s_add_co_i32 s15, s14, -1
	s_xor_b32 s19, s15, 0x80000000
	s_delay_alu instid0(SALU_CYCLE_1) | instskip(SKIP_1) | instid1(SALU_CYCLE_2)
	s_fmac_f32 s18, s19, s14
	s_mov_b32 s19, s13
	s_cmp_le_f32 s18, 0
	s_cselect_b32 s15, s15, s14
	s_add_co_i32 s18, s14, 1
	s_delay_alu instid0(SALU_CYCLE_1) | instskip(NEXT) | instid1(SALU_CYCLE_1)
	s_xor_b32 s20, s18, 0x80000000
	s_fmac_f32 s19, s20, s14
	s_delay_alu instid0(SALU_CYCLE_3) | instskip(SKIP_4) | instid1(SALU_CYCLE_2)
	s_cmp_gt_f32 s19, 0
	s_cselect_b32 s14, s18, s15
	s_cmp_lt_f32 s12, 0xf800000
	s_mul_f32 s12, s14, 0x37800000
	v_cmp_class_f32_e64 s15, s13, 0x260
	s_cselect_b32 s12, s12, s14
	s_and_b32 s14, s15, exec_lo
	s_cselect_b32 s12, s13, s12
	s_delay_alu instid0(SALU_CYCLE_1)
	v_mov_b32_e32 v11, s12
	ds_store_b32 v3, v11 offset:664
.LBB8_121:
	s_or_b32 exec_lo, exec_lo, s1
	v_mov_b32_e32 v3, 0
	s_wait_dscnt 0x0
	ds_load_b32 v3, v3 offset:664
	s_wait_dscnt 0x0
	v_readfirstlane_b32 s1, v3
	s_cmp_neq_f32 s1, 0
	s_cselect_b32 vcc_lo, -1, 0
	v_cndmask_b32_e32 v3, 1.0, v3, vcc_lo
	s_nor_b32 s1, vcc_lo, s0
	s_delay_alu instid0(SALU_CYCLE_1)
	s_and_saveexec_b32 s0, s1
	s_cbranch_execz .LBB8_125
; %bb.122:
	v_mbcnt_lo_u32_b32 v3, exec_lo, 0
	s_mov_b32 s1, exec_lo
	s_delay_alu instid0(VALU_DEP_1)
	v_cmpx_eq_u32_e32 0, v3
	s_cbranch_execz .LBB8_124
; %bb.123:
	v_dual_mov_b32 v3, 0 :: v_dual_mov_b32 v11, s5
	global_atomic_min_i32 v3, v11, s[10:11] scope:SCOPE_DEV
.LBB8_124:
	s_wait_xcnt 0x0
	s_or_b32 exec_lo, exec_lo, s1
	v_mov_b32_e32 v3, 1.0
.LBB8_125:
	s_or_b32 exec_lo, exec_lo, s0
	s_delay_alu instid0(SALU_CYCLE_1)
	s_mov_b32 s0, exec_lo
	v_cmpx_lt_u32_e32 6, v5
	s_cbranch_execz .LBB8_127
; %bb.126:
	ds_load_b32 v11, v1 offset:24
	ds_load_b32 v10, v10 offset:24
	s_wait_dscnt 0x0
	v_sub_f32_e32 v10, v11, v10
	s_delay_alu instid0(VALU_DEP_1) | instskip(NEXT) | instid1(VALU_DEP_1)
	v_div_scale_f32 v11, null, v3, v3, v10
	v_rcp_f32_e32 v12, v11
	v_nop
	s_delay_alu instid0(TRANS32_DEP_1) | instskip(NEXT) | instid1(VALU_DEP_1)
	v_fma_f32 v13, -v11, v12, 1.0
	v_fmac_f32_e32 v12, v13, v12
	v_div_scale_f32 v14, vcc_lo, v10, v3, v10
	s_delay_alu instid0(VALU_DEP_1) | instskip(NEXT) | instid1(VALU_DEP_1)
	v_mul_f32_e32 v13, v14, v12
	v_fma_f32 v15, -v11, v13, v14
	s_delay_alu instid0(VALU_DEP_1) | instskip(NEXT) | instid1(VALU_DEP_1)
	v_fmac_f32_e32 v13, v15, v12
	v_fma_f32 v11, -v11, v13, v14
	s_delay_alu instid0(VALU_DEP_1) | instskip(NEXT) | instid1(VALU_DEP_1)
	v_div_fmas_f32 v11, v11, v12, v13
	v_div_fixup_f32 v3, v11, v3, v10
	ds_store_b32 v1, v3 offset:24
	s_wait_storecnt_dscnt 0x0
	ds_load_b32 v1, v9 offset:24
	ds_load_b32 v9, v8
	s_wait_dscnt 0x0
	v_fmac_f32_e32 v9, v3, v1
	ds_store_b32 v8, v9
.LBB8_127:
	s_or_b32 exec_lo, exec_lo, s0
	s_wait_storecnt_dscnt 0x0
	ds_load_b32 v0, v0
	s_and_not1_b32 vcc_lo, exec_lo, s4
	s_cbranch_vccnz .LBB8_129
; %bb.128:
	v_mov_b32_e32 v6, v7
.LBB8_129:
	s_delay_alu instid0(VALU_DEP_1)
	v_add_nc_u32_e32 v1, s26, v6
	s_mov_b32 s0, 0
	s_mov_b32 s1, exec_lo
	s_wait_dscnt 0x0
	global_store_b32 v1, v0, s[16:17] scale_offset
	s_wait_xcnt 0x0
	v_cmpx_eq_u32_e32 0, v2
	s_cbranch_execz .LBB8_131
; %bb.130:
	v_dual_mov_b32 v0, 0 :: v_dual_mov_b32 v1, 1
	s_add_nc_u64 s[4:5], s[6:7], s[2:3]
	global_wb scope:SCOPE_DEV
	s_wait_storecnt 0x0
	global_store_b32 v0, v1, s[4:5] scope:SCOPE_DEV
.LBB8_131:
	s_wait_xcnt 0x0
	s_or_b32 exec_lo, exec_lo, s1
	s_delay_alu instid0(SALU_CYCLE_1)
	s_and_b32 vcc_lo, exec_lo, s0
	s_cbranch_vccnz .LBB8_134
.LBB8_132:
	s_endpgm
.LBB8_133:
	s_cbranch_execz .LBB8_132
.LBB8_134:
	v_or_b32_e32 v0, v4, v5
	s_mov_b32 s0, exec_lo
	s_delay_alu instid0(VALU_DEP_1)
	v_cmpx_eq_u32_e32 0, v0
	s_cbranch_execz .LBB8_132
; %bb.135:
	v_mbcnt_lo_u32_b32 v0, exec_lo, 0
	s_mov_b32 s0, exec_lo
	s_delay_alu instid0(VALU_DEP_1)
	v_cmpx_eq_u32_e32 0, v0
	s_cbranch_execz .LBB8_137
; %bb.136:
	s_add_co_i32 s1, s8, s9
	s_delay_alu instid0(SALU_CYCLE_1)
	v_dual_mov_b32 v0, 0 :: v_dual_mov_b32 v1, s1
	global_atomic_min_i32 v0, v1, s[10:11] scope:SCOPE_DEV
.LBB8_137:
	s_wait_xcnt 0x0
	s_or_b32 exec_lo, exec_lo, s0
	v_dual_mov_b32 v0, 0 :: v_dual_mov_b32 v1, 1
	s_add_nc_u64 s[0:1], s[6:7], s[2:3]
	global_wb scope:SCOPE_DEV
	s_wait_storecnt 0x0
	global_store_b32 v0, v1, s[0:1] scope:SCOPE_DEV
	s_endpgm
	.section	.rodata,"a",@progbits
	.p2align	6, 0x0
	.amdhsa_kernel _ZN9rocsparseL26bsric0_2_8_unrolled_kernelILi49ELi32ELi7EfEEv20rocsparse_direction_iiPKiS3_PT2_S3_PiS3_S6_21rocsparse_index_base_
		.amdhsa_group_segment_fixed_size 1280
		.amdhsa_private_segment_fixed_size 0
		.amdhsa_kernarg_size 76
		.amdhsa_user_sgpr_count 2
		.amdhsa_user_sgpr_dispatch_ptr 0
		.amdhsa_user_sgpr_queue_ptr 0
		.amdhsa_user_sgpr_kernarg_segment_ptr 1
		.amdhsa_user_sgpr_dispatch_id 0
		.amdhsa_user_sgpr_kernarg_preload_length 0
		.amdhsa_user_sgpr_kernarg_preload_offset 0
		.amdhsa_user_sgpr_private_segment_size 0
		.amdhsa_wavefront_size32 1
		.amdhsa_uses_dynamic_stack 0
		.amdhsa_enable_private_segment 0
		.amdhsa_system_sgpr_workgroup_id_x 1
		.amdhsa_system_sgpr_workgroup_id_y 0
		.amdhsa_system_sgpr_workgroup_id_z 0
		.amdhsa_system_sgpr_workgroup_info 0
		.amdhsa_system_vgpr_workitem_id 1
		.amdhsa_next_free_vgpr 42
		.amdhsa_next_free_sgpr 37
		.amdhsa_named_barrier_count 0
		.amdhsa_reserve_vcc 1
		.amdhsa_float_round_mode_32 0
		.amdhsa_float_round_mode_16_64 0
		.amdhsa_float_denorm_mode_32 3
		.amdhsa_float_denorm_mode_16_64 3
		.amdhsa_fp16_overflow 0
		.amdhsa_memory_ordered 1
		.amdhsa_forward_progress 1
		.amdhsa_inst_pref_size 72
		.amdhsa_round_robin_scheduling 0
		.amdhsa_exception_fp_ieee_invalid_op 0
		.amdhsa_exception_fp_denorm_src 0
		.amdhsa_exception_fp_ieee_div_zero 0
		.amdhsa_exception_fp_ieee_overflow 0
		.amdhsa_exception_fp_ieee_underflow 0
		.amdhsa_exception_fp_ieee_inexact 0
		.amdhsa_exception_int_div_zero 0
	.end_amdhsa_kernel
	.section	.text._ZN9rocsparseL26bsric0_2_8_unrolled_kernelILi49ELi32ELi7EfEEv20rocsparse_direction_iiPKiS3_PT2_S3_PiS3_S6_21rocsparse_index_base_,"axG",@progbits,_ZN9rocsparseL26bsric0_2_8_unrolled_kernelILi49ELi32ELi7EfEEv20rocsparse_direction_iiPKiS3_PT2_S3_PiS3_S6_21rocsparse_index_base_,comdat
.Lfunc_end8:
	.size	_ZN9rocsparseL26bsric0_2_8_unrolled_kernelILi49ELi32ELi7EfEEv20rocsparse_direction_iiPKiS3_PT2_S3_PiS3_S6_21rocsparse_index_base_, .Lfunc_end8-_ZN9rocsparseL26bsric0_2_8_unrolled_kernelILi49ELi32ELi7EfEEv20rocsparse_direction_iiPKiS3_PT2_S3_PiS3_S6_21rocsparse_index_base_
                                        ; -- End function
	.set _ZN9rocsparseL26bsric0_2_8_unrolled_kernelILi49ELi32ELi7EfEEv20rocsparse_direction_iiPKiS3_PT2_S3_PiS3_S6_21rocsparse_index_base_.num_vgpr, 42
	.set _ZN9rocsparseL26bsric0_2_8_unrolled_kernelILi49ELi32ELi7EfEEv20rocsparse_direction_iiPKiS3_PT2_S3_PiS3_S6_21rocsparse_index_base_.num_agpr, 0
	.set _ZN9rocsparseL26bsric0_2_8_unrolled_kernelILi49ELi32ELi7EfEEv20rocsparse_direction_iiPKiS3_PT2_S3_PiS3_S6_21rocsparse_index_base_.numbered_sgpr, 37
	.set _ZN9rocsparseL26bsric0_2_8_unrolled_kernelILi49ELi32ELi7EfEEv20rocsparse_direction_iiPKiS3_PT2_S3_PiS3_S6_21rocsparse_index_base_.num_named_barrier, 0
	.set _ZN9rocsparseL26bsric0_2_8_unrolled_kernelILi49ELi32ELi7EfEEv20rocsparse_direction_iiPKiS3_PT2_S3_PiS3_S6_21rocsparse_index_base_.private_seg_size, 0
	.set _ZN9rocsparseL26bsric0_2_8_unrolled_kernelILi49ELi32ELi7EfEEv20rocsparse_direction_iiPKiS3_PT2_S3_PiS3_S6_21rocsparse_index_base_.uses_vcc, 1
	.set _ZN9rocsparseL26bsric0_2_8_unrolled_kernelILi49ELi32ELi7EfEEv20rocsparse_direction_iiPKiS3_PT2_S3_PiS3_S6_21rocsparse_index_base_.uses_flat_scratch, 0
	.set _ZN9rocsparseL26bsric0_2_8_unrolled_kernelILi49ELi32ELi7EfEEv20rocsparse_direction_iiPKiS3_PT2_S3_PiS3_S6_21rocsparse_index_base_.has_dyn_sized_stack, 0
	.set _ZN9rocsparseL26bsric0_2_8_unrolled_kernelILi49ELi32ELi7EfEEv20rocsparse_direction_iiPKiS3_PT2_S3_PiS3_S6_21rocsparse_index_base_.has_recursion, 0
	.set _ZN9rocsparseL26bsric0_2_8_unrolled_kernelILi49ELi32ELi7EfEEv20rocsparse_direction_iiPKiS3_PT2_S3_PiS3_S6_21rocsparse_index_base_.has_indirect_call, 0
	.section	.AMDGPU.csdata,"",@progbits
; Kernel info:
; codeLenInByte = 9140
; TotalNumSgprs: 39
; NumVgprs: 42
; ScratchSize: 0
; MemoryBound: 0
; FloatMode: 240
; IeeeMode: 1
; LDSByteSize: 1280 bytes/workgroup (compile time only)
; SGPRBlocks: 0
; VGPRBlocks: 2
; NumSGPRsForWavesPerEU: 39
; NumVGPRsForWavesPerEU: 42
; NamedBarCnt: 0
; Occupancy: 16
; WaveLimiterHint : 1
; COMPUTE_PGM_RSRC2:SCRATCH_EN: 0
; COMPUTE_PGM_RSRC2:USER_SGPR: 2
; COMPUTE_PGM_RSRC2:TRAP_HANDLER: 0
; COMPUTE_PGM_RSRC2:TGID_X_EN: 1
; COMPUTE_PGM_RSRC2:TGID_Y_EN: 0
; COMPUTE_PGM_RSRC2:TGID_Z_EN: 0
; COMPUTE_PGM_RSRC2:TIDIG_COMP_CNT: 1
	.section	.text._ZN9rocsparseL26bsric0_2_8_unrolled_kernelILi64ELi32ELi8EfEEv20rocsparse_direction_iiPKiS3_PT2_S3_PiS3_S6_21rocsparse_index_base_,"axG",@progbits,_ZN9rocsparseL26bsric0_2_8_unrolled_kernelILi64ELi32ELi8EfEEv20rocsparse_direction_iiPKiS3_PT2_S3_PiS3_S6_21rocsparse_index_base_,comdat
	.globl	_ZN9rocsparseL26bsric0_2_8_unrolled_kernelILi64ELi32ELi8EfEEv20rocsparse_direction_iiPKiS3_PT2_S3_PiS3_S6_21rocsparse_index_base_ ; -- Begin function _ZN9rocsparseL26bsric0_2_8_unrolled_kernelILi64ELi32ELi8EfEEv20rocsparse_direction_iiPKiS3_PT2_S3_PiS3_S6_21rocsparse_index_base_
	.p2align	8
	.type	_ZN9rocsparseL26bsric0_2_8_unrolled_kernelILi64ELi32ELi8EfEEv20rocsparse_direction_iiPKiS3_PT2_S3_PiS3_S6_21rocsparse_index_base_,@function
_ZN9rocsparseL26bsric0_2_8_unrolled_kernelILi64ELi32ELi8EfEEv20rocsparse_direction_iiPKiS3_PT2_S3_PiS3_S6_21rocsparse_index_base_: ; @_ZN9rocsparseL26bsric0_2_8_unrolled_kernelILi64ELi32ELi8EfEEv20rocsparse_direction_iiPKiS3_PT2_S3_PiS3_S6_21rocsparse_index_base_
; %bb.0:
	s_load_b256 s[4:11], s[0:1], 0x28
	s_bfe_u32 s2, ttmp6, 0x4000c
	s_and_b32 s3, ttmp6, 15
	s_add_co_i32 s2, s2, 1
	s_getreg_b32 s12, hwreg(HW_REG_IB_STS2, 6, 4)
	s_mul_i32 s2, ttmp9, s2
	v_and_b32_e32 v4, 0x3ff, v0
	s_add_co_i32 s3, s3, s2
	s_cmp_eq_u32 s12, 0
	v_bfe_u32 v5, v0, 10, 10
	s_cselect_b32 s2, ttmp9, s3
	s_wait_kmcnt 0x0
	s_load_b32 s8, s[8:9], s2 offset:0x0 scale_offset
	s_wait_kmcnt 0x0
	s_ashr_i32 s9, s8, 31
	s_delay_alu instid0(SALU_CYCLE_1) | instskip(NEXT) | instid1(SALU_CYCLE_1)
	s_lshl_b64 s[2:3], s[8:9], 2
	s_add_nc_u64 s[12:13], s[4:5], s[2:3]
	s_load_b32 s26, s[12:13], 0x0
	s_load_b32 s9, s[0:1], 0x48
	s_wait_kmcnt 0x0
	s_cmp_lg_u32 s26, -1
	s_cbranch_scc0 .LBB9_15
; %bb.1:
	s_load_b128 s[12:15], s[0:1], 0x10
	s_wait_kmcnt 0x0
	s_add_nc_u64 s[16:17], s[12:13], s[2:3]
	s_load_b32 s17, s[16:17], 0x0
	s_wait_xcnt 0x0
	s_mov_b32 s16, exec_lo
	s_wait_kmcnt 0x0
	s_sub_co_i32 s27, s17, s9
	v_lshlrev_b32_e32 v12, 3, v5
	s_delay_alu instid0(VALU_DEP_1) | instskip(NEXT) | instid1(VALU_DEP_1)
	v_add_nc_u32_e32 v11, v12, v4
	v_add_nc_u32_e32 v0, s27, v11
	s_delay_alu instid0(VALU_DEP_1)
	v_cmpx_ge_i32_e64 s26, v0
	s_cbranch_execz .LBB9_13
; %bb.2:
	v_add_nc_u32_e32 v1, s17, v11
	s_add_co_i32 s18, s26, 1
	v_not_b32_e32 v2, v4
	s_mov_b32 s19, -1
	s_delay_alu instid0(VALU_DEP_2) | instskip(NEXT) | instid1(VALU_DEP_1)
	v_subrev_nc_u32_e32 v1, s9, v1
	v_add_max_i32_e64 v1, v1, 64, s18
	s_mov_b32 s18, exec_lo
	s_delay_alu instid0(VALU_DEP_1) | instskip(SKIP_1) | instid1(VALU_DEP_1)
	v_add3_u32 v1, s9, v1, v2
	v_add_nc_u32_e32 v2, s17, v12
	v_sub_nc_u32_e32 v1, v1, v2
	s_delay_alu instid0(VALU_DEP_1)
	v_cmpx_lt_u32_e32 63, v1
	s_cbranch_execz .LBB9_10
; %bb.3:
	v_dual_lshrrev_b32 v6, 6, v1 :: v_dual_add_nc_u32 v1, 64, v0
	s_delay_alu instid0(VALU_DEP_1) | instskip(NEXT) | instid1(VALU_DEP_1)
	v_add_nc_u32_e32 v2, -1, v6
	v_lshrrev_b32_e32 v3, 1, v2
	v_cmp_lt_u32_e32 vcc_lo, 13, v2
	s_delay_alu instid0(VALU_DEP_2)
	v_add_nc_u32_e32 v7, 1, v3
	v_mov_b64_e32 v[2:3], v[0:1]
	s_and_saveexec_b32 s19, vcc_lo
	s_cbranch_execz .LBB9_7
; %bb.4:
	v_mov_b64_e32 v[2:3], v[0:1]
	v_and_b32_e32 v8, -8, v7
	s_mov_b32 s20, 0
.LBB9_5:                                ; =>This Inner Loop Header: Depth=1
	s_clause 0x1
	global_load_b32 v1, v2, s[14:15] scale_offset
	global_load_b32 v9, v3, s[14:15] scale_offset
	v_add_nc_u32_e32 v18, 0x200, v3
	v_add_nc_u32_e32 v16, 0x180, v3
	v_add_nc_u32_e32 v14, 0x100, v3
	v_add_nc_u32_e32 v10, 0x80, v3
	v_add_nc_u32_e32 v13, 0x80, v2
	v_add_nc_u32_e32 v15, 0x100, v2
	v_add_nc_u32_e32 v17, 0x180, v2
	v_add_nc_u32_e32 v19, 0x200, v2
	v_add_nc_u32_e32 v20, 0x280, v3
	v_add_nc_u32_e32 v21, 0x280, v2
	v_add_nc_u32_e32 v22, 0x300, v3
	v_add_nc_u32_e32 v23, 0x300, v2
	v_add_nc_u32_e32 v24, 0x380, v3
	v_add_nc_u32_e32 v25, 0x380, v2
	s_clause 0xd
	global_load_b32 v26, v18, s[14:15] scale_offset
	global_load_b32 v27, v16, s[14:15] scale_offset
	;; [unrolled: 1-line block ×14, first 2 shown]
	v_subrev_nc_u32_e32 v40, s27, v2
	v_subrev_nc_u32_e32 v41, s27, v3
	v_add_nc_u32_e32 v8, -8, v8
	s_wait_xcnt 0x9
	v_subrev_nc_u32_e32 v13, s27, v13
	v_subrev_nc_u32_e32 v10, s27, v10
	v_dual_lshlrev_b32 v40, 2, v40 :: v_dual_lshlrev_b32 v41, 2, v41
	s_wait_xcnt 0x8
	v_subrev_nc_u32_e32 v15, s27, v15
	v_subrev_nc_u32_e32 v14, s27, v14
	v_cmp_eq_u32_e32 vcc_lo, 0, v8
	s_wait_xcnt 0x7
	v_subrev_nc_u32_e32 v17, s27, v17
	v_add_nc_u32_e32 v3, 0x400, v3
	v_subrev_nc_u32_e32 v16, s27, v16
	v_subrev_nc_u32_e32 v18, s27, v18
	s_wait_xcnt 0x6
	v_subrev_nc_u32_e32 v19, s27, v19
	s_wait_xcnt 0x3
	v_subrev_nc_u32_e32 v20, s27, v20
	s_wait_xcnt 0x2
	v_subrev_nc_u32_e32 v21, s27, v21
	v_subrev_nc_u32_e32 v22, s27, v22
	s_wait_xcnt 0x1
	v_subrev_nc_u32_e32 v23, s27, v23
	v_subrev_nc_u32_e32 v24, s27, v24
	s_wait_xcnt 0x0
	v_subrev_nc_u32_e32 v25, s27, v25
	v_add_nc_u32_e32 v2, 0x400, v2
	v_dual_lshlrev_b32 v13, 2, v13 :: v_dual_lshlrev_b32 v10, 2, v10
	v_dual_lshlrev_b32 v15, 2, v15 :: v_dual_lshlrev_b32 v14, 2, v14
	v_lshlrev_b32_e32 v17, 2, v17
	s_or_b32 s20, vcc_lo, s20
	v_dual_lshlrev_b32 v16, 2, v16 :: v_dual_lshlrev_b32 v19, 2, v19
	v_dual_lshlrev_b32 v18, 2, v18 :: v_dual_lshlrev_b32 v21, 2, v21
	v_dual_lshlrev_b32 v20, 2, v20 :: v_dual_lshlrev_b32 v23, 2, v23
	v_dual_lshlrev_b32 v22, 2, v22 :: v_dual_lshlrev_b32 v25, 2, v25
	v_lshlrev_b32_e32 v24, 2, v24
	s_wait_loadcnt 0xf
	v_subrev_nc_u32_e32 v1, s9, v1
	s_wait_loadcnt 0xe
	v_subrev_nc_u32_e32 v9, s9, v9
	ds_store_b32 v40, v1 offset:1408
	ds_store_b32 v41, v9 offset:1408
	s_wait_loadcnt 0xa
	v_subrev_nc_u32_e32 v1, s9, v29
	s_wait_loadcnt 0x9
	v_subrev_nc_u32_e32 v9, s9, v30
	;; [unrolled: 2-line block ×3, first 2 shown]
	v_subrev_nc_u32_e32 v28, s9, v28
	s_wait_loadcnt 0x7
	v_subrev_nc_u32_e32 v30, s9, v32
	v_subrev_nc_u32_e32 v27, s9, v27
	;; [unrolled: 1-line block ×3, first 2 shown]
	s_wait_loadcnt 0x6
	v_subrev_nc_u32_e32 v31, s9, v33
	s_wait_loadcnt 0x3
	v_subrev_nc_u32_e32 v32, s9, v36
	;; [unrolled: 2-line block ×3, first 2 shown]
	v_subrev_nc_u32_e32 v35, s9, v35
	s_wait_loadcnt 0x1
	v_subrev_nc_u32_e32 v36, s9, v38
	v_subrev_nc_u32_e32 v34, s9, v34
	s_wait_loadcnt 0x0
	v_subrev_nc_u32_e32 v37, s9, v39
	ds_store_b32 v13, v9 offset:1408
	ds_store_b32 v10, v1 offset:1408
	;; [unrolled: 1-line block ×14, first 2 shown]
	s_and_not1_b32 exec_lo, exec_lo, s20
	s_cbranch_execnz .LBB9_5
; %bb.6:
	s_or_b32 exec_lo, exec_lo, s20
.LBB9_7:
	s_delay_alu instid0(SALU_CYCLE_1) | instskip(SKIP_3) | instid1(VALU_DEP_1)
	s_or_b32 exec_lo, exec_lo, s19
	v_and_b32_e32 v1, 7, v7
	s_mov_b32 s20, 0
	s_mov_b32 s19, exec_lo
	v_cmpx_ne_u32_e32 0, v1
	s_cbranch_execz .LBB9_9
.LBB9_8:                                ; =>This Inner Loop Header: Depth=1
	s_clause 0x1
	global_load_b32 v7, v2, s[14:15] scale_offset
	global_load_b32 v8, v3, s[14:15] scale_offset
	v_subrev_nc_u32_e32 v10, s27, v3
	v_add_nc_u32_e32 v1, -1, v1
	v_subrev_nc_u32_e32 v9, s27, v2
	s_wait_xcnt 0x0
	v_add_nc_u32_e32 v3, 0x80, v3
	v_add_nc_u32_e32 v2, 0x80, v2
	v_lshlrev_b32_e32 v10, 2, v10
	v_cmp_eq_u32_e32 vcc_lo, 0, v1
	v_lshlrev_b32_e32 v9, 2, v9
	s_or_b32 s20, vcc_lo, s20
	s_wait_loadcnt 0x1
	v_subrev_nc_u32_e32 v7, s9, v7
	s_wait_loadcnt 0x0
	v_subrev_nc_u32_e32 v8, s9, v8
	ds_store_b32 v9, v7 offset:1408
	ds_store_b32 v10, v8 offset:1408
	s_and_not1_b32 exec_lo, exec_lo, s20
	s_cbranch_execnz .LBB9_8
.LBB9_9:
	s_or_b32 exec_lo, exec_lo, s19
	v_add_nc_u32_e32 v1, 1, v6
	s_delay_alu instid0(VALU_DEP_1) | instskip(NEXT) | instid1(VALU_DEP_1)
	v_and_b32_e32 v2, 0x7fffffe, v1
	v_cmp_ne_u32_e32 vcc_lo, v1, v2
	v_lshl_add_u32 v0, v2, 6, v0
	s_or_not1_b32 s19, vcc_lo, exec_lo
.LBB9_10:
	s_or_b32 exec_lo, exec_lo, s18
	s_delay_alu instid0(SALU_CYCLE_1)
	s_and_b32 exec_lo, exec_lo, s19
	s_cbranch_execz .LBB9_13
; %bb.11:
	v_add_nc_u32_e32 v1, s9, v0
	s_delay_alu instid0(VALU_DEP_1) | instskip(SKIP_2) | instid1(VALU_DEP_2)
	v_subrev_nc_u32_e32 v2, s17, v1
	v_ashrrev_i32_e32 v1, 31, v0
	s_mov_b32 s17, 0
	v_lshl_add_u32 v6, v2, 2, 0x580
	s_delay_alu instid0(VALU_DEP_2)
	v_lshl_add_u64 v[2:3], v[0:1], 2, s[14:15]
.LBB9_12:                               ; =>This Inner Loop Header: Depth=1
	global_load_b32 v1, v[2:3], off
	v_add_nc_u32_e32 v0, 64, v0
	s_wait_xcnt 0x0
	v_add_nc_u64_e32 v[2:3], 0x100, v[2:3]
	s_delay_alu instid0(VALU_DEP_2)
	v_cmp_lt_i32_e32 vcc_lo, s26, v0
	s_or_b32 s17, vcc_lo, s17
	s_wait_loadcnt 0x0
	v_subrev_nc_u32_e32 v1, s9, v1
	ds_store_b32 v6, v1
	v_add_nc_u32_e32 v6, 0x100, v6
	s_and_not1_b32 exec_lo, exec_lo, s17
	s_cbranch_execnz .LBB9_12
.LBB9_13:
	s_or_b32 exec_lo, exec_lo, s16
	s_load_b64 s[16:17], s[0:1], 0x20
	v_mad_u32_u24 v8, v5, 36, 0x360
	v_mov_b32_e32 v0, 0
	s_cmp_lt_i32 s27, s26
	s_delay_alu instid0(VALU_DEP_2)
	v_lshl_add_u32 v6, v4, 2, v8
	ds_store_b32 v6, v0
	s_wait_dscnt 0x0
	s_cbranch_scc1 .LBB9_17
; %bb.14:
	v_lshl_add_u32 v13, v4, 3, v5
	v_or_b32_e32 v7, v4, v5
	s_mov_b32 s18, 0
	s_branch .LBB9_18
.LBB9_15:
	s_cbranch_execnz .LBB9_144
.LBB9_16:
	s_endpgm
.LBB9_17:
	s_mov_b32 s18, -1
                                        ; implicit-def: $vgpr13
                                        ; implicit-def: $vgpr7
.LBB9_18:
	s_wait_xcnt 0x0
	s_load_b32 s1, s[0:1], 0x0
	v_mad_u32_u24 v10, v5, 36, 0x240
	v_mad_u32_u24 v9, v4, 36, 0x240
	s_and_not1_b32 vcc_lo, exec_lo, s18
	s_cbranch_vccnz .LBB9_77
; %bb.19:
	v_dual_lshlrev_b32 v14, 3, v4 :: v_dual_lshlrev_b32 v0, 2, v4
	s_wait_kmcnt 0x0
	s_cmp_lg_u32 s1, 0
	v_mad_u32_u24 v15, v5, 36, 0x120
	s_delay_alu instid0(VALU_DEP_2) | instskip(SKIP_2) | instid1(VALU_DEP_2)
	v_dual_add_nc_u32 v13, v14, v5 :: v_dual_bitop2_b32 v7, v4, v5 bitop3:0x54
	s_cselect_b32 s28, -1, 0
	s_cmp_eq_u32 s1, 0
	v_dual_add_nc_u32 v16, v10, v0 :: v_dual_add_nc_u32 v18, v15, v0
	s_cselect_b32 vcc_lo, -1, 0
	v_mad_u32_u24 v17, v5, 36, v0
	v_cmp_ne_u32_e64 s0, 0, v7
	v_dual_cndmask_b32 v19, v13, v11 :: v_dual_mov_b32 v20, 0
	s_mov_b32 s18, s27
	s_branch .LBB9_23
.LBB9_20:                               ;   in Loop: Header=BB9_23 Depth=1
	s_wait_xcnt 0x0
	s_or_b32 exec_lo, exec_lo, s21
	v_mov_b32_e32 v3, 1.0
.LBB9_21:                               ;   in Loop: Header=BB9_23 Depth=1
	s_or_b32 exec_lo, exec_lo, s20
	ds_load_2addr_b32 v[22:23], v20 offset0:63 offset1:64
	ds_load_b32 v21, v15 offset:28
	ds_load_2addr_b32 v[24:25], v10 offset1:1
	ds_load_2addr_b32 v[26:27], v10 offset0:2 offset1:3
	ds_load_2addr_b32 v[28:29], v20 offset0:65 offset1:66
	;; [unrolled: 1-line block ×4, first 2 shown]
	s_add_co_i32 s18, s18, 1
	s_delay_alu instid0(SALU_CYCLE_1) | instskip(SKIP_3) | instid1(VALU_DEP_1)
	s_cmp_ge_i32 s18, s26
	s_cselect_b32 s24, -1, 0
	s_wait_dscnt 0x4
	v_fmac_f32_e32 v21, v22, v24
	v_fmac_f32_e32 v21, v23, v25
	ds_load_b32 v22, v20 offset:276
	ds_load_b32 v23, v10 offset:24
	s_wait_dscnt 0x4
	v_fmac_f32_e32 v21, v28, v26
	s_delay_alu instid0(VALU_DEP_1) | instskip(SKIP_1) | instid1(VALU_DEP_1)
	v_fmac_f32_e32 v21, v29, v27
	s_wait_dscnt 0x2
	v_fmac_f32_e32 v21, v30, v32
	s_delay_alu instid0(VALU_DEP_1) | instskip(SKIP_1) | instid1(VALU_DEP_1)
	v_fmac_f32_e32 v21, v31, v33
	s_wait_dscnt 0x0
	v_fmac_f32_e32 v21, v22, v23
	s_delay_alu instid0(VALU_DEP_1) | instskip(NEXT) | instid1(VALU_DEP_1)
	v_sub_f32_e32 v2, v2, v21
	v_div_scale_f32 v21, null, v3, v3, v2
	v_div_scale_f32 v24, vcc_lo, v2, v3, v2
	s_delay_alu instid0(VALU_DEP_2) | instskip(SKIP_1) | instid1(TRANS32_DEP_1)
	v_rcp_f32_e32 v22, v21
	v_nop
	v_fma_f32 v23, -v21, v22, 1.0
	s_delay_alu instid0(VALU_DEP_1) | instskip(NEXT) | instid1(VALU_DEP_1)
	v_fmac_f32_e32 v22, v23, v22
	v_mul_f32_e32 v23, v24, v22
	s_delay_alu instid0(VALU_DEP_1) | instskip(NEXT) | instid1(VALU_DEP_1)
	v_fma_f32 v25, -v21, v23, v24
	v_fmac_f32_e32 v23, v25, v22
	s_delay_alu instid0(VALU_DEP_1) | instskip(NEXT) | instid1(VALU_DEP_1)
	v_fma_f32 v21, -v21, v23, v24
	v_div_fmas_f32 v21, v21, v22, v23
	s_delay_alu instid0(VALU_DEP_1)
	v_div_fixup_f32 v2, v21, v3, v2
	ds_store_b32 v10, v2 offset:28
	s_wait_storecnt_dscnt 0x0
	ds_load_b32 v3, v9 offset:28
	ds_load_b32 v21, v6
	s_wait_dscnt 0x0
	v_fmac_f32_e32 v21, v2, v3
	ds_store_b32 v6, v21
	s_wait_dscnt 0x0
	ds_load_b32 v2, v16
	s_wait_dscnt 0x0
	global_store_b32 v[0:1], v2, off
	global_wb scope:SCOPE_DEV
	s_wait_storecnt 0x0
	global_inv scope:SCOPE_DEV
.LBB9_22:                               ;   in Loop: Header=BB9_23 Depth=1
	s_and_b32 vcc_lo, exec_lo, s24
	s_cbranch_vccnz .LBB9_77
.LBB9_23:                               ; =>This Loop Header: Depth=1
                                        ;     Child Loop BB9_26 Depth 2
                                        ;     Child Loop BB9_37 Depth 2
	;; [unrolled: 1-line block ×3, first 2 shown]
	s_ashr_i32 s19, s18, 31
	s_delay_alu instid0(SALU_CYCLE_1) | instskip(NEXT) | instid1(SALU_CYCLE_1)
	s_lshl_b64 s[20:21], s[18:19], 2
	s_add_nc_u64 s[20:21], s[14:15], s[20:21]
	s_load_b32 s19, s[20:21], 0x0
	s_wait_kmcnt 0x0
	s_sub_co_i32 s22, s19, s9
	s_delay_alu instid0(SALU_CYCLE_1) | instskip(SKIP_2) | instid1(SALU_CYCLE_1)
	s_ashr_i32 s23, s22, 31
	s_wait_xcnt 0x0
	s_lshl_b64 s[20:21], s[22:23], 2
	s_add_nc_u64 s[24:25], s[4:5], s[20:21]
	s_load_b32 s23, s[24:25], 0x0
	s_wait_xcnt 0x0
	s_mov_b32 s24, -1
	s_wait_kmcnt 0x0
	s_cmp_eq_u32 s23, -1
	s_cbranch_scc1 .LBB9_22
; %bb.24:                               ;   in Loop: Header=BB9_23 Depth=1
	v_lshl_add_u32 v0, s18, 6, v19
	s_add_nc_u64 s[24:25], s[12:13], s[20:21]
	ds_load_b32 v2, v20 offset:1408
	s_load_b32 s24, s[24:25], 0x0
	global_load_b32 v1, v0, s[16:17] scale_offset
	s_wait_dscnt 0x0
	v_cmp_ge_i32_e32 vcc_lo, s22, v2
	s_wait_kmcnt 0x0
	s_sub_co_i32 s24, s24, s9
	s_delay_alu instid0(SALU_CYCLE_1) | instskip(SKIP_1) | instid1(SALU_CYCLE_1)
	s_cmp_le_i32 s24, s23
	s_cselect_b32 s25, -1, 0
	s_and_b32 s25, s25, vcc_lo
	s_delay_alu instid0(SALU_CYCLE_1)
	s_and_not1_b32 vcc_lo, exec_lo, s25
	s_mov_b32 s25, 0
	s_wait_loadcnt 0x0
	ds_store_b32 v16, v1
	s_cbranch_vccnz .LBB9_36
; %bb.25:                               ;   in Loop: Header=BB9_23 Depth=1
	s_mov_b32 s29, 0
	s_mov_b32 s30, 0
.LBB9_26:                               ;   Parent Loop BB9_23 Depth=1
                                        ; =>  This Inner Loop Header: Depth=2
	s_ashr_i32 s25, s24, 31
	s_lshl_b32 s31, s30, 2
	s_lshl_b64 s[34:35], s[24:25], 2
	v_mov_b32_e32 v1, s31
	s_add_nc_u64 s[34:35], s[14:15], s[34:35]
                                        ; implicit-def: $sgpr33
	s_load_b32 s25, s[34:35], 0x0
	s_wait_xcnt 0x0
	s_mov_b32 s35, -1
	ds_load_b32 v1, v1 offset:1408
                                        ; implicit-def: $sgpr34
	s_wait_kmcnt 0x0
	s_sub_co_i32 s36, s25, s9
                                        ; implicit-def: $sgpr25
	s_wait_dscnt 0x0
	v_readfirstlane_b32 s31, v1
	v_cmp_ge_i32_e32 vcc_lo, s36, v1
	s_cbranch_vccz .LBB9_32
; %bb.27:                               ;   in Loop: Header=BB9_26 Depth=2
	s_cmp_le_i32 s36, s31
                                        ; implicit-def: $sgpr25
                                        ; implicit-def: $sgpr34
                                        ; implicit-def: $sgpr33
	s_cbranch_scc0 .LBB9_29
; %bb.28:                               ;   in Loop: Header=BB9_26 Depth=2
	s_add_co_i32 s25, s30, s27
	s_lshl_b32 s33, s29, 2
	s_lshl_b32 s25, s25, 6
	;; [unrolled: 1-line block ×3, first 2 shown]
	s_delay_alu instid0(SALU_CYCLE_1)
	v_dual_mov_b32 v1, s25 :: v_dual_mov_b32 v2, s34
	v_add_nc_u32_e64 v3, 0x400, s33
	s_add_co_i32 s33, s30, 1
	s_add_co_i32 s34, s24, 1
	s_add_co_i32 s25, s29, 1
	s_mov_b32 s35, 0
	ds_store_2addr_b32 v3, v2, v1 offset0:32 offset1:64
.LBB9_29:                               ;   in Loop: Header=BB9_26 Depth=2
	s_and_not1_b32 vcc_lo, exec_lo, s35
	s_cbranch_vccnz .LBB9_31
; %bb.30:                               ;   in Loop: Header=BB9_26 Depth=2
	s_add_co_i32 s33, s30, 1
	s_mov_b32 s25, s29
	s_mov_b32 s34, s24
.LBB9_31:                               ;   in Loop: Header=BB9_26 Depth=2
	s_mov_b32 s35, 0
.LBB9_32:                               ;   in Loop: Header=BB9_26 Depth=2
	s_delay_alu instid0(SALU_CYCLE_1)
	s_and_not1_b32 vcc_lo, exec_lo, s35
	s_cbranch_vccnz .LBB9_34
; %bb.33:                               ;   in Loop: Header=BB9_26 Depth=2
	s_add_co_i32 s34, s24, 1
	s_mov_b32 s33, s30
	s_mov_b32 s25, s29
.LBB9_34:                               ;   in Loop: Header=BB9_26 Depth=2
	s_cmp_le_i32 s34, s23
	s_cselect_b32 s24, -1, 0
	s_cmp_le_i32 s31, s22
	s_cselect_b32 s29, -1, 0
	s_delay_alu instid0(SALU_CYCLE_1) | instskip(NEXT) | instid1(SALU_CYCLE_1)
	s_and_b32 s24, s24, s29
	s_and_b32 vcc_lo, exec_lo, s24
	s_cbranch_vccz .LBB9_36
; %bb.35:                               ;   in Loop: Header=BB9_26 Depth=2
	s_mov_b32 s29, s25
	s_mov_b32 s24, s34
	s_mov_b32 s30, s33
	s_branch .LBB9_26
.LBB9_36:                               ;   in Loop: Header=BB9_23 Depth=1
	v_ashrrev_i32_e32 v1, 31, v0
	s_add_nc_u64 s[20:21], s[6:7], s[20:21]
	s_wait_dscnt 0x0
	s_wait_xcnt 0x0
	s_delay_alu instid0(VALU_DEP_1)
	v_lshl_add_u64 v[0:1], v[0:1], 2, s[16:17]
.LBB9_37:                               ;   Parent Loop BB9_23 Depth=1
                                        ; =>  This Inner Loop Header: Depth=2
	global_load_b32 v2, v20, s[20:21] scope:SCOPE_DEV
	s_wait_loadcnt 0x0
	v_cmp_eq_u32_e32 vcc_lo, 0, v2
	s_cbranch_vccnz .LBB9_37
; %bb.38:                               ;   in Loop: Header=BB9_23 Depth=1
	v_lshl_add_u32 v2, s23, 6, v19
	global_inv scope:SCOPE_DEV
	v_mov_b32_e32 v22, 0
	s_cmp_lt_i32 s25, 2
	global_load_b32 v2, v2, s[16:17] scale_offset
	s_wait_loadcnt 0x0
	ds_store_b32 v17, v2
	s_wait_dscnt 0x0
	s_cbranch_scc1 .LBB9_46
; %bb.39:                               ;   in Loop: Header=BB9_23 Depth=1
	v_mov_b32_e32 v21, 0
	s_add_co_i32 s20, s25, -1
	s_movk_i32 s21, 0x480
.LBB9_40:                               ;   Parent Loop BB9_23 Depth=1
                                        ; =>  This Inner Loop Header: Depth=2
	s_wait_dscnt 0x0
	v_mov_b32_e32 v2, s21
	s_and_b32 vcc_lo, exec_lo, s28
	s_mov_b32 s22, -1
                                        ; implicit-def: $vgpr22
	ds_load_2addr_b32 v[2:3], v2 offset1:32
	s_cbranch_vccz .LBB9_43
; %bb.41:                               ;   in Loop: Header=BB9_40 Depth=2
	s_wait_dscnt 0x0
	v_dual_add_nc_u32 v22, v2, v4 :: v_dual_add_nc_u32 v23, v3, v5
	s_clause 0x1
	global_load_b32 v26, v22, s[16:17] scale_offset
	global_load_b32 v27, v23, s[16:17] scale_offset
	v_dual_add_nc_u32 v24, 8, v22 :: v_dual_add_nc_u32 v25, 8, v23
	v_add_nc_u32_e32 v28, 16, v22
	s_clause 0x1
	global_load_b32 v29, v24, s[16:17] scale_offset
	global_load_b32 v30, v25, s[16:17] scale_offset
	s_wait_xcnt 0x0
	v_dual_add_nc_u32 v24, 16, v23 :: v_dual_add_nc_u32 v25, 24, v22
	v_add_nc_u32_e32 v31, 24, v23
	s_clause 0x3
	global_load_b32 v32, v28, s[16:17] scale_offset
	global_load_b32 v33, v24, s[16:17] scale_offset
	;; [unrolled: 1-line block ×4, first 2 shown]
	s_wait_xcnt 0x1
	v_dual_add_nc_u32 v24, 32, v22 :: v_dual_add_nc_u32 v25, 32, v23
	s_wait_xcnt 0x0
	v_dual_add_nc_u32 v28, 40, v22 :: v_dual_add_nc_u32 v31, 40, v23
	s_clause 0x3
	global_load_b32 v36, v24, s[16:17] scale_offset
	global_load_b32 v37, v25, s[16:17] scale_offset
	;; [unrolled: 1-line block ×4, first 2 shown]
	s_wait_xcnt 0x2
	v_dual_add_nc_u32 v24, 48, v22 :: v_dual_add_nc_u32 v25, 48, v23
	v_dual_add_nc_u32 v22, 56, v22 :: v_dual_add_nc_u32 v23, 56, v23
	s_clause 0x3
	global_load_b32 v28, v24, s[16:17] scale_offset
	global_load_b32 v31, v25, s[16:17] scale_offset
	;; [unrolled: 1-line block ×4, first 2 shown]
	s_wait_loadcnt 0xe
	s_wait_xcnt 0x1
	v_fma_f32 v22, v26, v27, v21
	s_wait_loadcnt 0xc
	s_delay_alu instid0(VALU_DEP_1) | instskip(SKIP_1) | instid1(VALU_DEP_1)
	v_fmac_f32_e32 v22, v29, v30
	s_wait_loadcnt 0xa
	v_fmac_f32_e32 v22, v32, v33
	s_wait_loadcnt 0x8
	s_delay_alu instid0(VALU_DEP_1) | instskip(SKIP_1) | instid1(VALU_DEP_1)
	v_fmac_f32_e32 v22, v34, v35
	s_wait_loadcnt 0x6
	v_fmac_f32_e32 v22, v36, v37
	;; [unrolled: 5-line block ×3, first 2 shown]
	s_wait_loadcnt 0x0
	s_delay_alu instid0(VALU_DEP_1)
	v_fmac_f32_e32 v22, v40, v41
	s_cbranch_execz .LBB9_44
.LBB9_42:                               ;   in Loop: Header=BB9_40 Depth=2
	s_add_co_i32 s20, s20, -1
	s_add_co_i32 s21, s21, 4
	s_cmp_eq_u32 s20, 0
	s_cbranch_scc0 .LBB9_45
	s_branch .LBB9_46
.LBB9_43:                               ;   in Loop: Header=BB9_40 Depth=2
	s_and_not1_b32 vcc_lo, exec_lo, s22
	s_cbranch_vccnz .LBB9_42
.LBB9_44:                               ;   in Loop: Header=BB9_40 Depth=2
	s_wait_dscnt 0x0
	v_dual_add_nc_u32 v22, v3, v12 :: v_dual_add_nc_u32 v2, v2, v14
	s_delay_alu instid0(VALU_DEP_1) | instskip(NEXT) | instid1(VALU_DEP_2)
	v_ashrrev_i32_e32 v23, 31, v22
	v_ashrrev_i32_e32 v3, 31, v2
	s_delay_alu instid0(VALU_DEP_2) | instskip(NEXT) | instid1(VALU_DEP_2)
	v_lshl_add_u64 v[38:39], v[22:23], 2, s[16:17]
	v_lshl_add_u64 v[2:3], v[2:3], 2, s[16:17]
	s_clause 0x3
	global_load_b128 v[22:25], v[38:39], off
	global_load_b128 v[26:29], v[2:3], off
	global_load_b128 v[30:33], v[2:3], off offset:16
	global_load_b128 v[34:37], v[38:39], off offset:16
	s_wait_loadcnt 0x2
	v_fmac_f32_e32 v21, v26, v22
	s_delay_alu instid0(VALU_DEP_1) | instskip(NEXT) | instid1(VALU_DEP_1)
	v_fmac_f32_e32 v21, v27, v23
	v_fmac_f32_e32 v21, v28, v24
	s_delay_alu instid0(VALU_DEP_1) | instskip(SKIP_1) | instid1(VALU_DEP_1)
	v_fmac_f32_e32 v21, v29, v25
	s_wait_loadcnt 0x0
	v_fmac_f32_e32 v21, v30, v34
	s_delay_alu instid0(VALU_DEP_1) | instskip(NEXT) | instid1(VALU_DEP_1)
	v_fmac_f32_e32 v21, v31, v35
	v_fmac_f32_e32 v21, v32, v36
	s_delay_alu instid0(VALU_DEP_1) | instskip(NEXT) | instid1(VALU_DEP_1)
	v_fmac_f32_e32 v21, v33, v37
	v_mov_b32_e32 v22, v21
	s_add_co_i32 s20, s20, -1
	s_add_co_i32 s21, s21, 4
	s_cmp_eq_u32 s20, 0
	s_cbranch_scc1 .LBB9_46
.LBB9_45:                               ;   in Loop: Header=BB9_40 Depth=2
	v_mov_b32_e32 v21, v22
	s_branch .LBB9_40
.LBB9_46:                               ;   in Loop: Header=BB9_23 Depth=1
	ds_store_b32 v18, v22
	s_wait_dscnt 0x0
	ds_load_b32 v3, v20
	ds_load_b32 v2, v10
	s_wait_dscnt 0x1
	v_readfirstlane_b32 s20, v3
	s_cmp_neq_f32 s20, 0
	s_cselect_b32 vcc_lo, -1, 0
	v_cndmask_b32_e32 v3, 1.0, v3, vcc_lo
	s_nor_b32 s21, vcc_lo, s0
	s_delay_alu instid0(SALU_CYCLE_1)
	s_and_saveexec_b32 s20, s21
	s_cbranch_execz .LBB9_50
; %bb.47:                               ;   in Loop: Header=BB9_23 Depth=1
	v_mbcnt_lo_u32_b32 v3, exec_lo, 0
	s_mov_b32 s21, exec_lo
	s_delay_alu instid0(VALU_DEP_1)
	v_cmpx_eq_u32_e32 0, v3
	s_cbranch_execz .LBB9_49
; %bb.48:                               ;   in Loop: Header=BB9_23 Depth=1
	v_mov_b32_e32 v3, s19
	global_atomic_min_i32 v20, v3, s[10:11] scope:SCOPE_DEV
.LBB9_49:                               ;   in Loop: Header=BB9_23 Depth=1
	s_wait_xcnt 0x0
	s_or_b32 exec_lo, exec_lo, s21
	v_mov_b32_e32 v3, 1.0
.LBB9_50:                               ;   in Loop: Header=BB9_23 Depth=1
	s_or_b32 exec_lo, exec_lo, s20
	ds_load_b32 v21, v15
	s_wait_dscnt 0x0
	v_sub_f32_e32 v2, v2, v21
	s_delay_alu instid0(VALU_DEP_1) | instskip(NEXT) | instid1(VALU_DEP_1)
	v_div_scale_f32 v21, null, v3, v3, v2
	v_rcp_f32_e32 v22, v21
	v_nop
	s_delay_alu instid0(TRANS32_DEP_1) | instskip(NEXT) | instid1(VALU_DEP_1)
	v_fma_f32 v23, -v21, v22, 1.0
	v_fmac_f32_e32 v22, v23, v22
	v_div_scale_f32 v24, vcc_lo, v2, v3, v2
	s_delay_alu instid0(VALU_DEP_1) | instskip(NEXT) | instid1(VALU_DEP_1)
	v_mul_f32_e32 v23, v24, v22
	v_fma_f32 v25, -v21, v23, v24
	s_delay_alu instid0(VALU_DEP_1) | instskip(NEXT) | instid1(VALU_DEP_1)
	v_fmac_f32_e32 v23, v25, v22
	v_fma_f32 v21, -v21, v23, v24
	s_delay_alu instid0(VALU_DEP_1) | instskip(NEXT) | instid1(VALU_DEP_1)
	v_div_fmas_f32 v21, v21, v22, v23
	v_div_fixup_f32 v2, v21, v3, v2
	ds_store_b32 v10, v2
	s_wait_storecnt_dscnt 0x0
	ds_load_b32 v3, v9
	ds_load_b32 v21, v6
	s_wait_dscnt 0x0
	v_fmac_f32_e32 v21, v2, v3
	ds_store_b32 v6, v21
	s_wait_dscnt 0x0
	ds_load_b32 v3, v20 offset:40
	ds_load_b32 v2, v10 offset:4
	s_wait_dscnt 0x1
	v_readfirstlane_b32 s20, v3
	s_cmp_neq_f32 s20, 0
	s_cselect_b32 vcc_lo, -1, 0
	v_cndmask_b32_e32 v3, 1.0, v3, vcc_lo
	s_nor_b32 s21, vcc_lo, s0
	s_delay_alu instid0(SALU_CYCLE_1)
	s_and_saveexec_b32 s20, s21
	s_cbranch_execz .LBB9_54
; %bb.51:                               ;   in Loop: Header=BB9_23 Depth=1
	v_mbcnt_lo_u32_b32 v3, exec_lo, 0
	s_mov_b32 s21, exec_lo
	s_delay_alu instid0(VALU_DEP_1)
	v_cmpx_eq_u32_e32 0, v3
	s_cbranch_execz .LBB9_53
; %bb.52:                               ;   in Loop: Header=BB9_23 Depth=1
	v_mov_b32_e32 v3, s19
	global_atomic_min_i32 v20, v3, s[10:11] scope:SCOPE_DEV
.LBB9_53:                               ;   in Loop: Header=BB9_23 Depth=1
	s_wait_xcnt 0x0
	s_or_b32 exec_lo, exec_lo, s21
	v_mov_b32_e32 v3, 1.0
.LBB9_54:                               ;   in Loop: Header=BB9_23 Depth=1
	s_or_b32 exec_lo, exec_lo, s20
	ds_load_b32 v21, v20 offset:36
	ds_load_b32 v22, v10
	ds_load_b32 v23, v15 offset:4
	s_wait_dscnt 0x0
	v_fmac_f32_e32 v23, v21, v22
	s_delay_alu instid0(VALU_DEP_1) | instskip(NEXT) | instid1(VALU_DEP_1)
	v_sub_f32_e32 v2, v2, v23
	v_div_scale_f32 v21, null, v3, v3, v2
	s_delay_alu instid0(VALU_DEP_1) | instskip(SKIP_1) | instid1(TRANS32_DEP_1)
	v_rcp_f32_e32 v22, v21
	v_nop
	v_fma_f32 v23, -v21, v22, 1.0
	s_delay_alu instid0(VALU_DEP_1) | instskip(SKIP_1) | instid1(VALU_DEP_1)
	v_fmac_f32_e32 v22, v23, v22
	v_div_scale_f32 v24, vcc_lo, v2, v3, v2
	v_mul_f32_e32 v23, v24, v22
	s_delay_alu instid0(VALU_DEP_1) | instskip(NEXT) | instid1(VALU_DEP_1)
	v_fma_f32 v25, -v21, v23, v24
	v_fmac_f32_e32 v23, v25, v22
	s_delay_alu instid0(VALU_DEP_1) | instskip(NEXT) | instid1(VALU_DEP_1)
	v_fma_f32 v21, -v21, v23, v24
	v_div_fmas_f32 v21, v21, v22, v23
	s_delay_alu instid0(VALU_DEP_1)
	v_div_fixup_f32 v2, v21, v3, v2
	ds_store_b32 v10, v2 offset:4
	s_wait_storecnt_dscnt 0x0
	ds_load_b32 v3, v9 offset:4
	ds_load_b32 v21, v6
	s_wait_dscnt 0x0
	v_fmac_f32_e32 v21, v2, v3
	ds_store_b32 v6, v21
	s_wait_dscnt 0x0
	ds_load_b32 v3, v20 offset:80
	ds_load_b32 v2, v10 offset:8
	s_wait_dscnt 0x1
	v_readfirstlane_b32 s20, v3
	s_cmp_neq_f32 s20, 0
	s_cselect_b32 vcc_lo, -1, 0
	v_cndmask_b32_e32 v3, 1.0, v3, vcc_lo
	s_nor_b32 s21, vcc_lo, s0
	s_delay_alu instid0(SALU_CYCLE_1)
	s_and_saveexec_b32 s20, s21
	s_cbranch_execz .LBB9_58
; %bb.55:                               ;   in Loop: Header=BB9_23 Depth=1
	v_mbcnt_lo_u32_b32 v3, exec_lo, 0
	s_mov_b32 s21, exec_lo
	s_delay_alu instid0(VALU_DEP_1)
	v_cmpx_eq_u32_e32 0, v3
	s_cbranch_execz .LBB9_57
; %bb.56:                               ;   in Loop: Header=BB9_23 Depth=1
	v_mov_b32_e32 v3, s19
	global_atomic_min_i32 v20, v3, s[10:11] scope:SCOPE_DEV
.LBB9_57:                               ;   in Loop: Header=BB9_23 Depth=1
	s_wait_xcnt 0x0
	s_or_b32 exec_lo, exec_lo, s21
	v_mov_b32_e32 v3, 1.0
.LBB9_58:                               ;   in Loop: Header=BB9_23 Depth=1
	s_or_b32 exec_lo, exec_lo, s20
	ds_load_b64 v[22:23], v20 offset:72
	ds_load_2addr_b32 v[24:25], v10 offset1:1
	ds_load_b32 v21, v15 offset:8
	s_wait_dscnt 0x0
	v_fmac_f32_e32 v21, v22, v24
	s_delay_alu instid0(VALU_DEP_1) | instskip(NEXT) | instid1(VALU_DEP_1)
	v_fmac_f32_e32 v21, v23, v25
	v_sub_f32_e32 v2, v2, v21
	s_delay_alu instid0(VALU_DEP_1) | instskip(SKIP_1) | instid1(VALU_DEP_2)
	v_div_scale_f32 v21, null, v3, v3, v2
	v_div_scale_f32 v24, vcc_lo, v2, v3, v2
	v_rcp_f32_e32 v22, v21
	v_nop
	s_delay_alu instid0(TRANS32_DEP_1) | instskip(NEXT) | instid1(VALU_DEP_1)
	v_fma_f32 v23, -v21, v22, 1.0
	v_fmac_f32_e32 v22, v23, v22
	s_delay_alu instid0(VALU_DEP_1) | instskip(NEXT) | instid1(VALU_DEP_1)
	v_mul_f32_e32 v23, v24, v22
	v_fma_f32 v25, -v21, v23, v24
	s_delay_alu instid0(VALU_DEP_1) | instskip(NEXT) | instid1(VALU_DEP_1)
	v_fmac_f32_e32 v23, v25, v22
	v_fma_f32 v21, -v21, v23, v24
	s_delay_alu instid0(VALU_DEP_1) | instskip(NEXT) | instid1(VALU_DEP_1)
	v_div_fmas_f32 v21, v21, v22, v23
	v_div_fixup_f32 v2, v21, v3, v2
	ds_store_b32 v10, v2 offset:8
	s_wait_storecnt_dscnt 0x0
	ds_load_b32 v3, v9 offset:8
	ds_load_b32 v21, v6
	s_wait_dscnt 0x0
	v_fmac_f32_e32 v21, v2, v3
	ds_store_b32 v6, v21
	s_wait_dscnt 0x0
	ds_load_b32 v3, v20 offset:120
	ds_load_b32 v2, v10 offset:12
	s_wait_dscnt 0x1
	v_readfirstlane_b32 s20, v3
	s_cmp_neq_f32 s20, 0
	s_cselect_b32 vcc_lo, -1, 0
	v_cndmask_b32_e32 v3, 1.0, v3, vcc_lo
	s_nor_b32 s21, vcc_lo, s0
	s_delay_alu instid0(SALU_CYCLE_1)
	s_and_saveexec_b32 s20, s21
	s_cbranch_execz .LBB9_62
; %bb.59:                               ;   in Loop: Header=BB9_23 Depth=1
	v_mbcnt_lo_u32_b32 v3, exec_lo, 0
	s_mov_b32 s21, exec_lo
	s_delay_alu instid0(VALU_DEP_1)
	v_cmpx_eq_u32_e32 0, v3
	s_cbranch_execz .LBB9_61
; %bb.60:                               ;   in Loop: Header=BB9_23 Depth=1
	v_mov_b32_e32 v3, s19
	global_atomic_min_i32 v20, v3, s[10:11] scope:SCOPE_DEV
.LBB9_61:                               ;   in Loop: Header=BB9_23 Depth=1
	s_wait_xcnt 0x0
	s_or_b32 exec_lo, exec_lo, s21
	v_mov_b32_e32 v3, 1.0
.LBB9_62:                               ;   in Loop: Header=BB9_23 Depth=1
	s_or_b32 exec_lo, exec_lo, s20
	ds_load_2addr_b32 v[22:23], v10 offset1:1
	ds_load_2addr_b32 v[24:25], v20 offset0:27 offset1:28
	ds_load_b32 v21, v15 offset:12
	ds_load_b32 v26, v20 offset:116
	ds_load_b32 v27, v10 offset:8
	s_wait_dscnt 0x2
	v_fmac_f32_e32 v21, v24, v22
	s_delay_alu instid0(VALU_DEP_1) | instskip(SKIP_1) | instid1(VALU_DEP_1)
	v_fmac_f32_e32 v21, v25, v23
	s_wait_dscnt 0x0
	v_fmac_f32_e32 v21, v26, v27
	s_delay_alu instid0(VALU_DEP_1) | instskip(NEXT) | instid1(VALU_DEP_1)
	v_sub_f32_e32 v2, v2, v21
	v_div_scale_f32 v21, null, v3, v3, v2
	v_div_scale_f32 v24, vcc_lo, v2, v3, v2
	s_delay_alu instid0(VALU_DEP_2) | instskip(SKIP_1) | instid1(TRANS32_DEP_1)
	v_rcp_f32_e32 v22, v21
	v_nop
	v_fma_f32 v23, -v21, v22, 1.0
	s_delay_alu instid0(VALU_DEP_1) | instskip(NEXT) | instid1(VALU_DEP_1)
	v_fmac_f32_e32 v22, v23, v22
	v_mul_f32_e32 v23, v24, v22
	s_delay_alu instid0(VALU_DEP_1) | instskip(NEXT) | instid1(VALU_DEP_1)
	v_fma_f32 v25, -v21, v23, v24
	v_fmac_f32_e32 v23, v25, v22
	s_delay_alu instid0(VALU_DEP_1) | instskip(NEXT) | instid1(VALU_DEP_1)
	v_fma_f32 v21, -v21, v23, v24
	v_div_fmas_f32 v21, v21, v22, v23
	s_delay_alu instid0(VALU_DEP_1)
	v_div_fixup_f32 v2, v21, v3, v2
	ds_store_b32 v10, v2 offset:12
	s_wait_storecnt_dscnt 0x0
	ds_load_b32 v3, v9 offset:12
	ds_load_b32 v21, v6
	s_wait_dscnt 0x0
	v_fmac_f32_e32 v21, v2, v3
	ds_store_b32 v6, v21
	s_wait_dscnt 0x0
	ds_load_b32 v3, v20 offset:160
	ds_load_b32 v2, v10 offset:16
	s_wait_dscnt 0x1
	v_readfirstlane_b32 s20, v3
	s_cmp_neq_f32 s20, 0
	s_cselect_b32 vcc_lo, -1, 0
	v_cndmask_b32_e32 v3, 1.0, v3, vcc_lo
	s_nor_b32 s21, vcc_lo, s0
	s_delay_alu instid0(SALU_CYCLE_1)
	s_and_saveexec_b32 s20, s21
	s_cbranch_execz .LBB9_66
; %bb.63:                               ;   in Loop: Header=BB9_23 Depth=1
	v_mbcnt_lo_u32_b32 v3, exec_lo, 0
	s_mov_b32 s21, exec_lo
	s_delay_alu instid0(VALU_DEP_1)
	v_cmpx_eq_u32_e32 0, v3
	s_cbranch_execz .LBB9_65
; %bb.64:                               ;   in Loop: Header=BB9_23 Depth=1
	v_mov_b32_e32 v3, s19
	global_atomic_min_i32 v20, v3, s[10:11] scope:SCOPE_DEV
.LBB9_65:                               ;   in Loop: Header=BB9_23 Depth=1
	s_wait_xcnt 0x0
	s_or_b32 exec_lo, exec_lo, s21
	v_mov_b32_e32 v3, 1.0
.LBB9_66:                               ;   in Loop: Header=BB9_23 Depth=1
	s_or_b32 exec_lo, exec_lo, s20
	ds_load_b128 v[22:25], v20 offset:144
	ds_load_b32 v21, v15 offset:16
	ds_load_2addr_b32 v[26:27], v10 offset1:1
	ds_load_2addr_b32 v[28:29], v10 offset0:2 offset1:3
	s_wait_dscnt 0x1
	v_fmac_f32_e32 v21, v22, v26
	s_delay_alu instid0(VALU_DEP_1) | instskip(SKIP_1) | instid1(VALU_DEP_1)
	v_fmac_f32_e32 v21, v23, v27
	s_wait_dscnt 0x0
	v_fmac_f32_e32 v21, v24, v28
	s_delay_alu instid0(VALU_DEP_1) | instskip(NEXT) | instid1(VALU_DEP_1)
	v_fmac_f32_e32 v21, v25, v29
	v_sub_f32_e32 v2, v2, v21
	s_delay_alu instid0(VALU_DEP_1) | instskip(SKIP_1) | instid1(VALU_DEP_2)
	v_div_scale_f32 v21, null, v3, v3, v2
	v_div_scale_f32 v24, vcc_lo, v2, v3, v2
	v_rcp_f32_e32 v22, v21
	v_nop
	s_delay_alu instid0(TRANS32_DEP_1) | instskip(NEXT) | instid1(VALU_DEP_1)
	v_fma_f32 v23, -v21, v22, 1.0
	v_fmac_f32_e32 v22, v23, v22
	s_delay_alu instid0(VALU_DEP_1) | instskip(NEXT) | instid1(VALU_DEP_1)
	v_mul_f32_e32 v23, v24, v22
	v_fma_f32 v25, -v21, v23, v24
	s_delay_alu instid0(VALU_DEP_1) | instskip(NEXT) | instid1(VALU_DEP_1)
	v_fmac_f32_e32 v23, v25, v22
	v_fma_f32 v21, -v21, v23, v24
	s_delay_alu instid0(VALU_DEP_1) | instskip(NEXT) | instid1(VALU_DEP_1)
	v_div_fmas_f32 v21, v21, v22, v23
	v_div_fixup_f32 v2, v21, v3, v2
	ds_store_b32 v10, v2 offset:16
	s_wait_storecnt_dscnt 0x0
	ds_load_b32 v3, v9 offset:16
	ds_load_b32 v21, v6
	s_wait_dscnt 0x0
	v_fmac_f32_e32 v21, v2, v3
	ds_store_b32 v6, v21
	s_wait_dscnt 0x0
	ds_load_b32 v3, v20 offset:200
	ds_load_b32 v2, v10 offset:20
	s_wait_dscnt 0x1
	v_readfirstlane_b32 s20, v3
	s_cmp_neq_f32 s20, 0
	s_cselect_b32 vcc_lo, -1, 0
	v_cndmask_b32_e32 v3, 1.0, v3, vcc_lo
	s_nor_b32 s21, vcc_lo, s0
	s_delay_alu instid0(SALU_CYCLE_1)
	s_and_saveexec_b32 s20, s21
	s_cbranch_execz .LBB9_70
; %bb.67:                               ;   in Loop: Header=BB9_23 Depth=1
	v_mbcnt_lo_u32_b32 v3, exec_lo, 0
	s_mov_b32 s21, exec_lo
	s_delay_alu instid0(VALU_DEP_1)
	v_cmpx_eq_u32_e32 0, v3
	s_cbranch_execz .LBB9_69
; %bb.68:                               ;   in Loop: Header=BB9_23 Depth=1
	v_mov_b32_e32 v3, s19
	global_atomic_min_i32 v20, v3, s[10:11] scope:SCOPE_DEV
.LBB9_69:                               ;   in Loop: Header=BB9_23 Depth=1
	s_wait_xcnt 0x0
	s_or_b32 exec_lo, exec_lo, s21
	v_mov_b32_e32 v3, 1.0
.LBB9_70:                               ;   in Loop: Header=BB9_23 Depth=1
	s_or_b32 exec_lo, exec_lo, s20
	ds_load_2addr_b32 v[22:23], v20 offset0:45 offset1:46
	ds_load_b32 v21, v15 offset:20
	ds_load_2addr_b32 v[24:25], v10 offset1:1
	ds_load_2addr_b32 v[26:27], v10 offset0:2 offset1:3
	ds_load_2addr_b32 v[28:29], v20 offset0:47 offset1:48
	ds_load_b32 v30, v20 offset:196
	ds_load_b32 v31, v10 offset:16
	s_wait_dscnt 0x4
	v_fmac_f32_e32 v21, v22, v24
	s_delay_alu instid0(VALU_DEP_1) | instskip(SKIP_1) | instid1(VALU_DEP_1)
	v_fmac_f32_e32 v21, v23, v25
	s_wait_dscnt 0x2
	v_fmac_f32_e32 v21, v28, v26
	s_delay_alu instid0(VALU_DEP_1) | instskip(SKIP_1) | instid1(VALU_DEP_1)
	v_fmac_f32_e32 v21, v29, v27
	s_wait_dscnt 0x0
	v_fmac_f32_e32 v21, v30, v31
	s_delay_alu instid0(VALU_DEP_1) | instskip(NEXT) | instid1(VALU_DEP_1)
	v_sub_f32_e32 v2, v2, v21
	v_div_scale_f32 v21, null, v3, v3, v2
	v_div_scale_f32 v24, vcc_lo, v2, v3, v2
	s_delay_alu instid0(VALU_DEP_2) | instskip(SKIP_1) | instid1(TRANS32_DEP_1)
	v_rcp_f32_e32 v22, v21
	v_nop
	v_fma_f32 v23, -v21, v22, 1.0
	s_delay_alu instid0(VALU_DEP_1) | instskip(NEXT) | instid1(VALU_DEP_1)
	v_fmac_f32_e32 v22, v23, v22
	v_mul_f32_e32 v23, v24, v22
	s_delay_alu instid0(VALU_DEP_1) | instskip(NEXT) | instid1(VALU_DEP_1)
	v_fma_f32 v25, -v21, v23, v24
	v_fmac_f32_e32 v23, v25, v22
	s_delay_alu instid0(VALU_DEP_1) | instskip(NEXT) | instid1(VALU_DEP_1)
	v_fma_f32 v21, -v21, v23, v24
	v_div_fmas_f32 v21, v21, v22, v23
	s_delay_alu instid0(VALU_DEP_1)
	v_div_fixup_f32 v2, v21, v3, v2
	ds_store_b32 v10, v2 offset:20
	s_wait_storecnt_dscnt 0x0
	ds_load_b32 v3, v9 offset:20
	ds_load_b32 v21, v6
	s_wait_dscnt 0x0
	v_fmac_f32_e32 v21, v2, v3
	ds_store_b32 v6, v21
	s_wait_dscnt 0x0
	ds_load_b32 v3, v20 offset:240
	ds_load_b32 v2, v10 offset:24
	s_wait_dscnt 0x1
	v_readfirstlane_b32 s20, v3
	s_cmp_neq_f32 s20, 0
	s_cselect_b32 vcc_lo, -1, 0
	v_cndmask_b32_e32 v3, 1.0, v3, vcc_lo
	s_nor_b32 s21, vcc_lo, s0
	s_delay_alu instid0(SALU_CYCLE_1)
	s_and_saveexec_b32 s20, s21
	s_cbranch_execz .LBB9_74
; %bb.71:                               ;   in Loop: Header=BB9_23 Depth=1
	v_mbcnt_lo_u32_b32 v3, exec_lo, 0
	s_mov_b32 s21, exec_lo
	s_delay_alu instid0(VALU_DEP_1)
	v_cmpx_eq_u32_e32 0, v3
	s_cbranch_execz .LBB9_73
; %bb.72:                               ;   in Loop: Header=BB9_23 Depth=1
	v_mov_b32_e32 v3, s19
	global_atomic_min_i32 v20, v3, s[10:11] scope:SCOPE_DEV
.LBB9_73:                               ;   in Loop: Header=BB9_23 Depth=1
	s_wait_xcnt 0x0
	s_or_b32 exec_lo, exec_lo, s21
	v_mov_b32_e32 v3, 1.0
.LBB9_74:                               ;   in Loop: Header=BB9_23 Depth=1
	s_or_b32 exec_lo, exec_lo, s20
	ds_load_2addr_b64 v[22:25], v20 offset0:27 offset1:28
	ds_load_b32 v21, v15 offset:24
	ds_load_2addr_b32 v[26:27], v10 offset1:1
	ds_load_2addr_b32 v[28:29], v10 offset0:2 offset1:3
	ds_load_b64 v[30:31], v20 offset:232
	ds_load_2addr_b32 v[32:33], v10 offset0:4 offset1:5
	s_wait_dscnt 0x3
	v_fmac_f32_e32 v21, v22, v26
	s_delay_alu instid0(VALU_DEP_1) | instskip(SKIP_1) | instid1(VALU_DEP_1)
	v_fmac_f32_e32 v21, v23, v27
	s_wait_dscnt 0x2
	v_fmac_f32_e32 v21, v24, v28
	s_delay_alu instid0(VALU_DEP_1) | instskip(SKIP_1) | instid1(VALU_DEP_1)
	v_fmac_f32_e32 v21, v25, v29
	s_wait_dscnt 0x0
	v_fmac_f32_e32 v21, v30, v32
	s_delay_alu instid0(VALU_DEP_1) | instskip(NEXT) | instid1(VALU_DEP_1)
	v_fmac_f32_e32 v21, v31, v33
	v_sub_f32_e32 v2, v2, v21
	s_delay_alu instid0(VALU_DEP_1) | instskip(SKIP_1) | instid1(VALU_DEP_2)
	v_div_scale_f32 v21, null, v3, v3, v2
	v_div_scale_f32 v24, vcc_lo, v2, v3, v2
	v_rcp_f32_e32 v22, v21
	v_nop
	s_delay_alu instid0(TRANS32_DEP_1) | instskip(NEXT) | instid1(VALU_DEP_1)
	v_fma_f32 v23, -v21, v22, 1.0
	v_fmac_f32_e32 v22, v23, v22
	s_delay_alu instid0(VALU_DEP_1) | instskip(NEXT) | instid1(VALU_DEP_1)
	v_mul_f32_e32 v23, v24, v22
	v_fma_f32 v25, -v21, v23, v24
	s_delay_alu instid0(VALU_DEP_1) | instskip(NEXT) | instid1(VALU_DEP_1)
	v_fmac_f32_e32 v23, v25, v22
	v_fma_f32 v21, -v21, v23, v24
	s_delay_alu instid0(VALU_DEP_1) | instskip(NEXT) | instid1(VALU_DEP_1)
	v_div_fmas_f32 v21, v21, v22, v23
	v_div_fixup_f32 v2, v21, v3, v2
	ds_store_b32 v10, v2 offset:24
	s_wait_storecnt_dscnt 0x0
	ds_load_b32 v3, v9 offset:24
	ds_load_b32 v21, v6
	s_wait_dscnt 0x0
	v_fmac_f32_e32 v21, v2, v3
	ds_store_b32 v6, v21
	s_wait_dscnt 0x0
	ds_load_b32 v3, v20 offset:280
	ds_load_b32 v2, v10 offset:28
	s_wait_dscnt 0x1
	v_readfirstlane_b32 s20, v3
	s_cmp_neq_f32 s20, 0
	s_cselect_b32 vcc_lo, -1, 0
	v_cndmask_b32_e32 v3, 1.0, v3, vcc_lo
	s_nor_b32 s21, vcc_lo, s0
	s_delay_alu instid0(SALU_CYCLE_1)
	s_and_saveexec_b32 s20, s21
	s_cbranch_execz .LBB9_21
; %bb.75:                               ;   in Loop: Header=BB9_23 Depth=1
	v_mbcnt_lo_u32_b32 v3, exec_lo, 0
	s_mov_b32 s21, exec_lo
	s_delay_alu instid0(VALU_DEP_1)
	v_cmpx_eq_u32_e32 0, v3
	s_cbranch_execz .LBB9_20
; %bb.76:                               ;   in Loop: Header=BB9_23 Depth=1
	v_mov_b32_e32 v3, s19
	global_atomic_min_i32 v20, v3, s[10:11] scope:SCOPE_DEV
	s_branch .LBB9_20
.LBB9_77:
	s_wait_kmcnt 0x0
	s_cmp_eq_u32 s1, 0
	v_lshl_add_u32 v2, v4, 2, v10
	s_cselect_b32 vcc_lo, -1, 0
	s_mov_b32 s1, exec_lo
	v_cndmask_b32_e32 v0, v13, v11, vcc_lo
	v_cmp_ne_u32_e32 vcc_lo, 0, v5
	s_delay_alu instid0(VALU_DEP_2)
	v_lshl_add_u32 v0, s26, 6, v0
	global_load_b32 v1, v0, s[16:17] scale_offset
	s_wait_loadcnt 0x0
	ds_store_b32 v2, v1
	s_wait_dscnt 0x0
	v_cmpx_eq_u32_e32 0, v5
	s_cbranch_execz .LBB9_79
; %bb.78:
	v_mov_b32_e32 v1, 0
	ds_load_2addr_b32 v[12:13], v1 offset0:144 offset1:216
	s_wait_dscnt 0x0
	v_readfirstlane_b32 s0, v12
	v_readfirstlane_b32 s4, v13
	s_sub_f32 s0, s0, s4
	s_delay_alu instid0(SALU_CYCLE_3) | instskip(SKIP_2) | instid1(SALU_CYCLE_1)
	s_xor_b32 s4, s0, 0x80000000
	s_cmp_lt_f32 s0, 0
	s_cselect_b32 s0, s4, s0
	s_mul_f32 s4, s0, 0x4f800000
	s_cmp_lt_f32 s0, 0xf800000
	s_delay_alu instid0(SALU_CYCLE_2) | instskip(NEXT) | instid1(SALU_CYCLE_1)
	s_cselect_b32 s4, s4, s0
	v_s_sqrt_f32 s5, s4
	s_mov_b32 s13, s4
	s_delay_alu instid0(TRANS32_DEP_1) | instskip(NEXT) | instid1(SALU_CYCLE_1)
	s_add_co_i32 s12, s5, -1
	s_xor_b32 s14, s12, 0x80000000
	s_delay_alu instid0(SALU_CYCLE_1) | instskip(SKIP_1) | instid1(SALU_CYCLE_2)
	s_fmac_f32 s13, s14, s5
	s_mov_b32 s14, s4
	s_cmp_le_f32 s13, 0
	s_cselect_b32 s12, s12, s5
	s_add_co_i32 s13, s5, 1
	s_delay_alu instid0(SALU_CYCLE_1) | instskip(NEXT) | instid1(SALU_CYCLE_1)
	s_xor_b32 s15, s13, 0x80000000
	s_fmac_f32 s14, s15, s5
	s_delay_alu instid0(SALU_CYCLE_3) | instskip(SKIP_4) | instid1(SALU_CYCLE_2)
	s_cmp_gt_f32 s14, 0
	s_cselect_b32 s5, s13, s12
	s_cmp_lt_f32 s0, 0xf800000
	s_mul_f32 s0, s5, 0x37800000
	v_cmp_class_f32_e64 s12, s4, 0x260
	s_cselect_b32 s0, s0, s5
	s_and_b32 s5, s12, exec_lo
	s_cselect_b32 s0, s4, s0
	s_delay_alu instid0(SALU_CYCLE_1)
	v_mov_b32_e32 v3, s0
	ds_store_b32 v1, v3 offset:576
.LBB9_79:
	s_or_b32 exec_lo, exec_lo, s1
	v_mov_b32_e32 v1, 0
	s_wait_dscnt 0x0
	s_add_co_i32 s4, s8, s9
	ds_load_b32 v1, v1 offset:576
	s_wait_dscnt 0x0
	v_readfirstlane_b32 s0, v1
	s_cmp_neq_f32 s0, 0
	v_cmp_ne_u32_e64 s0, 0, v7
	s_cselect_b32 s1, -1, 0
	s_delay_alu instid0(SALU_CYCLE_1) | instskip(SKIP_1) | instid1(SALU_CYCLE_1)
	v_cndmask_b32_e64 v1, 1.0, v1, s1
	s_nor_b32 s1, s1, s0
	s_and_saveexec_b32 s5, s1
	s_cbranch_execz .LBB9_83
; %bb.80:
	v_mbcnt_lo_u32_b32 v1, exec_lo, 0
	s_mov_b32 s12, exec_lo
	s_delay_alu instid0(VALU_DEP_1)
	v_cmpx_eq_u32_e32 0, v1
	s_cbranch_execz .LBB9_82
; %bb.81:
	v_dual_mov_b32 v1, 0 :: v_dual_mov_b32 v3, s4
	global_atomic_min_i32 v1, v3, s[10:11] scope:SCOPE_DEV
.LBB9_82:
	s_wait_xcnt 0x0
	s_or_b32 exec_lo, exec_lo, s12
	v_mov_b32_e32 v1, 1.0
.LBB9_83:
	s_or_b32 exec_lo, exec_lo, s5
	s_and_saveexec_b32 s1, vcc_lo
	s_cbranch_execz .LBB9_85
; %bb.84:
	ds_load_b32 v3, v10
	ds_load_b32 v11, v8
	s_wait_dscnt 0x0
	v_sub_f32_e32 v3, v3, v11
	s_delay_alu instid0(VALU_DEP_1) | instskip(NEXT) | instid1(VALU_DEP_1)
	v_div_scale_f32 v11, null, v1, v1, v3
	v_rcp_f32_e32 v12, v11
	v_nop
	s_delay_alu instid0(TRANS32_DEP_1) | instskip(NEXT) | instid1(VALU_DEP_1)
	v_fma_f32 v13, -v11, v12, 1.0
	v_fmac_f32_e32 v12, v13, v12
	v_div_scale_f32 v14, vcc_lo, v3, v1, v3
	s_delay_alu instid0(VALU_DEP_1) | instskip(NEXT) | instid1(VALU_DEP_1)
	v_mul_f32_e32 v13, v14, v12
	v_fma_f32 v15, -v11, v13, v14
	s_delay_alu instid0(VALU_DEP_1) | instskip(NEXT) | instid1(VALU_DEP_1)
	v_fmac_f32_e32 v13, v15, v12
	v_fma_f32 v11, -v11, v13, v14
	s_delay_alu instid0(VALU_DEP_1) | instskip(NEXT) | instid1(VALU_DEP_1)
	v_div_fmas_f32 v11, v11, v12, v13
	v_div_fixup_f32 v1, v11, v1, v3
	ds_store_b32 v10, v1
	s_wait_storecnt_dscnt 0x0
	ds_load_b32 v3, v9
	ds_load_b32 v11, v6
	s_wait_dscnt 0x0
	v_fmac_f32_e32 v11, v1, v3
	ds_store_b32 v6, v11
.LBB9_85:
	s_or_b32 exec_lo, exec_lo, s1
	s_delay_alu instid0(SALU_CYCLE_1)
	s_mov_b32 s1, exec_lo
	s_wait_storecnt_dscnt 0x0
	v_cmpx_eq_u32_e32 1, v5
	s_cbranch_execz .LBB9_87
; %bb.86:
	v_mov_b32_e32 v1, 0
	ds_load_2addr_b32 v[12:13], v1 offset0:154 offset1:226
	s_wait_dscnt 0x0
	v_readfirstlane_b32 s5, v12
	v_readfirstlane_b32 s12, v13
	s_sub_f32 s5, s5, s12
	s_delay_alu instid0(SALU_CYCLE_3) | instskip(SKIP_2) | instid1(SALU_CYCLE_1)
	s_xor_b32 s12, s5, 0x80000000
	s_cmp_lt_f32 s5, 0
	s_cselect_b32 s5, s12, s5
	s_mul_f32 s12, s5, 0x4f800000
	s_cmp_lt_f32 s5, 0xf800000
	s_delay_alu instid0(SALU_CYCLE_2) | instskip(NEXT) | instid1(SALU_CYCLE_1)
	s_cselect_b32 s12, s12, s5
	v_s_sqrt_f32 s13, s12
	s_mov_b32 s15, s12
	s_delay_alu instid0(TRANS32_DEP_1) | instskip(NEXT) | instid1(SALU_CYCLE_1)
	s_add_co_i32 s14, s13, -1
	s_xor_b32 s18, s14, 0x80000000
	s_delay_alu instid0(SALU_CYCLE_1) | instskip(SKIP_1) | instid1(SALU_CYCLE_2)
	s_fmac_f32 s15, s18, s13
	s_mov_b32 s18, s12
	s_cmp_le_f32 s15, 0
	s_cselect_b32 s14, s14, s13
	s_add_co_i32 s15, s13, 1
	s_delay_alu instid0(SALU_CYCLE_1) | instskip(NEXT) | instid1(SALU_CYCLE_1)
	s_xor_b32 s19, s15, 0x80000000
	s_fmac_f32 s18, s19, s13
	s_delay_alu instid0(SALU_CYCLE_3) | instskip(SKIP_4) | instid1(SALU_CYCLE_2)
	s_cmp_gt_f32 s18, 0
	s_cselect_b32 s13, s15, s14
	s_cmp_lt_f32 s5, 0xf800000
	s_mul_f32 s5, s13, 0x37800000
	v_cmp_class_f32_e64 s14, s12, 0x260
	s_cselect_b32 s5, s5, s13
	s_and_b32 s13, s14, exec_lo
	s_cselect_b32 s5, s12, s5
	s_delay_alu instid0(SALU_CYCLE_1)
	v_mov_b32_e32 v3, s5
	ds_store_b32 v1, v3 offset:616
.LBB9_87:
	s_or_b32 exec_lo, exec_lo, s1
	v_mov_b32_e32 v1, 0
	s_wait_dscnt 0x0
	ds_load_b32 v1, v1 offset:616
	s_wait_dscnt 0x0
	v_readfirstlane_b32 s1, v1
	s_cmp_neq_f32 s1, 0
	s_cselect_b32 vcc_lo, -1, 0
	v_cndmask_b32_e32 v1, 1.0, v1, vcc_lo
	s_nor_b32 s5, vcc_lo, s0
	s_delay_alu instid0(SALU_CYCLE_1)
	s_and_saveexec_b32 s1, s5
	s_cbranch_execz .LBB9_91
; %bb.88:
	v_mbcnt_lo_u32_b32 v1, exec_lo, 0
	s_mov_b32 s5, exec_lo
	s_delay_alu instid0(VALU_DEP_1)
	v_cmpx_eq_u32_e32 0, v1
	s_cbranch_execz .LBB9_90
; %bb.89:
	v_dual_mov_b32 v1, 0 :: v_dual_mov_b32 v3, s4
	global_atomic_min_i32 v1, v3, s[10:11] scope:SCOPE_DEV
.LBB9_90:
	s_wait_xcnt 0x0
	s_or_b32 exec_lo, exec_lo, s5
	v_mov_b32_e32 v1, 1.0
.LBB9_91:
	s_or_b32 exec_lo, exec_lo, s1
	s_delay_alu instid0(SALU_CYCLE_1)
	s_mov_b32 s1, exec_lo
	v_cmpx_lt_u32_e32 1, v5
	s_cbranch_execz .LBB9_93
; %bb.92:
	ds_load_b32 v3, v10 offset:4
	ds_load_b32 v11, v8 offset:4
	s_wait_dscnt 0x0
	v_sub_f32_e32 v3, v3, v11
	s_delay_alu instid0(VALU_DEP_1) | instskip(NEXT) | instid1(VALU_DEP_1)
	v_div_scale_f32 v11, null, v1, v1, v3
	v_rcp_f32_e32 v12, v11
	v_nop
	s_delay_alu instid0(TRANS32_DEP_1) | instskip(NEXT) | instid1(VALU_DEP_1)
	v_fma_f32 v13, -v11, v12, 1.0
	v_fmac_f32_e32 v12, v13, v12
	v_div_scale_f32 v14, vcc_lo, v3, v1, v3
	s_delay_alu instid0(VALU_DEP_1) | instskip(NEXT) | instid1(VALU_DEP_1)
	v_mul_f32_e32 v13, v14, v12
	v_fma_f32 v15, -v11, v13, v14
	s_delay_alu instid0(VALU_DEP_1) | instskip(NEXT) | instid1(VALU_DEP_1)
	v_fmac_f32_e32 v13, v15, v12
	v_fma_f32 v11, -v11, v13, v14
	s_delay_alu instid0(VALU_DEP_1) | instskip(NEXT) | instid1(VALU_DEP_1)
	v_div_fmas_f32 v11, v11, v12, v13
	v_div_fixup_f32 v1, v11, v1, v3
	ds_store_b32 v10, v1 offset:4
	s_wait_storecnt_dscnt 0x0
	ds_load_b32 v3, v9 offset:4
	ds_load_b32 v11, v6
	s_wait_dscnt 0x0
	v_fmac_f32_e32 v11, v1, v3
	ds_store_b32 v6, v11
.LBB9_93:
	s_or_b32 exec_lo, exec_lo, s1
	s_delay_alu instid0(SALU_CYCLE_1)
	s_mov_b32 s1, exec_lo
	s_wait_storecnt_dscnt 0x0
	v_cmpx_eq_u32_e32 2, v5
	s_cbranch_execz .LBB9_95
; %bb.94:
	v_mov_b32_e32 v1, 0
	ds_load_2addr_b32 v[12:13], v1 offset0:164 offset1:236
	s_wait_dscnt 0x0
	v_readfirstlane_b32 s5, v12
	v_readfirstlane_b32 s12, v13
	s_sub_f32 s5, s5, s12
	s_delay_alu instid0(SALU_CYCLE_3) | instskip(SKIP_2) | instid1(SALU_CYCLE_1)
	s_xor_b32 s12, s5, 0x80000000
	s_cmp_lt_f32 s5, 0
	s_cselect_b32 s5, s12, s5
	s_mul_f32 s12, s5, 0x4f800000
	s_cmp_lt_f32 s5, 0xf800000
	s_delay_alu instid0(SALU_CYCLE_2) | instskip(NEXT) | instid1(SALU_CYCLE_1)
	s_cselect_b32 s12, s12, s5
	v_s_sqrt_f32 s13, s12
	s_mov_b32 s15, s12
	s_delay_alu instid0(TRANS32_DEP_1) | instskip(NEXT) | instid1(SALU_CYCLE_1)
	s_add_co_i32 s14, s13, -1
	s_xor_b32 s18, s14, 0x80000000
	s_delay_alu instid0(SALU_CYCLE_1) | instskip(SKIP_1) | instid1(SALU_CYCLE_2)
	s_fmac_f32 s15, s18, s13
	s_mov_b32 s18, s12
	s_cmp_le_f32 s15, 0
	s_cselect_b32 s14, s14, s13
	s_add_co_i32 s15, s13, 1
	s_delay_alu instid0(SALU_CYCLE_1) | instskip(NEXT) | instid1(SALU_CYCLE_1)
	s_xor_b32 s19, s15, 0x80000000
	s_fmac_f32 s18, s19, s13
	s_delay_alu instid0(SALU_CYCLE_3) | instskip(SKIP_4) | instid1(SALU_CYCLE_2)
	s_cmp_gt_f32 s18, 0
	s_cselect_b32 s13, s15, s14
	s_cmp_lt_f32 s5, 0xf800000
	s_mul_f32 s5, s13, 0x37800000
	v_cmp_class_f32_e64 s14, s12, 0x260
	s_cselect_b32 s5, s5, s13
	s_and_b32 s13, s14, exec_lo
	s_cselect_b32 s5, s12, s5
	s_delay_alu instid0(SALU_CYCLE_1)
	v_mov_b32_e32 v3, s5
	ds_store_b32 v1, v3 offset:656
.LBB9_95:
	s_or_b32 exec_lo, exec_lo, s1
	v_mov_b32_e32 v1, 0
	s_wait_dscnt 0x0
	ds_load_b32 v1, v1 offset:656
	s_wait_dscnt 0x0
	v_readfirstlane_b32 s1, v1
	s_cmp_neq_f32 s1, 0
	s_cselect_b32 vcc_lo, -1, 0
	v_cndmask_b32_e32 v1, 1.0, v1, vcc_lo
	s_nor_b32 s5, vcc_lo, s0
	s_delay_alu instid0(SALU_CYCLE_1)
	s_and_saveexec_b32 s1, s5
	s_cbranch_execz .LBB9_99
; %bb.96:
	v_mbcnt_lo_u32_b32 v1, exec_lo, 0
	s_mov_b32 s5, exec_lo
	s_delay_alu instid0(VALU_DEP_1)
	v_cmpx_eq_u32_e32 0, v1
	s_cbranch_execz .LBB9_98
; %bb.97:
	v_dual_mov_b32 v1, 0 :: v_dual_mov_b32 v3, s4
	global_atomic_min_i32 v1, v3, s[10:11] scope:SCOPE_DEV
.LBB9_98:
	s_wait_xcnt 0x0
	s_or_b32 exec_lo, exec_lo, s5
	v_mov_b32_e32 v1, 1.0
.LBB9_99:
	s_or_b32 exec_lo, exec_lo, s1
	s_delay_alu instid0(SALU_CYCLE_1)
	s_mov_b32 s1, exec_lo
	v_cmpx_lt_u32_e32 2, v5
	s_cbranch_execz .LBB9_101
; %bb.100:
	ds_load_b32 v3, v10 offset:8
	ds_load_b32 v11, v8 offset:8
	s_wait_dscnt 0x0
	v_sub_f32_e32 v3, v3, v11
	s_delay_alu instid0(VALU_DEP_1) | instskip(NEXT) | instid1(VALU_DEP_1)
	v_div_scale_f32 v11, null, v1, v1, v3
	v_rcp_f32_e32 v12, v11
	v_nop
	s_delay_alu instid0(TRANS32_DEP_1) | instskip(NEXT) | instid1(VALU_DEP_1)
	v_fma_f32 v13, -v11, v12, 1.0
	v_fmac_f32_e32 v12, v13, v12
	v_div_scale_f32 v14, vcc_lo, v3, v1, v3
	s_delay_alu instid0(VALU_DEP_1) | instskip(NEXT) | instid1(VALU_DEP_1)
	v_mul_f32_e32 v13, v14, v12
	v_fma_f32 v15, -v11, v13, v14
	s_delay_alu instid0(VALU_DEP_1) | instskip(NEXT) | instid1(VALU_DEP_1)
	v_fmac_f32_e32 v13, v15, v12
	v_fma_f32 v11, -v11, v13, v14
	s_delay_alu instid0(VALU_DEP_1) | instskip(NEXT) | instid1(VALU_DEP_1)
	v_div_fmas_f32 v11, v11, v12, v13
	v_div_fixup_f32 v1, v11, v1, v3
	ds_store_b32 v10, v1 offset:8
	s_wait_storecnt_dscnt 0x0
	ds_load_b32 v3, v9 offset:8
	ds_load_b32 v11, v6
	s_wait_dscnt 0x0
	v_fmac_f32_e32 v11, v1, v3
	ds_store_b32 v6, v11
.LBB9_101:
	s_or_b32 exec_lo, exec_lo, s1
	s_delay_alu instid0(SALU_CYCLE_1)
	s_mov_b32 s1, exec_lo
	s_wait_storecnt_dscnt 0x0
	v_cmpx_eq_u32_e32 3, v5
	s_cbranch_execz .LBB9_103
; %bb.102:
	v_mov_b32_e32 v1, 0
	ds_load_2addr_b32 v[12:13], v1 offset0:174 offset1:246
	s_wait_dscnt 0x0
	v_readfirstlane_b32 s5, v12
	v_readfirstlane_b32 s12, v13
	s_sub_f32 s5, s5, s12
	s_delay_alu instid0(SALU_CYCLE_3) | instskip(SKIP_2) | instid1(SALU_CYCLE_1)
	s_xor_b32 s12, s5, 0x80000000
	s_cmp_lt_f32 s5, 0
	s_cselect_b32 s5, s12, s5
	s_mul_f32 s12, s5, 0x4f800000
	s_cmp_lt_f32 s5, 0xf800000
	s_delay_alu instid0(SALU_CYCLE_2) | instskip(NEXT) | instid1(SALU_CYCLE_1)
	s_cselect_b32 s12, s12, s5
	v_s_sqrt_f32 s13, s12
	s_mov_b32 s15, s12
	s_delay_alu instid0(TRANS32_DEP_1) | instskip(NEXT) | instid1(SALU_CYCLE_1)
	s_add_co_i32 s14, s13, -1
	s_xor_b32 s18, s14, 0x80000000
	s_delay_alu instid0(SALU_CYCLE_1) | instskip(SKIP_1) | instid1(SALU_CYCLE_2)
	s_fmac_f32 s15, s18, s13
	s_mov_b32 s18, s12
	s_cmp_le_f32 s15, 0
	s_cselect_b32 s14, s14, s13
	s_add_co_i32 s15, s13, 1
	s_delay_alu instid0(SALU_CYCLE_1) | instskip(NEXT) | instid1(SALU_CYCLE_1)
	s_xor_b32 s19, s15, 0x80000000
	s_fmac_f32 s18, s19, s13
	s_delay_alu instid0(SALU_CYCLE_3) | instskip(SKIP_4) | instid1(SALU_CYCLE_2)
	s_cmp_gt_f32 s18, 0
	s_cselect_b32 s13, s15, s14
	s_cmp_lt_f32 s5, 0xf800000
	s_mul_f32 s5, s13, 0x37800000
	v_cmp_class_f32_e64 s14, s12, 0x260
	s_cselect_b32 s5, s5, s13
	s_and_b32 s13, s14, exec_lo
	s_cselect_b32 s5, s12, s5
	s_delay_alu instid0(SALU_CYCLE_1)
	v_mov_b32_e32 v3, s5
	ds_store_b32 v1, v3 offset:696
.LBB9_103:
	s_or_b32 exec_lo, exec_lo, s1
	v_mov_b32_e32 v1, 0
	s_wait_dscnt 0x0
	ds_load_b32 v1, v1 offset:696
	s_wait_dscnt 0x0
	v_readfirstlane_b32 s1, v1
	s_cmp_neq_f32 s1, 0
	s_cselect_b32 vcc_lo, -1, 0
	v_cndmask_b32_e32 v1, 1.0, v1, vcc_lo
	s_nor_b32 s5, vcc_lo, s0
	s_delay_alu instid0(SALU_CYCLE_1)
	s_and_saveexec_b32 s1, s5
	s_cbranch_execz .LBB9_107
; %bb.104:
	v_mbcnt_lo_u32_b32 v1, exec_lo, 0
	s_mov_b32 s5, exec_lo
	s_delay_alu instid0(VALU_DEP_1)
	v_cmpx_eq_u32_e32 0, v1
	s_cbranch_execz .LBB9_106
; %bb.105:
	v_dual_mov_b32 v1, 0 :: v_dual_mov_b32 v3, s4
	global_atomic_min_i32 v1, v3, s[10:11] scope:SCOPE_DEV
.LBB9_106:
	s_wait_xcnt 0x0
	s_or_b32 exec_lo, exec_lo, s5
	v_mov_b32_e32 v1, 1.0
.LBB9_107:
	s_or_b32 exec_lo, exec_lo, s1
	s_delay_alu instid0(SALU_CYCLE_1)
	s_mov_b32 s1, exec_lo
	v_cmpx_lt_u32_e32 3, v5
	s_cbranch_execz .LBB9_109
; %bb.108:
	ds_load_b32 v3, v10 offset:12
	ds_load_b32 v11, v8 offset:12
	s_wait_dscnt 0x0
	v_sub_f32_e32 v3, v3, v11
	s_delay_alu instid0(VALU_DEP_1) | instskip(NEXT) | instid1(VALU_DEP_1)
	v_div_scale_f32 v11, null, v1, v1, v3
	v_rcp_f32_e32 v12, v11
	v_nop
	s_delay_alu instid0(TRANS32_DEP_1) | instskip(NEXT) | instid1(VALU_DEP_1)
	v_fma_f32 v13, -v11, v12, 1.0
	v_fmac_f32_e32 v12, v13, v12
	v_div_scale_f32 v14, vcc_lo, v3, v1, v3
	s_delay_alu instid0(VALU_DEP_1) | instskip(NEXT) | instid1(VALU_DEP_1)
	v_mul_f32_e32 v13, v14, v12
	v_fma_f32 v15, -v11, v13, v14
	s_delay_alu instid0(VALU_DEP_1) | instskip(NEXT) | instid1(VALU_DEP_1)
	v_fmac_f32_e32 v13, v15, v12
	v_fma_f32 v11, -v11, v13, v14
	s_delay_alu instid0(VALU_DEP_1) | instskip(NEXT) | instid1(VALU_DEP_1)
	v_div_fmas_f32 v11, v11, v12, v13
	v_div_fixup_f32 v1, v11, v1, v3
	ds_store_b32 v10, v1 offset:12
	s_wait_storecnt_dscnt 0x0
	ds_load_b32 v3, v9 offset:12
	ds_load_b32 v11, v6
	s_wait_dscnt 0x0
	v_fmac_f32_e32 v11, v1, v3
	ds_store_b32 v6, v11
.LBB9_109:
	s_or_b32 exec_lo, exec_lo, s1
	s_delay_alu instid0(SALU_CYCLE_1)
	s_mov_b32 s1, exec_lo
	s_wait_storecnt_dscnt 0x0
	v_cmpx_eq_u32_e32 4, v5
	s_cbranch_execz .LBB9_111
; %bb.110:
	v_add_nc_u32_e64 v1, 0x200, 0
	ds_load_2addr_b32 v[12:13], v1 offset0:56 offset1:128
	s_wait_dscnt 0x0
	v_readfirstlane_b32 s5, v12
	v_readfirstlane_b32 s12, v13
	s_sub_f32 s5, s5, s12
	s_delay_alu instid0(SALU_CYCLE_3) | instskip(SKIP_2) | instid1(SALU_CYCLE_1)
	s_xor_b32 s12, s5, 0x80000000
	s_cmp_lt_f32 s5, 0
	s_cselect_b32 s5, s12, s5
	s_mul_f32 s12, s5, 0x4f800000
	s_cmp_lt_f32 s5, 0xf800000
	s_delay_alu instid0(SALU_CYCLE_2) | instskip(NEXT) | instid1(SALU_CYCLE_1)
	s_cselect_b32 s12, s12, s5
	v_s_sqrt_f32 s13, s12
	s_mov_b32 s15, s12
	s_delay_alu instid0(TRANS32_DEP_1) | instskip(NEXT) | instid1(SALU_CYCLE_1)
	s_add_co_i32 s14, s13, -1
	s_xor_b32 s18, s14, 0x80000000
	s_delay_alu instid0(SALU_CYCLE_1) | instskip(SKIP_1) | instid1(SALU_CYCLE_2)
	s_fmac_f32 s15, s18, s13
	s_mov_b32 s18, s12
	s_cmp_le_f32 s15, 0
	s_cselect_b32 s14, s14, s13
	s_add_co_i32 s15, s13, 1
	s_delay_alu instid0(SALU_CYCLE_1) | instskip(NEXT) | instid1(SALU_CYCLE_1)
	s_xor_b32 s19, s15, 0x80000000
	s_fmac_f32 s18, s19, s13
	s_delay_alu instid0(SALU_CYCLE_3) | instskip(SKIP_4) | instid1(SALU_CYCLE_2)
	s_cmp_gt_f32 s18, 0
	s_cselect_b32 s13, s15, s14
	s_cmp_lt_f32 s5, 0xf800000
	s_mul_f32 s5, s13, 0x37800000
	v_cmp_class_f32_e64 s14, s12, 0x260
	s_cselect_b32 s5, s5, s13
	s_and_b32 s13, s14, exec_lo
	s_cselect_b32 s5, s12, s5
	s_delay_alu instid0(SALU_CYCLE_1)
	v_dual_mov_b32 v1, 0 :: v_dual_mov_b32 v3, s5
	ds_store_b32 v1, v3 offset:736
.LBB9_111:
	s_or_b32 exec_lo, exec_lo, s1
	v_mov_b32_e32 v1, 0
	s_wait_dscnt 0x0
	ds_load_b32 v1, v1 offset:736
	s_wait_dscnt 0x0
	v_readfirstlane_b32 s1, v1
	s_cmp_neq_f32 s1, 0
	s_cselect_b32 vcc_lo, -1, 0
	v_cndmask_b32_e32 v1, 1.0, v1, vcc_lo
	s_nor_b32 s5, vcc_lo, s0
	s_delay_alu instid0(SALU_CYCLE_1)
	s_and_saveexec_b32 s1, s5
	s_cbranch_execz .LBB9_115
; %bb.112:
	v_mbcnt_lo_u32_b32 v1, exec_lo, 0
	s_mov_b32 s5, exec_lo
	s_delay_alu instid0(VALU_DEP_1)
	v_cmpx_eq_u32_e32 0, v1
	s_cbranch_execz .LBB9_114
; %bb.113:
	v_dual_mov_b32 v1, 0 :: v_dual_mov_b32 v3, s4
	global_atomic_min_i32 v1, v3, s[10:11] scope:SCOPE_DEV
.LBB9_114:
	s_wait_xcnt 0x0
	s_or_b32 exec_lo, exec_lo, s5
	v_mov_b32_e32 v1, 1.0
.LBB9_115:
	s_or_b32 exec_lo, exec_lo, s1
	s_delay_alu instid0(SALU_CYCLE_1)
	s_mov_b32 s1, exec_lo
	v_cmpx_lt_u32_e32 4, v5
	s_cbranch_execz .LBB9_117
; %bb.116:
	ds_load_b32 v3, v10 offset:16
	ds_load_b32 v11, v8 offset:16
	s_wait_dscnt 0x0
	v_sub_f32_e32 v3, v3, v11
	s_delay_alu instid0(VALU_DEP_1) | instskip(NEXT) | instid1(VALU_DEP_1)
	v_div_scale_f32 v11, null, v1, v1, v3
	v_rcp_f32_e32 v12, v11
	v_nop
	s_delay_alu instid0(TRANS32_DEP_1) | instskip(NEXT) | instid1(VALU_DEP_1)
	v_fma_f32 v13, -v11, v12, 1.0
	v_fmac_f32_e32 v12, v13, v12
	v_div_scale_f32 v14, vcc_lo, v3, v1, v3
	s_delay_alu instid0(VALU_DEP_1) | instskip(NEXT) | instid1(VALU_DEP_1)
	v_mul_f32_e32 v13, v14, v12
	v_fma_f32 v15, -v11, v13, v14
	s_delay_alu instid0(VALU_DEP_1) | instskip(NEXT) | instid1(VALU_DEP_1)
	v_fmac_f32_e32 v13, v15, v12
	v_fma_f32 v11, -v11, v13, v14
	s_delay_alu instid0(VALU_DEP_1) | instskip(NEXT) | instid1(VALU_DEP_1)
	v_div_fmas_f32 v11, v11, v12, v13
	v_div_fixup_f32 v1, v11, v1, v3
	ds_store_b32 v10, v1 offset:16
	s_wait_storecnt_dscnt 0x0
	ds_load_b32 v3, v9 offset:16
	ds_load_b32 v11, v6
	s_wait_dscnt 0x0
	v_fmac_f32_e32 v11, v1, v3
	ds_store_b32 v6, v11
.LBB9_117:
	s_or_b32 exec_lo, exec_lo, s1
	s_delay_alu instid0(SALU_CYCLE_1)
	s_mov_b32 s1, exec_lo
	s_wait_storecnt_dscnt 0x0
	v_cmpx_eq_u32_e32 5, v5
	s_cbranch_execz .LBB9_119
; %bb.118:
	v_add_nc_u32_e64 v1, 0x200, 0
	ds_load_2addr_b32 v[12:13], v1 offset0:66 offset1:138
	s_wait_dscnt 0x0
	v_readfirstlane_b32 s5, v12
	v_readfirstlane_b32 s12, v13
	s_sub_f32 s5, s5, s12
	s_delay_alu instid0(SALU_CYCLE_3) | instskip(SKIP_2) | instid1(SALU_CYCLE_1)
	s_xor_b32 s12, s5, 0x80000000
	s_cmp_lt_f32 s5, 0
	s_cselect_b32 s5, s12, s5
	s_mul_f32 s12, s5, 0x4f800000
	s_cmp_lt_f32 s5, 0xf800000
	s_delay_alu instid0(SALU_CYCLE_2) | instskip(NEXT) | instid1(SALU_CYCLE_1)
	s_cselect_b32 s12, s12, s5
	v_s_sqrt_f32 s13, s12
	s_mov_b32 s15, s12
	s_delay_alu instid0(TRANS32_DEP_1) | instskip(NEXT) | instid1(SALU_CYCLE_1)
	s_add_co_i32 s14, s13, -1
	s_xor_b32 s18, s14, 0x80000000
	s_delay_alu instid0(SALU_CYCLE_1) | instskip(SKIP_1) | instid1(SALU_CYCLE_2)
	s_fmac_f32 s15, s18, s13
	s_mov_b32 s18, s12
	s_cmp_le_f32 s15, 0
	s_cselect_b32 s14, s14, s13
	s_add_co_i32 s15, s13, 1
	s_delay_alu instid0(SALU_CYCLE_1) | instskip(NEXT) | instid1(SALU_CYCLE_1)
	s_xor_b32 s19, s15, 0x80000000
	s_fmac_f32 s18, s19, s13
	s_delay_alu instid0(SALU_CYCLE_3) | instskip(SKIP_4) | instid1(SALU_CYCLE_2)
	s_cmp_gt_f32 s18, 0
	s_cselect_b32 s13, s15, s14
	s_cmp_lt_f32 s5, 0xf800000
	s_mul_f32 s5, s13, 0x37800000
	v_cmp_class_f32_e64 s14, s12, 0x260
	s_cselect_b32 s5, s5, s13
	s_and_b32 s13, s14, exec_lo
	s_cselect_b32 s5, s12, s5
	s_delay_alu instid0(SALU_CYCLE_1)
	v_dual_mov_b32 v1, 0 :: v_dual_mov_b32 v3, s5
	ds_store_b32 v1, v3 offset:776
.LBB9_119:
	s_or_b32 exec_lo, exec_lo, s1
	v_mov_b32_e32 v1, 0
	s_wait_dscnt 0x0
	ds_load_b32 v1, v1 offset:776
	s_wait_dscnt 0x0
	v_readfirstlane_b32 s1, v1
	s_cmp_neq_f32 s1, 0
	s_cselect_b32 vcc_lo, -1, 0
	v_cndmask_b32_e32 v1, 1.0, v1, vcc_lo
	s_nor_b32 s5, vcc_lo, s0
	s_delay_alu instid0(SALU_CYCLE_1)
	s_and_saveexec_b32 s1, s5
	s_cbranch_execz .LBB9_123
; %bb.120:
	v_mbcnt_lo_u32_b32 v1, exec_lo, 0
	s_mov_b32 s5, exec_lo
	s_delay_alu instid0(VALU_DEP_1)
	v_cmpx_eq_u32_e32 0, v1
	s_cbranch_execz .LBB9_122
; %bb.121:
	v_dual_mov_b32 v1, 0 :: v_dual_mov_b32 v3, s4
	global_atomic_min_i32 v1, v3, s[10:11] scope:SCOPE_DEV
.LBB9_122:
	s_wait_xcnt 0x0
	s_or_b32 exec_lo, exec_lo, s5
	v_mov_b32_e32 v1, 1.0
.LBB9_123:
	s_or_b32 exec_lo, exec_lo, s1
	s_delay_alu instid0(SALU_CYCLE_1)
	s_mov_b32 s1, exec_lo
	v_cmpx_lt_u32_e32 5, v5
	s_cbranch_execz .LBB9_125
; %bb.124:
	ds_load_b32 v3, v10 offset:20
	ds_load_b32 v11, v8 offset:20
	s_wait_dscnt 0x0
	v_sub_f32_e32 v3, v3, v11
	s_delay_alu instid0(VALU_DEP_1) | instskip(NEXT) | instid1(VALU_DEP_1)
	v_div_scale_f32 v11, null, v1, v1, v3
	v_rcp_f32_e32 v12, v11
	v_nop
	s_delay_alu instid0(TRANS32_DEP_1) | instskip(NEXT) | instid1(VALU_DEP_1)
	v_fma_f32 v13, -v11, v12, 1.0
	v_fmac_f32_e32 v12, v13, v12
	v_div_scale_f32 v14, vcc_lo, v3, v1, v3
	s_delay_alu instid0(VALU_DEP_1) | instskip(NEXT) | instid1(VALU_DEP_1)
	v_mul_f32_e32 v13, v14, v12
	v_fma_f32 v15, -v11, v13, v14
	s_delay_alu instid0(VALU_DEP_1) | instskip(NEXT) | instid1(VALU_DEP_1)
	v_fmac_f32_e32 v13, v15, v12
	v_fma_f32 v11, -v11, v13, v14
	s_delay_alu instid0(VALU_DEP_1) | instskip(NEXT) | instid1(VALU_DEP_1)
	v_div_fmas_f32 v11, v11, v12, v13
	v_div_fixup_f32 v1, v11, v1, v3
	ds_store_b32 v10, v1 offset:20
	s_wait_storecnt_dscnt 0x0
	ds_load_b32 v3, v9 offset:20
	ds_load_b32 v11, v6
	s_wait_dscnt 0x0
	v_fmac_f32_e32 v11, v1, v3
	ds_store_b32 v6, v11
.LBB9_125:
	s_or_b32 exec_lo, exec_lo, s1
	s_delay_alu instid0(SALU_CYCLE_1)
	s_mov_b32 s1, exec_lo
	s_wait_storecnt_dscnt 0x0
	v_cmpx_eq_u32_e32 6, v5
	s_cbranch_execz .LBB9_127
; %bb.126:
	v_add_nc_u32_e64 v1, 0x200, 0
	ds_load_2addr_b32 v[12:13], v1 offset0:76 offset1:148
	s_wait_dscnt 0x0
	v_readfirstlane_b32 s5, v12
	v_readfirstlane_b32 s12, v13
	s_sub_f32 s5, s5, s12
	s_delay_alu instid0(SALU_CYCLE_3) | instskip(SKIP_2) | instid1(SALU_CYCLE_1)
	s_xor_b32 s12, s5, 0x80000000
	s_cmp_lt_f32 s5, 0
	s_cselect_b32 s5, s12, s5
	s_mul_f32 s12, s5, 0x4f800000
	s_cmp_lt_f32 s5, 0xf800000
	s_delay_alu instid0(SALU_CYCLE_2) | instskip(NEXT) | instid1(SALU_CYCLE_1)
	s_cselect_b32 s12, s12, s5
	v_s_sqrt_f32 s13, s12
	s_mov_b32 s15, s12
	s_delay_alu instid0(TRANS32_DEP_1) | instskip(NEXT) | instid1(SALU_CYCLE_1)
	s_add_co_i32 s14, s13, -1
	s_xor_b32 s18, s14, 0x80000000
	s_delay_alu instid0(SALU_CYCLE_1) | instskip(SKIP_1) | instid1(SALU_CYCLE_2)
	s_fmac_f32 s15, s18, s13
	s_mov_b32 s18, s12
	s_cmp_le_f32 s15, 0
	s_cselect_b32 s14, s14, s13
	s_add_co_i32 s15, s13, 1
	s_delay_alu instid0(SALU_CYCLE_1) | instskip(NEXT) | instid1(SALU_CYCLE_1)
	s_xor_b32 s19, s15, 0x80000000
	s_fmac_f32 s18, s19, s13
	s_delay_alu instid0(SALU_CYCLE_3) | instskip(SKIP_4) | instid1(SALU_CYCLE_2)
	s_cmp_gt_f32 s18, 0
	s_cselect_b32 s13, s15, s14
	s_cmp_lt_f32 s5, 0xf800000
	s_mul_f32 s5, s13, 0x37800000
	v_cmp_class_f32_e64 s14, s12, 0x260
	s_cselect_b32 s5, s5, s13
	s_and_b32 s13, s14, exec_lo
	s_cselect_b32 s5, s12, s5
	s_delay_alu instid0(SALU_CYCLE_1)
	v_dual_mov_b32 v1, 0 :: v_dual_mov_b32 v3, s5
	ds_store_b32 v1, v3 offset:816
.LBB9_127:
	s_or_b32 exec_lo, exec_lo, s1
	v_mov_b32_e32 v1, 0
	s_wait_dscnt 0x0
	ds_load_b32 v1, v1 offset:816
	s_wait_dscnt 0x0
	v_readfirstlane_b32 s1, v1
	s_cmp_neq_f32 s1, 0
	s_cselect_b32 vcc_lo, -1, 0
	v_cndmask_b32_e32 v1, 1.0, v1, vcc_lo
	s_nor_b32 s5, vcc_lo, s0
	s_delay_alu instid0(SALU_CYCLE_1)
	s_and_saveexec_b32 s1, s5
	s_cbranch_execz .LBB9_131
; %bb.128:
	v_mbcnt_lo_u32_b32 v1, exec_lo, 0
	s_mov_b32 s5, exec_lo
	s_delay_alu instid0(VALU_DEP_1)
	v_cmpx_eq_u32_e32 0, v1
	s_cbranch_execz .LBB9_130
; %bb.129:
	v_dual_mov_b32 v1, 0 :: v_dual_mov_b32 v3, s4
	global_atomic_min_i32 v1, v3, s[10:11] scope:SCOPE_DEV
.LBB9_130:
	s_wait_xcnt 0x0
	s_or_b32 exec_lo, exec_lo, s5
	v_mov_b32_e32 v1, 1.0
.LBB9_131:
	s_or_b32 exec_lo, exec_lo, s1
	s_delay_alu instid0(SALU_CYCLE_1)
	s_mov_b32 s1, exec_lo
	v_cmpx_lt_u32_e32 6, v5
	s_cbranch_execz .LBB9_133
; %bb.132:
	ds_load_b32 v3, v10 offset:24
	ds_load_b32 v11, v8 offset:24
	s_wait_dscnt 0x0
	v_sub_f32_e32 v3, v3, v11
	s_delay_alu instid0(VALU_DEP_1) | instskip(NEXT) | instid1(VALU_DEP_1)
	v_div_scale_f32 v11, null, v1, v1, v3
	v_rcp_f32_e32 v12, v11
	v_nop
	s_delay_alu instid0(TRANS32_DEP_1) | instskip(NEXT) | instid1(VALU_DEP_1)
	v_fma_f32 v13, -v11, v12, 1.0
	v_fmac_f32_e32 v12, v13, v12
	v_div_scale_f32 v14, vcc_lo, v3, v1, v3
	s_delay_alu instid0(VALU_DEP_1) | instskip(NEXT) | instid1(VALU_DEP_1)
	v_mul_f32_e32 v13, v14, v12
	v_fma_f32 v15, -v11, v13, v14
	s_delay_alu instid0(VALU_DEP_1) | instskip(NEXT) | instid1(VALU_DEP_1)
	v_fmac_f32_e32 v13, v15, v12
	v_fma_f32 v11, -v11, v13, v14
	s_delay_alu instid0(VALU_DEP_1) | instskip(NEXT) | instid1(VALU_DEP_1)
	v_div_fmas_f32 v11, v11, v12, v13
	v_div_fixup_f32 v1, v11, v1, v3
	ds_store_b32 v10, v1 offset:24
	s_wait_storecnt_dscnt 0x0
	ds_load_b32 v3, v9 offset:24
	ds_load_b32 v11, v6
	s_wait_dscnt 0x0
	v_fmac_f32_e32 v11, v1, v3
	ds_store_b32 v6, v11
.LBB9_133:
	s_or_b32 exec_lo, exec_lo, s1
	v_ashrrev_i32_e32 v1, 31, v0
	s_mov_b32 s1, exec_lo
	s_wait_storecnt_dscnt 0x0
	v_cmpx_eq_u32_e32 7, v5
	s_cbranch_execz .LBB9_135
; %bb.134:
	v_add_nc_u32_e64 v3, 0x200, 0
	ds_load_2addr_b32 v[12:13], v3 offset0:86 offset1:158
	s_wait_dscnt 0x0
	v_readfirstlane_b32 s5, v12
	v_readfirstlane_b32 s12, v13
	s_sub_f32 s5, s5, s12
	s_delay_alu instid0(SALU_CYCLE_3) | instskip(SKIP_2) | instid1(SALU_CYCLE_1)
	s_xor_b32 s12, s5, 0x80000000
	s_cmp_lt_f32 s5, 0
	s_cselect_b32 s5, s12, s5
	s_mul_f32 s12, s5, 0x4f800000
	s_cmp_lt_f32 s5, 0xf800000
	s_delay_alu instid0(SALU_CYCLE_2) | instskip(NEXT) | instid1(SALU_CYCLE_1)
	s_cselect_b32 s12, s12, s5
	v_s_sqrt_f32 s13, s12
	s_mov_b32 s15, s12
	s_delay_alu instid0(TRANS32_DEP_1) | instskip(NEXT) | instid1(SALU_CYCLE_1)
	s_add_co_i32 s14, s13, -1
	s_xor_b32 s18, s14, 0x80000000
	s_delay_alu instid0(SALU_CYCLE_1) | instskip(SKIP_1) | instid1(SALU_CYCLE_2)
	s_fmac_f32 s15, s18, s13
	s_mov_b32 s18, s12
	s_cmp_le_f32 s15, 0
	s_cselect_b32 s14, s14, s13
	s_add_co_i32 s15, s13, 1
	s_delay_alu instid0(SALU_CYCLE_1) | instskip(NEXT) | instid1(SALU_CYCLE_1)
	s_xor_b32 s19, s15, 0x80000000
	s_fmac_f32 s18, s19, s13
	s_delay_alu instid0(SALU_CYCLE_3) | instskip(SKIP_4) | instid1(SALU_CYCLE_2)
	s_cmp_gt_f32 s18, 0
	s_cselect_b32 s13, s15, s14
	s_cmp_lt_f32 s5, 0xf800000
	s_mul_f32 s5, s13, 0x37800000
	v_cmp_class_f32_e64 s14, s12, 0x260
	s_cselect_b32 s5, s5, s13
	s_and_b32 s13, s14, exec_lo
	s_cselect_b32 s5, s12, s5
	s_delay_alu instid0(SALU_CYCLE_1)
	v_dual_mov_b32 v3, 0 :: v_dual_mov_b32 v11, s5
	ds_store_b32 v3, v11 offset:856
.LBB9_135:
	s_or_b32 exec_lo, exec_lo, s1
	v_mov_b32_e32 v3, 0
	s_wait_dscnt 0x0
	ds_load_b32 v3, v3 offset:856
	s_wait_dscnt 0x0
	v_readfirstlane_b32 s1, v3
	s_cmp_neq_f32 s1, 0
	s_cselect_b32 vcc_lo, -1, 0
	v_cndmask_b32_e32 v3, 1.0, v3, vcc_lo
	s_nor_b32 s1, vcc_lo, s0
	s_delay_alu instid0(SALU_CYCLE_1)
	s_and_saveexec_b32 s0, s1
	s_cbranch_execz .LBB9_139
; %bb.136:
	v_mbcnt_lo_u32_b32 v3, exec_lo, 0
	s_mov_b32 s1, exec_lo
	s_delay_alu instid0(VALU_DEP_1)
	v_cmpx_eq_u32_e32 0, v3
	s_cbranch_execz .LBB9_138
; %bb.137:
	v_dual_mov_b32 v3, 0 :: v_dual_mov_b32 v11, s4
	global_atomic_min_i32 v3, v11, s[10:11] scope:SCOPE_DEV
.LBB9_138:
	s_wait_xcnt 0x0
	s_or_b32 exec_lo, exec_lo, s1
	v_mov_b32_e32 v3, 1.0
.LBB9_139:
	s_or_b32 exec_lo, exec_lo, s0
	v_lshl_add_u64 v[0:1], v[0:1], 2, s[16:17]
	s_mov_b32 s0, exec_lo
	v_cmpx_lt_u32_e32 7, v5
	s_cbranch_execz .LBB9_141
; %bb.140:
	ds_load_b32 v11, v10 offset:28
	ds_load_b32 v8, v8 offset:28
	s_wait_dscnt 0x0
	v_sub_f32_e32 v8, v11, v8
	s_delay_alu instid0(VALU_DEP_1) | instskip(SKIP_1) | instid1(VALU_DEP_2)
	v_div_scale_f32 v11, null, v3, v3, v8
	v_div_scale_f32 v14, vcc_lo, v8, v3, v8
	v_rcp_f32_e32 v12, v11
	v_nop
	s_delay_alu instid0(TRANS32_DEP_1) | instskip(NEXT) | instid1(VALU_DEP_1)
	v_fma_f32 v13, -v11, v12, 1.0
	v_fmac_f32_e32 v12, v13, v12
	s_delay_alu instid0(VALU_DEP_1) | instskip(NEXT) | instid1(VALU_DEP_1)
	v_mul_f32_e32 v13, v14, v12
	v_fma_f32 v15, -v11, v13, v14
	s_delay_alu instid0(VALU_DEP_1) | instskip(NEXT) | instid1(VALU_DEP_1)
	v_fmac_f32_e32 v13, v15, v12
	v_fma_f32 v11, -v11, v13, v14
	s_delay_alu instid0(VALU_DEP_1) | instskip(NEXT) | instid1(VALU_DEP_1)
	v_div_fmas_f32 v11, v11, v12, v13
	v_div_fixup_f32 v3, v11, v3, v8
	ds_store_b32 v10, v3 offset:28
	s_wait_storecnt_dscnt 0x0
	ds_load_b32 v8, v9 offset:28
	ds_load_b32 v9, v6
	s_wait_dscnt 0x0
	v_fmac_f32_e32 v9, v3, v8
	ds_store_b32 v6, v9
.LBB9_141:
	s_or_b32 exec_lo, exec_lo, s0
	s_wait_storecnt_dscnt 0x0
	ds_load_b32 v2, v2
	s_mov_b32 s0, 0
	s_mov_b32 s1, exec_lo
	s_wait_dscnt 0x0
	global_store_b32 v[0:1], v2, off
	s_wait_xcnt 0x0
	v_cmpx_eq_u32_e32 0, v7
	s_cbranch_execz .LBB9_143
; %bb.142:
	v_dual_mov_b32 v0, 0 :: v_dual_mov_b32 v1, 1
	s_add_nc_u64 s[4:5], s[6:7], s[2:3]
	global_wb scope:SCOPE_DEV
	s_wait_storecnt 0x0
	global_store_b32 v0, v1, s[4:5] scope:SCOPE_DEV
.LBB9_143:
	s_wait_xcnt 0x0
	s_or_b32 exec_lo, exec_lo, s1
	s_delay_alu instid0(SALU_CYCLE_1)
	s_and_b32 vcc_lo, exec_lo, s0
	s_cbranch_vccz .LBB9_16
.LBB9_144:
	v_or_b32_e32 v0, v4, v5
	s_mov_b32 s0, exec_lo
	s_delay_alu instid0(VALU_DEP_1)
	v_cmpx_eq_u32_e32 0, v0
	s_cbranch_execz .LBB9_16
; %bb.145:
	v_mbcnt_lo_u32_b32 v0, exec_lo, 0
	s_mov_b32 s0, exec_lo
	s_delay_alu instid0(VALU_DEP_1)
	v_cmpx_eq_u32_e32 0, v0
	s_cbranch_execz .LBB9_147
; %bb.146:
	s_add_co_i32 s1, s8, s9
	s_delay_alu instid0(SALU_CYCLE_1)
	v_dual_mov_b32 v0, 0 :: v_dual_mov_b32 v1, s1
	global_atomic_min_i32 v0, v1, s[10:11] scope:SCOPE_DEV
.LBB9_147:
	s_wait_xcnt 0x0
	s_or_b32 exec_lo, exec_lo, s0
	v_dual_mov_b32 v0, 0 :: v_dual_mov_b32 v1, 1
	s_add_nc_u64 s[0:1], s[6:7], s[2:3]
	global_wb scope:SCOPE_DEV
	s_wait_storecnt 0x0
	global_store_b32 v0, v1, s[0:1] scope:SCOPE_DEV
	s_endpgm
	.section	.rodata,"a",@progbits
	.p2align	6, 0x0
	.amdhsa_kernel _ZN9rocsparseL26bsric0_2_8_unrolled_kernelILi64ELi32ELi8EfEEv20rocsparse_direction_iiPKiS3_PT2_S3_PiS3_S6_21rocsparse_index_base_
		.amdhsa_group_segment_fixed_size 1536
		.amdhsa_private_segment_fixed_size 0
		.amdhsa_kernarg_size 76
		.amdhsa_user_sgpr_count 2
		.amdhsa_user_sgpr_dispatch_ptr 0
		.amdhsa_user_sgpr_queue_ptr 0
		.amdhsa_user_sgpr_kernarg_segment_ptr 1
		.amdhsa_user_sgpr_dispatch_id 0
		.amdhsa_user_sgpr_kernarg_preload_length 0
		.amdhsa_user_sgpr_kernarg_preload_offset 0
		.amdhsa_user_sgpr_private_segment_size 0
		.amdhsa_wavefront_size32 1
		.amdhsa_uses_dynamic_stack 0
		.amdhsa_enable_private_segment 0
		.amdhsa_system_sgpr_workgroup_id_x 1
		.amdhsa_system_sgpr_workgroup_id_y 0
		.amdhsa_system_sgpr_workgroup_id_z 0
		.amdhsa_system_sgpr_workgroup_info 0
		.amdhsa_system_vgpr_workitem_id 1
		.amdhsa_next_free_vgpr 42
		.amdhsa_next_free_sgpr 37
		.amdhsa_named_barrier_count 0
		.amdhsa_reserve_vcc 1
		.amdhsa_float_round_mode_32 0
		.amdhsa_float_round_mode_16_64 0
		.amdhsa_float_denorm_mode_32 3
		.amdhsa_float_denorm_mode_16_64 3
		.amdhsa_fp16_overflow 0
		.amdhsa_memory_ordered 1
		.amdhsa_forward_progress 1
		.amdhsa_inst_pref_size 80
		.amdhsa_round_robin_scheduling 0
		.amdhsa_exception_fp_ieee_invalid_op 0
		.amdhsa_exception_fp_denorm_src 0
		.amdhsa_exception_fp_ieee_div_zero 0
		.amdhsa_exception_fp_ieee_overflow 0
		.amdhsa_exception_fp_ieee_underflow 0
		.amdhsa_exception_fp_ieee_inexact 0
		.amdhsa_exception_int_div_zero 0
	.end_amdhsa_kernel
	.section	.text._ZN9rocsparseL26bsric0_2_8_unrolled_kernelILi64ELi32ELi8EfEEv20rocsparse_direction_iiPKiS3_PT2_S3_PiS3_S6_21rocsparse_index_base_,"axG",@progbits,_ZN9rocsparseL26bsric0_2_8_unrolled_kernelILi64ELi32ELi8EfEEv20rocsparse_direction_iiPKiS3_PT2_S3_PiS3_S6_21rocsparse_index_base_,comdat
.Lfunc_end9:
	.size	_ZN9rocsparseL26bsric0_2_8_unrolled_kernelILi64ELi32ELi8EfEEv20rocsparse_direction_iiPKiS3_PT2_S3_PiS3_S6_21rocsparse_index_base_, .Lfunc_end9-_ZN9rocsparseL26bsric0_2_8_unrolled_kernelILi64ELi32ELi8EfEEv20rocsparse_direction_iiPKiS3_PT2_S3_PiS3_S6_21rocsparse_index_base_
                                        ; -- End function
	.set _ZN9rocsparseL26bsric0_2_8_unrolled_kernelILi64ELi32ELi8EfEEv20rocsparse_direction_iiPKiS3_PT2_S3_PiS3_S6_21rocsparse_index_base_.num_vgpr, 42
	.set _ZN9rocsparseL26bsric0_2_8_unrolled_kernelILi64ELi32ELi8EfEEv20rocsparse_direction_iiPKiS3_PT2_S3_PiS3_S6_21rocsparse_index_base_.num_agpr, 0
	.set _ZN9rocsparseL26bsric0_2_8_unrolled_kernelILi64ELi32ELi8EfEEv20rocsparse_direction_iiPKiS3_PT2_S3_PiS3_S6_21rocsparse_index_base_.numbered_sgpr, 37
	.set _ZN9rocsparseL26bsric0_2_8_unrolled_kernelILi64ELi32ELi8EfEEv20rocsparse_direction_iiPKiS3_PT2_S3_PiS3_S6_21rocsparse_index_base_.num_named_barrier, 0
	.set _ZN9rocsparseL26bsric0_2_8_unrolled_kernelILi64ELi32ELi8EfEEv20rocsparse_direction_iiPKiS3_PT2_S3_PiS3_S6_21rocsparse_index_base_.private_seg_size, 0
	.set _ZN9rocsparseL26bsric0_2_8_unrolled_kernelILi64ELi32ELi8EfEEv20rocsparse_direction_iiPKiS3_PT2_S3_PiS3_S6_21rocsparse_index_base_.uses_vcc, 1
	.set _ZN9rocsparseL26bsric0_2_8_unrolled_kernelILi64ELi32ELi8EfEEv20rocsparse_direction_iiPKiS3_PT2_S3_PiS3_S6_21rocsparse_index_base_.uses_flat_scratch, 0
	.set _ZN9rocsparseL26bsric0_2_8_unrolled_kernelILi64ELi32ELi8EfEEv20rocsparse_direction_iiPKiS3_PT2_S3_PiS3_S6_21rocsparse_index_base_.has_dyn_sized_stack, 0
	.set _ZN9rocsparseL26bsric0_2_8_unrolled_kernelILi64ELi32ELi8EfEEv20rocsparse_direction_iiPKiS3_PT2_S3_PiS3_S6_21rocsparse_index_base_.has_recursion, 0
	.set _ZN9rocsparseL26bsric0_2_8_unrolled_kernelILi64ELi32ELi8EfEEv20rocsparse_direction_iiPKiS3_PT2_S3_PiS3_S6_21rocsparse_index_base_.has_indirect_call, 0
	.section	.AMDGPU.csdata,"",@progbits
; Kernel info:
; codeLenInByte = 10160
; TotalNumSgprs: 39
; NumVgprs: 42
; ScratchSize: 0
; MemoryBound: 0
; FloatMode: 240
; IeeeMode: 1
; LDSByteSize: 1536 bytes/workgroup (compile time only)
; SGPRBlocks: 0
; VGPRBlocks: 2
; NumSGPRsForWavesPerEU: 39
; NumVGPRsForWavesPerEU: 42
; NamedBarCnt: 0
; Occupancy: 16
; WaveLimiterHint : 1
; COMPUTE_PGM_RSRC2:SCRATCH_EN: 0
; COMPUTE_PGM_RSRC2:USER_SGPR: 2
; COMPUTE_PGM_RSRC2:TRAP_HANDLER: 0
; COMPUTE_PGM_RSRC2:TGID_X_EN: 1
; COMPUTE_PGM_RSRC2:TGID_Y_EN: 0
; COMPUTE_PGM_RSRC2:TGID_Z_EN: 0
; COMPUTE_PGM_RSRC2:TIDIG_COMP_CNT: 1
	.section	.text._ZN9rocsparseL18bsric0_9_16_kernelILi64ELi32ELi16EfEEv20rocsparse_direction_iiPKiS3_PT2_S3_PiS3_S6_21rocsparse_index_base_,"axG",@progbits,_ZN9rocsparseL18bsric0_9_16_kernelILi64ELi32ELi16EfEEv20rocsparse_direction_iiPKiS3_PT2_S3_PiS3_S6_21rocsparse_index_base_,comdat
	.globl	_ZN9rocsparseL18bsric0_9_16_kernelILi64ELi32ELi16EfEEv20rocsparse_direction_iiPKiS3_PT2_S3_PiS3_S6_21rocsparse_index_base_ ; -- Begin function _ZN9rocsparseL18bsric0_9_16_kernelILi64ELi32ELi16EfEEv20rocsparse_direction_iiPKiS3_PT2_S3_PiS3_S6_21rocsparse_index_base_
	.p2align	8
	.type	_ZN9rocsparseL18bsric0_9_16_kernelILi64ELi32ELi16EfEEv20rocsparse_direction_iiPKiS3_PT2_S3_PiS3_S6_21rocsparse_index_base_,@function
_ZN9rocsparseL18bsric0_9_16_kernelILi64ELi32ELi16EfEEv20rocsparse_direction_iiPKiS3_PT2_S3_PiS3_S6_21rocsparse_index_base_: ; @_ZN9rocsparseL18bsric0_9_16_kernelILi64ELi32ELi16EfEEv20rocsparse_direction_iiPKiS3_PT2_S3_PiS3_S6_21rocsparse_index_base_
; %bb.0:
	s_load_b256 s[8:15], s[0:1], 0x28
	s_bfe_u32 s2, ttmp6, 0x4000c
	s_and_b32 s3, ttmp6, 15
	s_add_co_i32 s2, s2, 1
	s_getreg_b32 s4, hwreg(HW_REG_IB_STS2, 6, 4)
	s_mul_i32 s2, ttmp9, s2
	v_and_b32_e32 v2, 0x3ff, v0
	s_add_co_i32 s3, s3, s2
	s_cmp_eq_u32 s4, 0
	v_bfe_u32 v3, v0, 10, 10
	s_cselect_b32 s2, ttmp9, s3
	s_wait_kmcnt 0x0
	s_load_b32 s12, s[12:13], s2 offset:0x0 scale_offset
	s_wait_kmcnt 0x0
	s_ashr_i32 s13, s12, 31
	s_delay_alu instid0(SALU_CYCLE_1) | instskip(NEXT) | instid1(SALU_CYCLE_1)
	s_lshl_b64 s[6:7], s[12:13], 2
	s_add_nc_u64 s[2:3], s[8:9], s[6:7]
	s_load_b32 s30, s[2:3], 0x0
	s_load_b32 s13, s[0:1], 0x48
	s_wait_kmcnt 0x0
	s_cmp_lg_u32 s30, -1
	s_cbranch_scc0 .LBB10_146
; %bb.1:
	s_clause 0x1
	s_load_b128 s[16:19], s[0:1], 0x10
	s_load_b64 s[20:21], s[0:1], 0x20
	v_dual_lshlrev_b32 v7, 2, v3 :: v_dual_lshlrev_b32 v4, 2, v2
	s_wait_kmcnt 0x0
	s_add_nc_u64 s[2:3], s[16:17], s[6:7]
	s_load_b32 s2, s[2:3], 0x0
	s_wait_kmcnt 0x0
	s_sub_co_i32 s33, s2, s13
	s_mov_b32 s2, exec_lo
	v_add3_u32 v0, v7, v2, s33
	s_delay_alu instid0(VALU_DEP_1)
	v_cmpx_ge_i32_e64 s30, v0
	s_cbranch_execz .LBB10_4
; %bb.2:
	v_dual_lshlrev_b32 v1, 4, v3 :: v_dual_lshlrev_b32 v5, 2, v2
	s_mov_b32 s3, 0
	s_delay_alu instid0(VALU_DEP_1)
	v_add3_u32 v1, v1, v5, 0x1200
.LBB10_3:                               ; =>This Inner Loop Header: Depth=1
	global_load_b32 v5, v0, s[18:19] scale_offset
	s_wait_xcnt 0x0
	v_add_nc_u32_e32 v0, 64, v0
	s_delay_alu instid0(VALU_DEP_1)
	v_cmp_lt_i32_e32 vcc_lo, s30, v0
	s_or_b32 s3, vcc_lo, s3
	s_wait_loadcnt 0x0
	v_subrev_nc_u32_e32 v5, s13, v5
	ds_store_b32 v1, v5
	v_add_nc_u32_e32 v1, 0x100, v1
	s_and_not1_b32 exec_lo, exec_lo, s3
	s_cbranch_execnz .LBB10_3
.LBB10_4:
	s_or_b32 exec_lo, exec_lo, s2
	v_mul_u32_u24_e32 v5, 0x44, v3
	s_mov_b32 s3, exec_lo
	v_cmpx_gt_u32_e32 16, v2
	s_cbranch_execz .LBB10_11
; %bb.5:
	v_sub_nc_u32_e64 v0, 12, v2 clamp
	s_mov_b32 s22, 0
	s_mov_b32 s4, 0
	v_dual_lshlrev_b32 v1, 2, v2 :: v_dual_mov_b32 v9, 0
	s_delay_alu instid0(VALU_DEP_2) | instskip(NEXT) | instid1(VALU_DEP_2)
	v_add_nc_u32_e32 v0, 3, v0
	v_add3_u32 v6, v5, v1, 0xcc0
	s_delay_alu instid0(VALU_DEP_2) | instskip(NEXT) | instid1(VALU_DEP_1)
	v_lshrrev_b32_e32 v0, 2, v0
	v_dual_mov_b32 v1, v0 :: v_dual_add_nc_u32 v8, 2, v0
	s_delay_alu instid0(VALU_DEP_1)
	v_and_b32_e32 v8, 14, v8
	s_branch .LBB10_7
.LBB10_6:                               ;   in Loop: Header=BB10_7 Depth=1
	s_or_b32 exec_lo, exec_lo, s2
	s_add_co_i32 s4, s4, 2
	v_add_nc_u32_e32 v6, 32, v6
	v_cmp_eq_u32_e32 vcc_lo, s4, v8
	s_or_b32 s22, vcc_lo, s22
	s_delay_alu instid0(SALU_CYCLE_1)
	s_and_not1_b32 exec_lo, exec_lo, s22
	s_cbranch_execz .LBB10_11
.LBB10_7:                               ; =>This Inner Loop Header: Depth=1
	s_mov_b32 s5, s4
	s_delay_alu instid0(SALU_CYCLE_1)
	s_or_b64 s[24:25], s[4:5], 0x100000000
	s_mov_b32 s5, exec_lo
	v_cmp_le_u32_e32 vcc_lo, s25, v1
	v_cmpx_le_u32_e64 s24, v0
; %bb.8:                                ;   in Loop: Header=BB10_7 Depth=1
	ds_store_b32 v6, v9
; %bb.9:                                ;   in Loop: Header=BB10_7 Depth=1
	s_or_b32 exec_lo, exec_lo, s5
	s_and_saveexec_b32 s2, vcc_lo
	s_cbranch_execz .LBB10_6
; %bb.10:                               ;   in Loop: Header=BB10_7 Depth=1
	ds_store_b32 v6, v9 offset:16
	s_branch .LBB10_6
.LBB10_11:
	s_or_b32 exec_lo, exec_lo, s3
	s_clause 0x1
	s_load_b32 s5, s[0:1], 0x8
	s_load_b32 s31, s[0:1], 0x0
	v_mul_u32_u24_e32 v6, 0x44, v2
	s_cmp_ge_i32 s33, s30
	s_wait_dscnt 0x0
	s_wait_kmcnt 0x0
	v_cmp_gt_i32_e64 s0, s5, v2
	v_xad_u32 v8, v2, -1, s5
	s_cbranch_scc1 .LBB10_100
; %bb.12:
	s_delay_alu instid0(VALU_DEP_1) | instskip(SKIP_3) | instid1(VALU_DEP_3)
	v_dual_lshrrev_b32 v0, 2, v8 :: v_dual_lshlrev_b32 v11, 2, v2
	v_mad_u32 v1, s5, s33, v3
	s_movk_i32 s2, 0x440
	v_mul_lo_u32 v12, s5, v3
	v_dual_add_nc_u32 v0, 1, v0 :: v_dual_bitop2_b32 v15, v2, v3 bitop3:0x54
	v_mad_u32_u24 v10, 0x44, v3, s2
	v_mul_lo_u32 v17, v2, s5
	v_mad_u32_u24 v14, 0x44, v3, v11
	s_delay_alu instid0(VALU_DEP_4)
	v_and_b32_e32 v13, 0x7ffffffc, v0
	v_cmp_ne_u32_e64 s2, 0, v15
	s_movk_i32 s22, 0x44
	v_mul_lo_u32 v20, s5, v1
	v_mad_u32_u24 v9, v3, s22, 0x880
	v_lshl_add_u32 v15, v13, 2, v2
	v_mad_u32_u24 v19, v2, s22, 0x880
	s_movk_i32 s22, 0xcc0
	s_cmp_lg_u32 s31, 0
	v_cmp_gt_i32_e64 s1, s5, v3
	v_mul_lo_u32 v22, 0x44, v15
	v_cmp_lt_u32_e64 s3, 11, v8
	v_cmp_ne_u32_e64 s4, v0, v13
	v_dual_mov_b32 v25, 0 :: v_dual_add_nc_u32 v16, 0x440, v14
	v_mul_u32_u24_e32 v18, 0x44, v2
	v_add_nc_u32_e32 v21, 0xcc0, v14
	v_mad_u32_u24 v23, 0x44, v3, s22
	v_add_nc_u32_e32 v24, 0x880, v14
	v_lshlrev_b32_e32 v26, 2, v15
	s_cselect_b32 s34, -1, 0
	s_cmp_gt_i32 s5, 0
	s_mul_i32 s36, s5, s5
	s_cselect_b32 s35, -1, 0
	s_lshl_b32 s37, s5, 2
	s_mov_b32 s22, s33
	s_branch .LBB10_14
.LBB10_13:                              ;   in Loop: Header=BB10_14 Depth=1
	s_or_b32 exec_lo, exec_lo, s24
	s_add_co_i32 s22, s22, 1
	v_add_nc_u32_e32 v20, s36, v20
	s_cmp_ge_i32 s22, s30
	global_wb scope:SCOPE_DEV
	s_wait_storecnt 0x0
	global_inv scope:SCOPE_DEV
	s_cselect_b32 s23, -1, 0
	s_delay_alu instid0(SALU_CYCLE_1)
	s_and_b32 vcc_lo, exec_lo, s23
	s_cbranch_vccnz .LBB10_100
.LBB10_14:                              ; =>This Loop Header: Depth=1
                                        ;     Child Loop BB10_18 Depth 2
                                        ;     Child Loop BB10_30 Depth 2
	;; [unrolled: 1-line block ×5, first 2 shown]
                                        ;       Child Loop BB10_60 Depth 3
                                        ;     Child Loop BB10_74 Depth 2
                                        ;       Child Loop BB10_79 Depth 3
                                        ;       Child Loop BB10_83 Depth 3
                                        ;       Child Loop BB10_89 Depth 3
                                        ;     Child Loop BB10_95 Depth 2
	s_ashr_i32 s23, s22, 31
	s_delay_alu instid0(SALU_CYCLE_1) | instskip(NEXT) | instid1(SALU_CYCLE_1)
	s_lshl_b64 s[24:25], s[22:23], 2
	s_add_nc_u64 s[24:25], s[18:19], s[24:25]
	s_load_b32 s38, s[24:25], 0x0
	s_wait_kmcnt 0x0
	s_sub_co_i32 s26, s38, s13
	s_delay_alu instid0(SALU_CYCLE_1) | instskip(SKIP_2) | instid1(SALU_CYCLE_1)
	s_ashr_i32 s27, s26, 31
	s_wait_xcnt 0x0
	s_lshl_b64 s[24:25], s[26:27], 2
	s_add_nc_u64 s[28:29], s[8:9], s[24:25]
	s_load_b32 s27, s[28:29], 0x0
	s_wait_kmcnt 0x0
	s_cmp_eq_u32 s27, -1
	s_cbranch_scc1 .LBB10_99
; %bb.15:                               ;   in Loop: Header=BB10_14 Depth=1
	s_wait_xcnt 0x0
	s_add_nc_u64 s[28:29], s[16:17], s[24:25]
	s_mul_i32 s23, s22, s5
	s_load_b32 s28, s[28:29], 0x0
	s_wait_xcnt 0x0
	s_and_saveexec_b32 s29, s0
	s_cbranch_execz .LBB10_28
; %bb.16:                               ;   in Loop: Header=BB10_14 Depth=1
	v_dual_mov_b32 v0, v16 :: v_dual_mov_b32 v1, v2
	s_mov_b32 s39, 0
	s_branch .LBB10_18
.LBB10_17:                              ;   in Loop: Header=BB10_18 Depth=2
	s_wait_xcnt 0x0
	s_or_b32 exec_lo, exec_lo, s41
	v_add_nc_u32_e32 v1, 4, v1
	s_wait_loadcnt 0x0
	ds_store_b32 v0, v28 offset:1088
	ds_store_b32 v0, v25
	v_add_nc_u32_e32 v0, 16, v0
	v_cmp_le_i32_e32 vcc_lo, s5, v1
	s_or_b32 s39, vcc_lo, s39
	s_delay_alu instid0(SALU_CYCLE_1)
	s_and_not1_b32 exec_lo, exec_lo, s39
	s_cbranch_execz .LBB10_28
.LBB10_18:                              ;   Parent Loop BB10_14 Depth=1
                                        ; =>  This Inner Loop Header: Depth=2
	s_and_b32 vcc_lo, exec_lo, s34
	s_cbranch_vccz .LBB10_25
; %bb.19:                               ;   in Loop: Header=BB10_18 Depth=2
	s_mov_b32 s41, 0
	s_mov_b32 s40, 0
                                        ; implicit-def: $vgpr27
	s_and_saveexec_b32 s42, s1
	s_delay_alu instid0(SALU_CYCLE_1)
	s_xor_b32 s42, exec_lo, s42
; %bb.20:                               ;   in Loop: Header=BB10_18 Depth=2
	v_add_nc_u32_e32 v27, s23, v1
	s_mov_b32 s40, exec_lo
	s_delay_alu instid0(VALU_DEP_1)
	v_mad_u32 v27, v27, s5, v3
; %bb.21:                               ;   in Loop: Header=BB10_18 Depth=2
	s_or_b32 exec_lo, exec_lo, s42
	s_delay_alu instid0(SALU_CYCLE_1)
	s_and_b32 vcc_lo, exec_lo, s41
	s_cbranch_vccz .LBB10_26
.LBB10_22:                              ;   in Loop: Header=BB10_18 Depth=2
                                        ; implicit-def: $vgpr27
	s_and_saveexec_b32 s41, s1
; %bb.23:                               ;   in Loop: Header=BB10_18 Depth=2
	v_add_nc_u32_e32 v27, v20, v1
	s_or_b32 s40, s40, exec_lo
; %bb.24:                               ;   in Loop: Header=BB10_18 Depth=2
	s_or_b32 exec_lo, exec_lo, s41
	v_mov_b32_e32 v28, 0
	s_and_saveexec_b32 s41, s40
	s_cbranch_execz .LBB10_17
	s_branch .LBB10_27
.LBB10_25:                              ;   in Loop: Header=BB10_18 Depth=2
	s_mov_b32 s40, 0
                                        ; implicit-def: $vgpr27
	s_cbranch_execnz .LBB10_22
.LBB10_26:                              ;   in Loop: Header=BB10_18 Depth=2
	v_mov_b32_e32 v28, 0
	s_and_saveexec_b32 s41, s40
	s_cbranch_execz .LBB10_17
.LBB10_27:                              ;   in Loop: Header=BB10_18 Depth=2
	global_load_b32 v28, v27, s[20:21] scale_offset
	s_branch .LBB10_17
.LBB10_28:                              ;   in Loop: Header=BB10_14 Depth=1
	s_or_b32 exec_lo, exec_lo, s29
	ds_load_b32 v0, v25 offset:4608
	s_wait_kmcnt 0x0
	s_sub_co_i32 s28, s28, s13
	s_delay_alu instid0(SALU_CYCLE_1) | instskip(SKIP_4) | instid1(SALU_CYCLE_1)
	s_cmp_le_i32 s28, s27
	s_cselect_b32 s29, -1, 0
	s_wait_dscnt 0x0
	v_cmp_ge_i32_e32 vcc_lo, s26, v0
	s_and_b32 s29, s29, vcc_lo
	s_and_not1_b32 vcc_lo, exec_lo, s29
	s_mov_b32 s29, 0
	s_cbranch_vccnz .LBB10_40
; %bb.29:                               ;   in Loop: Header=BB10_14 Depth=1
	s_mov_b32 s39, 0
	s_mov_b32 s40, 0
.LBB10_30:                              ;   Parent Loop BB10_14 Depth=1
                                        ; =>  This Inner Loop Header: Depth=2
	s_ashr_i32 s29, s28, 31
	s_lshl_b32 s41, s40, 2
	s_wait_xcnt 0x0
	s_lshl_b64 s[42:43], s[28:29], 2
	v_mov_b32_e32 v0, s41
	s_add_nc_u64 s[42:43], s[18:19], s[42:43]
	s_mov_b32 s44, -1
	s_load_b32 s29, s[42:43], 0x0
                                        ; implicit-def: $sgpr43
                                        ; implicit-def: $sgpr42
	ds_load_b32 v0, v0 offset:4608
	s_wait_kmcnt 0x0
	s_sub_co_i32 s45, s29, s13
                                        ; implicit-def: $sgpr29
	s_wait_dscnt 0x0
	v_readfirstlane_b32 s41, v0
	v_cmp_ge_i32_e32 vcc_lo, s45, v0
	s_cbranch_vccz .LBB10_36
; %bb.31:                               ;   in Loop: Header=BB10_30 Depth=2
	s_cmp_le_i32 s45, s41
                                        ; implicit-def: $sgpr29
                                        ; implicit-def: $sgpr43
                                        ; implicit-def: $sgpr42
	s_cbranch_scc0 .LBB10_33
; %bb.32:                               ;   in Loop: Header=BB10_30 Depth=2
	s_add_co_i32 s29, s40, s33
	s_wait_xcnt 0x0
	s_lshl_b32 s42, s39, 2
	s_mul_i32 s29, s29, s36
	s_mul_i32 s43, s28, s36
	s_delay_alu instid0(SALU_CYCLE_1)
	v_dual_mov_b32 v0, s29 :: v_dual_mov_b32 v1, s43
	v_add_nc_u32_e64 v27, 0x1000, s42
	s_add_co_i32 s42, s40, 1
	s_add_co_i32 s43, s28, 1
	;; [unrolled: 1-line block ×3, first 2 shown]
	s_mov_b32 s44, 0
	ds_store_2addr_b32 v27, v1, v0 offset0:64 offset1:96
.LBB10_33:                              ;   in Loop: Header=BB10_30 Depth=2
	s_and_not1_b32 vcc_lo, exec_lo, s44
	s_cbranch_vccnz .LBB10_35
; %bb.34:                               ;   in Loop: Header=BB10_30 Depth=2
	s_wait_xcnt 0x0
	s_add_co_i32 s42, s40, 1
	s_mov_b32 s29, s39
	s_mov_b32 s43, s28
.LBB10_35:                              ;   in Loop: Header=BB10_30 Depth=2
	s_mov_b32 s44, 0
.LBB10_36:                              ;   in Loop: Header=BB10_30 Depth=2
	s_delay_alu instid0(SALU_CYCLE_1)
	s_and_not1_b32 vcc_lo, exec_lo, s44
	s_cbranch_vccnz .LBB10_38
; %bb.37:                               ;   in Loop: Header=BB10_30 Depth=2
	s_wait_xcnt 0x0
	s_add_co_i32 s43, s28, 1
	s_mov_b32 s42, s40
	s_mov_b32 s29, s39
.LBB10_38:                              ;   in Loop: Header=BB10_30 Depth=2
	s_cmp_le_i32 s43, s27
	s_cselect_b32 s28, -1, 0
	s_cmp_le_i32 s41, s26
	s_cselect_b32 s39, -1, 0
	s_delay_alu instid0(SALU_CYCLE_1) | instskip(NEXT) | instid1(SALU_CYCLE_1)
	s_and_b32 s28, s28, s39
	s_and_b32 vcc_lo, exec_lo, s28
	s_cbranch_vccz .LBB10_40
; %bb.39:                               ;   in Loop: Header=BB10_30 Depth=2
	s_mov_b32 s39, s29
	s_mov_b32 s28, s43
	;; [unrolled: 1-line block ×3, first 2 shown]
	s_branch .LBB10_30
.LBB10_40:                              ;   in Loop: Header=BB10_14 Depth=1
	s_add_nc_u64 s[24:25], s[10:11], s[24:25]
	s_wait_dscnt 0x0
.LBB10_41:                              ;   Parent Loop BB10_14 Depth=1
                                        ; =>  This Inner Loop Header: Depth=2
	global_load_b32 v0, v25, s[24:25] scope:SCOPE_DEV
	s_wait_loadcnt 0x0
	v_cmp_eq_u32_e32 vcc_lo, 0, v0
	s_cbranch_vccnz .LBB10_41
; %bb.42:                               ;   in Loop: Header=BB10_14 Depth=1
	global_inv scope:SCOPE_DEV
	s_wait_xcnt 0x0
	s_and_saveexec_b32 s24, s0
	s_cbranch_execz .LBB10_55
; %bb.43:                               ;   in Loop: Header=BB10_14 Depth=1
	s_mul_i32 s27, s27, s5
	s_delay_alu instid0(SALU_CYCLE_1) | instskip(SKIP_2) | instid1(VALU_DEP_2)
	v_dual_mov_b32 v27, v2 :: v_dual_add_nc_u32 v0, s27, v3
	v_mov_b32_e32 v1, v14
	s_mov_b32 s25, 0
	v_mul_lo_u32 v0, v0, s5
	s_branch .LBB10_45
.LBB10_44:                              ;   in Loop: Header=BB10_45 Depth=2
	s_wait_xcnt 0x0
	s_or_b32 exec_lo, exec_lo, s28
	v_add_nc_u32_e32 v27, 4, v27
	s_wait_loadcnt 0x0
	ds_store_b32 v1, v29
	v_add_nc_u32_e32 v1, 16, v1
	v_cmp_le_i32_e32 vcc_lo, s5, v27
	s_or_b32 s25, vcc_lo, s25
	s_delay_alu instid0(SALU_CYCLE_1)
	s_and_not1_b32 exec_lo, exec_lo, s25
	s_cbranch_execz .LBB10_55
.LBB10_45:                              ;   Parent Loop BB10_14 Depth=1
                                        ; =>  This Inner Loop Header: Depth=2
	s_and_b32 vcc_lo, exec_lo, s34
	s_cbranch_vccz .LBB10_52
; %bb.46:                               ;   in Loop: Header=BB10_45 Depth=2
	s_mov_b32 s28, 0
	s_mov_b32 s26, 0
                                        ; implicit-def: $vgpr28
	s_and_saveexec_b32 s39, s1
	s_delay_alu instid0(SALU_CYCLE_1)
	s_xor_b32 s39, exec_lo, s39
; %bb.47:                               ;   in Loop: Header=BB10_45 Depth=2
	v_add_nc_u32_e32 v28, s27, v27
	s_mov_b32 s26, exec_lo
	s_delay_alu instid0(VALU_DEP_1)
	v_mad_u32 v28, v28, s5, v3
; %bb.48:                               ;   in Loop: Header=BB10_45 Depth=2
	s_or_b32 exec_lo, exec_lo, s39
	s_delay_alu instid0(SALU_CYCLE_1)
	s_and_b32 vcc_lo, exec_lo, s28
	s_cbranch_vccz .LBB10_53
.LBB10_49:                              ;   in Loop: Header=BB10_45 Depth=2
                                        ; implicit-def: $vgpr28
	s_and_saveexec_b32 s28, s1
; %bb.50:                               ;   in Loop: Header=BB10_45 Depth=2
	s_delay_alu instid0(VALU_DEP_1)
	v_add_nc_u32_e32 v28, v0, v27
	s_or_b32 s26, s26, exec_lo
; %bb.51:                               ;   in Loop: Header=BB10_45 Depth=2
	s_or_b32 exec_lo, exec_lo, s28
	v_mov_b32_e32 v29, 0
	s_and_saveexec_b32 s28, s26
	s_cbranch_execz .LBB10_44
	s_branch .LBB10_54
.LBB10_52:                              ;   in Loop: Header=BB10_45 Depth=2
	s_mov_b32 s26, 0
                                        ; implicit-def: $vgpr28
	s_cbranch_execnz .LBB10_49
.LBB10_53:                              ;   in Loop: Header=BB10_45 Depth=2
	v_mov_b32_e32 v29, 0
	s_and_saveexec_b32 s28, s26
	s_cbranch_execz .LBB10_44
.LBB10_54:                              ;   in Loop: Header=BB10_45 Depth=2
	global_load_b32 v29, v28, s[20:21] scale_offset
	s_branch .LBB10_44
.LBB10_55:                              ;   in Loop: Header=BB10_14 Depth=1
	s_or_b32 exec_lo, exec_lo, s24
	s_cmp_lt_i32 s29, 2
	s_cbranch_scc1 .LBB10_71
; %bb.56:                               ;   in Loop: Header=BB10_14 Depth=1
	s_add_co_i32 s24, s29, -2
	s_mov_b32 s25, 0
	s_branch .LBB10_58
.LBB10_57:                              ;   in Loop: Header=BB10_58 Depth=2
	s_or_b32 exec_lo, exec_lo, s26
	s_add_co_i32 s26, s25, 1
	s_cmp_eq_u32 s25, s24
	s_mov_b32 s25, s26
	s_cbranch_scc1 .LBB10_71
.LBB10_58:                              ;   Parent Loop BB10_14 Depth=1
                                        ; =>  This Loop Header: Depth=2
                                        ;       Child Loop BB10_60 Depth 3
	s_and_saveexec_b32 s26, s0
	s_cbranch_execz .LBB10_57
; %bb.59:                               ;   in Loop: Header=BB10_58 Depth=2
	s_lshl_b32 s27, s25, 2
	s_delay_alu instid0(SALU_CYCLE_1)
	v_add_nc_u32_e64 v0, 0x1000, s27
	s_mov_b32 s27, 0
	ds_load_2addr_b32 v[28:29], v0 offset0:64 offset1:96
	s_wait_dscnt 0x0
	v_dual_add_nc_u32 v0, v29, v12 :: v_dual_add_nc_u32 v1, v3, v29
	v_dual_add_nc_u32 v27, v2, v28 :: v_dual_add_nc_u32 v28, v17, v28
	v_mov_b32_e32 v29, v2
.LBB10_60:                              ;   Parent Loop BB10_14 Depth=1
                                        ;     Parent Loop BB10_58 Depth=2
                                        ; =>    This Inner Loop Header: Depth=3
	s_delay_alu instid0(VALU_DEP_2) | instskip(NEXT) | instid1(VALU_DEP_4)
	v_dual_mov_b32 v32, 0 :: v_dual_mov_b32 v30, v27
	v_mov_b32_e32 v31, v1
	s_mov_b32 s28, 0
	s_and_b32 vcc_lo, exec_lo, s34
	s_cbranch_vccnz .LBB10_63
	s_branch .LBB10_62
.LBB10_61:                              ;   in Loop: Header=BB10_60 Depth=3
	v_mov_b32_e32 v32, v33
	s_and_b32 vcc_lo, exec_lo, s34
	s_cbranch_vccnz .LBB10_63
.LBB10_62:                              ;   in Loop: Header=BB10_60 Depth=3
                                        ; implicit-def: $vgpr33
	s_cbranch_execz .LBB10_69
	s_branch .LBB10_66
.LBB10_63:                              ;   in Loop: Header=BB10_60 Depth=3
	global_load_b32 v33, v30, s[20:21] scale_offset
	v_mov_b32_e32 v34, 0
	s_wait_xcnt 0x0
	s_and_saveexec_b32 s29, s1
	s_cbranch_execz .LBB10_65
; %bb.64:                               ;   in Loop: Header=BB10_60 Depth=3
	global_load_b32 v34, v31, s[20:21] scale_offset
.LBB10_65:                              ;   in Loop: Header=BB10_60 Depth=3
	s_wait_xcnt 0x0
	s_or_b32 exec_lo, exec_lo, s29
	s_wait_loadcnt 0x0
	v_fma_f32 v33, v33, v34, v32
	s_branch .LBB10_69
.LBB10_66:                              ;   in Loop: Header=BB10_60 Depth=3
	v_dual_mov_b32 v34, 0 :: v_dual_add_nc_u32 v33, s28, v28
	global_load_b32 v33, v33, s[20:21] scale_offset
	s_wait_xcnt 0x0
	s_and_saveexec_b32 s29, s1
	s_cbranch_execz .LBB10_68
; %bb.67:                               ;   in Loop: Header=BB10_60 Depth=3
	v_add_nc_u32_e32 v34, s28, v0
	global_load_b32 v34, v34, s[20:21] scale_offset
.LBB10_68:                              ;   in Loop: Header=BB10_60 Depth=3
	s_wait_xcnt 0x0
	s_or_b32 exec_lo, exec_lo, s29
	s_wait_loadcnt 0x0
	v_fmac_f32_e32 v32, v33, v34
	s_delay_alu instid0(VALU_DEP_1)
	v_mov_b32_e32 v33, v32
.LBB10_69:                              ;   in Loop: Header=BB10_60 Depth=3
	v_dual_add_nc_u32 v31, s5, v31 :: v_dual_add_nc_u32 v30, s5, v30
	s_add_co_i32 s28, s28, 1
	s_delay_alu instid0(SALU_CYCLE_1)
	s_cmp_eq_u32 s5, s28
	s_cbranch_scc0 .LBB10_61
; %bb.70:                               ;   in Loop: Header=BB10_60 Depth=3
	v_lshl_add_u32 v30, v29, 2, v10
	v_dual_add_nc_u32 v27, 4, v27 :: v_dual_add_nc_u32 v28, s37, v28
	ds_load_b32 v31, v30
	s_wait_dscnt 0x0
	v_dual_add_nc_u32 v29, 4, v29 :: v_dual_add_f32 v31, v33, v31
	s_delay_alu instid0(VALU_DEP_1) | instskip(SKIP_2) | instid1(SALU_CYCLE_1)
	v_cmp_le_i32_e32 vcc_lo, s5, v29
	ds_store_b32 v30, v31
	s_or_b32 s27, vcc_lo, s27
	s_and_not1_b32 exec_lo, exec_lo, s27
	s_cbranch_execnz .LBB10_60
	s_branch .LBB10_57
.LBB10_71:                              ;   in Loop: Header=BB10_14 Depth=1
	s_and_not1_b32 vcc_lo, exec_lo, s35
	s_wait_loadcnt_dscnt 0x0
	s_cbranch_vccnz .LBB10_90
; %bb.72:                               ;   in Loop: Header=BB10_14 Depth=1
	v_mov_b32_e32 v27, v19
	s_mov_b32 s24, 0
	s_movk_i32 s25, 0x880
	s_mov_b32 s26, 0
	s_branch .LBB10_74
.LBB10_73:                              ;   in Loop: Header=BB10_74 Depth=2
	s_or_b32 exec_lo, exec_lo, s27
	v_add_nc_u32_e32 v27, 4, v27
	s_add_co_i32 s26, s26, 1
	s_addk_co_i32 s24, 0x44
	s_add_co_i32 s25, s25, 4
	s_cmp_eq_u32 s26, s5
	s_wait_dscnt 0x0
	s_cbranch_scc1 .LBB10_90
.LBB10_74:                              ;   Parent Loop BB10_14 Depth=1
                                        ; =>  This Loop Header: Depth=2
                                        ;       Child Loop BB10_79 Depth 3
                                        ;       Child Loop BB10_83 Depth 3
	;; [unrolled: 1-line block ×3, first 2 shown]
	s_lshl_b32 s27, s26, 2
	s_mul_i32 s28, s26, 0x44
	v_add_nc_u32_e32 v1, s27, v9
	s_add_co_i32 s28, s28, s27
	s_delay_alu instid0(SALU_CYCLE_1)
	v_mov_b32_e32 v0, s28
	ds_load_b32 v28, v0
	ds_load_b32 v0, v1
	s_wait_dscnt 0x1
	v_readfirstlane_b32 s27, v28
	s_cmp_neq_f32 s27, 0
	s_cselect_b32 vcc_lo, -1, 0
	v_cndmask_b32_e32 v28, 1.0, v28, vcc_lo
	s_nor_b32 s28, vcc_lo, s2
	s_delay_alu instid0(SALU_CYCLE_1)
	s_and_saveexec_b32 s27, s28
	s_cbranch_execz .LBB10_78
; %bb.75:                               ;   in Loop: Header=BB10_74 Depth=2
	v_mbcnt_lo_u32_b32 v28, exec_lo, 0
	s_mov_b32 s28, exec_lo
	s_delay_alu instid0(VALU_DEP_1)
	v_cmpx_eq_u32_e32 0, v28
	s_cbranch_execz .LBB10_77
; %bb.76:                               ;   in Loop: Header=BB10_74 Depth=2
	v_mov_b32_e32 v28, s38
	global_atomic_min_i32 v25, v28, s[14:15] scope:SCOPE_DEV
.LBB10_77:                              ;   in Loop: Header=BB10_74 Depth=2
	s_wait_xcnt 0x0
	s_or_b32 exec_lo, exec_lo, s28
	v_mov_b32_e32 v28, 1.0
.LBB10_78:                              ;   in Loop: Header=BB10_74 Depth=2
	s_or_b32 exec_lo, exec_lo, s27
	v_lshl_add_u32 v29, s26, 2, v10
	v_mov_b32_e32 v30, v9
	s_cmp_eq_u32 s26, 0
	s_mov_b32 s27, s24
	s_mov_b32 s28, s26
	ds_load_b32 v29, v29
	s_cbranch_scc1 .LBB10_80
.LBB10_79:                              ;   Parent Loop BB10_14 Depth=1
                                        ;     Parent Loop BB10_74 Depth=2
                                        ; =>    This Inner Loop Header: Depth=3
	v_mov_b32_e32 v31, s27
	s_add_co_i32 s28, s28, -1
	s_add_co_i32 s27, s27, 4
	s_cmp_eq_u32 s28, 0
	ds_load_b32 v32, v30
	ds_load_b32 v31, v31
	s_wait_dscnt 0x0
	v_dual_fmac_f32 v29, v31, v32 :: v_dual_add_nc_u32 v30, 4, v30
	s_cbranch_scc0 .LBB10_79
.LBB10_80:                              ;   in Loop: Header=BB10_74 Depth=2
	s_wait_dscnt 0x0
	s_delay_alu instid0(VALU_DEP_1) | instskip(NEXT) | instid1(VALU_DEP_1)
	v_sub_f32_e32 v0, v0, v29
	v_div_scale_f32 v29, null, v28, v28, v0
	s_delay_alu instid0(VALU_DEP_1) | instskip(SKIP_1) | instid1(TRANS32_DEP_1)
	v_rcp_f32_e32 v30, v29
	v_nop
	v_fma_f32 v31, -v29, v30, 1.0
	s_delay_alu instid0(VALU_DEP_1) | instskip(SKIP_1) | instid1(VALU_DEP_1)
	v_fmac_f32_e32 v30, v31, v30
	v_div_scale_f32 v32, vcc_lo, v0, v28, v0
	v_mul_f32_e32 v31, v32, v30
	s_delay_alu instid0(VALU_DEP_1) | instskip(NEXT) | instid1(VALU_DEP_1)
	v_fma_f32 v33, -v29, v31, v32
	v_fmac_f32_e32 v31, v33, v30
	s_delay_alu instid0(VALU_DEP_1) | instskip(NEXT) | instid1(VALU_DEP_1)
	v_fma_f32 v29, -v29, v31, v32
	v_div_fmas_f32 v29, v29, v30, v31
	s_delay_alu instid0(VALU_DEP_1)
	v_div_fixup_f32 v0, v29, v28, v0
	ds_store_b32 v1, v0
	s_wait_storecnt_dscnt 0x0
	s_and_saveexec_b32 s27, s0
	s_cbranch_execz .LBB10_73
; %bb.81:                               ;   in Loop: Header=BB10_74 Depth=2
	v_dual_mov_b32 v1, v2 :: v_dual_mov_b32 v28, v11
	v_mov_b32_e32 v29, v18
	s_mov_b32 s29, -1
	s_and_saveexec_b32 s28, s3
	s_cbranch_execz .LBB10_87
; %bb.82:                               ;   in Loop: Header=BB10_74 Depth=2
	v_dual_mov_b32 v1, v0 :: v_dual_mov_b32 v28, v13
	v_dual_mov_b32 v29, v21 :: v_dual_mov_b32 v30, v27
	s_mov_b32 s29, 0
.LBB10_83:                              ;   Parent Loop BB10_14 Depth=1
                                        ;     Parent Loop BB10_74 Depth=2
                                        ; =>    This Inner Loop Header: Depth=3
	ds_load_2addr_b32 v[32:33], v30 offset1:68
	ds_load_2addr_b32 v[34:35], v30 offset0:136 offset1:204
	ds_load_2addr_b32 v[36:37], v29 offset1:4
	ds_load_2addr_b32 v[38:39], v29 offset0:8 offset1:12
	v_add_nc_u32_e32 v28, -4, v28
	v_add_nc_u32_e32 v30, 0x440, v30
	s_wait_dscnt 0x1
	v_pk_fma_f32 v[32:33], v[0:1], v[32:33], v[36:37]
	s_wait_dscnt 0x0
	v_pk_fma_f32 v[34:35], v[0:1], v[34:35], v[38:39]
	ds_store_2addr_b32 v29, v32, v33 offset1:4
	ds_store_2addr_b32 v29, v34, v35 offset0:8 offset1:12
	v_add_nc_u32_e32 v29, 64, v29
	v_cmp_eq_u32_e32 vcc_lo, 0, v28
	s_or_b32 s29, vcc_lo, s29
	s_delay_alu instid0(SALU_CYCLE_1)
	s_and_not1_b32 exec_lo, exec_lo, s29
	s_cbranch_execnz .LBB10_83
; %bb.84:                               ;   in Loop: Header=BB10_74 Depth=2
	s_or_b32 exec_lo, exec_lo, s29
	s_mov_b32 s29, 0
	s_and_saveexec_b32 s39, s4
; %bb.85:                               ;   in Loop: Header=BB10_74 Depth=2
	s_mov_b32 s29, exec_lo
; %bb.86:                               ;   in Loop: Header=BB10_74 Depth=2
	s_or_b32 exec_lo, exec_lo, s39
	v_dual_mov_b32 v1, v15 :: v_dual_mov_b32 v28, v26
	v_mov_b32_e32 v29, v22
	s_or_not1_b32 s29, s29, exec_lo
.LBB10_87:                              ;   in Loop: Header=BB10_74 Depth=2
	s_or_b32 exec_lo, exec_lo, s28
	s_delay_alu instid0(SALU_CYCLE_1)
	s_and_b32 exec_lo, exec_lo, s29
	s_cbranch_execz .LBB10_73
; %bb.88:                               ;   in Loop: Header=BB10_74 Depth=2
	v_dual_add_nc_u32 v28, v23, v28 :: v_dual_add_nc_u32 v29, s25, v29
	s_mov_b32 s28, 0
.LBB10_89:                              ;   Parent Loop BB10_14 Depth=1
                                        ;     Parent Loop BB10_74 Depth=2
                                        ; =>    This Inner Loop Header: Depth=3
	ds_load_b32 v30, v29
	ds_load_b32 v31, v28
	v_add_nc_u32_e32 v1, 4, v1
	v_add_nc_u32_e32 v29, 0x110, v29
	s_wait_dscnt 0x0
	v_fmac_f32_e32 v31, v0, v30
	s_delay_alu instid0(VALU_DEP_3) | instskip(SKIP_3) | instid1(SALU_CYCLE_1)
	v_cmp_le_i32_e32 vcc_lo, s5, v1
	ds_store_b32 v28, v31
	v_add_nc_u32_e32 v28, 16, v28
	s_or_b32 s28, vcc_lo, s28
	s_and_not1_b32 exec_lo, exec_lo, s28
	s_cbranch_execnz .LBB10_89
	s_branch .LBB10_73
.LBB10_90:                              ;   in Loop: Header=BB10_14 Depth=1
	s_and_saveexec_b32 s24, s0
	s_cbranch_execz .LBB10_13
; %bb.91:                               ;   in Loop: Header=BB10_14 Depth=1
	v_dual_mov_b32 v0, v24 :: v_dual_mov_b32 v1, v2
	s_mov_b32 s25, 0
	s_branch .LBB10_95
.LBB10_92:                              ;   in Loop: Header=BB10_95 Depth=2
	v_add_nc_u32_e32 v28, v20, v1
.LBB10_93:                              ;   in Loop: Header=BB10_95 Depth=2
	s_wait_dscnt 0x0
	global_store_b32 v28, v27, s[20:21] scale_offset
.LBB10_94:                              ;   in Loop: Header=BB10_95 Depth=2
	s_wait_xcnt 0x0
	s_or_b32 exec_lo, exec_lo, s26
	v_dual_add_nc_u32 v1, 4, v1 :: v_dual_add_nc_u32 v0, 16, v0
	s_delay_alu instid0(VALU_DEP_1) | instskip(SKIP_1) | instid1(SALU_CYCLE_1)
	v_cmp_le_i32_e32 vcc_lo, s5, v1
	s_or_b32 s25, vcc_lo, s25
	s_and_not1_b32 exec_lo, exec_lo, s25
	s_cbranch_execz .LBB10_13
.LBB10_95:                              ;   Parent Loop BB10_14 Depth=1
                                        ; =>  This Inner Loop Header: Depth=2
	s_and_saveexec_b32 s26, s1
	s_cbranch_execz .LBB10_94
; %bb.96:                               ;   in Loop: Header=BB10_95 Depth=2
	ds_load_b32 v27, v0
	s_and_b32 vcc_lo, exec_lo, s34
	s_cbranch_vccz .LBB10_98
; %bb.97:                               ;   in Loop: Header=BB10_95 Depth=2
	v_add_nc_u32_e32 v28, s23, v1
	s_delay_alu instid0(VALU_DEP_1)
	v_mad_u32 v28, v28, s5, v3
	s_cbranch_execnz .LBB10_93
	s_branch .LBB10_92
.LBB10_98:                              ;   in Loop: Header=BB10_95 Depth=2
                                        ; implicit-def: $vgpr28
	s_branch .LBB10_92
.LBB10_99:                              ;   in Loop: Header=BB10_14 Depth=1
                                        ; implicit-def: $sgpr22
                                        ; implicit-def: $vgpr20
	s_cbranch_execz .LBB10_14
.LBB10_100:
	v_cmp_gt_i32_e64 s0, s5, v2
	s_and_saveexec_b32 s2, s0
	s_cbranch_execz .LBB10_113
; %bb.101:
	s_mul_i32 s3, s30, s5
	v_cmp_gt_i32_e64 s1, s5, v3
	v_dual_add_nc_u32 v0, s3, v3 :: v_dual_lshlrev_b32 v1, 2, v2
	v_mov_b32_e32 v9, v2
	s_cmp_lg_u32 s31, 0
	s_mov_b32 s4, 0
	s_delay_alu instid0(VALU_DEP_2)
	v_mul_lo_u32 v0, v0, s5
	v_add3_u32 v1, v5, v1, 0x880
	s_cselect_b32 s8, -1, 0
	s_branch .LBB10_103
.LBB10_102:                             ;   in Loop: Header=BB10_103 Depth=1
	s_wait_xcnt 0x0
	s_or_b32 exec_lo, exec_lo, s16
	v_add_nc_u32_e32 v9, 4, v9
	s_wait_loadcnt 0x0
	ds_store_b32 v1, v11
	v_add_nc_u32_e32 v1, 16, v1
	v_cmp_le_i32_e32 vcc_lo, s5, v9
	s_or_b32 s4, vcc_lo, s4
	s_delay_alu instid0(SALU_CYCLE_1)
	s_and_not1_b32 exec_lo, exec_lo, s4
	s_cbranch_execz .LBB10_113
.LBB10_103:                             ; =>This Inner Loop Header: Depth=1
	s_and_b32 vcc_lo, exec_lo, s8
	s_cbranch_vccz .LBB10_110
; %bb.104:                              ;   in Loop: Header=BB10_103 Depth=1
	s_mov_b32 s16, 0
	s_mov_b32 s9, 0
                                        ; implicit-def: $vgpr10
	s_and_saveexec_b32 s17, s1
	s_delay_alu instid0(SALU_CYCLE_1)
	s_xor_b32 s17, exec_lo, s17
; %bb.105:                              ;   in Loop: Header=BB10_103 Depth=1
	v_add_nc_u32_e32 v10, s3, v9
	s_mov_b32 s9, exec_lo
	s_delay_alu instid0(VALU_DEP_1)
	v_mad_u32 v10, v10, s5, v3
; %bb.106:                              ;   in Loop: Header=BB10_103 Depth=1
	s_or_b32 exec_lo, exec_lo, s17
	s_delay_alu instid0(SALU_CYCLE_1)
	s_and_b32 vcc_lo, exec_lo, s16
	s_cbranch_vccz .LBB10_111
.LBB10_107:                             ;   in Loop: Header=BB10_103 Depth=1
                                        ; implicit-def: $vgpr10
	s_and_saveexec_b32 s16, s1
; %bb.108:                              ;   in Loop: Header=BB10_103 Depth=1
	s_delay_alu instid0(VALU_DEP_2)
	v_add_nc_u32_e32 v10, v0, v9
	s_or_b32 s9, s9, exec_lo
; %bb.109:                              ;   in Loop: Header=BB10_103 Depth=1
	s_or_b32 exec_lo, exec_lo, s16
	v_mov_b32_e32 v11, 0
	s_and_saveexec_b32 s16, s9
	s_cbranch_execz .LBB10_102
	s_branch .LBB10_112
.LBB10_110:                             ;   in Loop: Header=BB10_103 Depth=1
	s_mov_b32 s9, 0
                                        ; implicit-def: $vgpr10
	s_cbranch_execnz .LBB10_107
.LBB10_111:                             ;   in Loop: Header=BB10_103 Depth=1
	v_mov_b32_e32 v11, 0
	s_and_saveexec_b32 s16, s9
	s_cbranch_execz .LBB10_102
.LBB10_112:                             ;   in Loop: Header=BB10_103 Depth=1
	global_load_b32 v11, v10, s[20:21] scale_offset
	s_branch .LBB10_102
.LBB10_113:
	s_or_b32 exec_lo, exec_lo, s2
	s_cmp_lt_i32 s5, 1
	s_wait_loadcnt_dscnt 0x0
	s_cbranch_scc1 .LBB10_133
; %bb.114:
	v_dual_lshrrev_b32 v0, 2, v8 :: v_dual_bitop2_b32 v1, v2, v3 bitop3:0x54
	s_movk_i32 s4, 0x44
	s_movk_i32 s1, 0xcc0
	v_mad_u32_u24 v10, v3, s4, 0x880
	s_delay_alu instid0(VALU_DEP_2)
	v_add_nc_u32_e32 v0, 1, v0
	v_mad_u32_u24 v11, 0x44, v3, s1
	v_cmp_ne_u32_e64 s1, 0, v1
	v_cmp_lt_u32_e64 s2, 11, v8
	v_add_nc_u32_e32 v13, v10, v7
	v_and_b32_e32 v9, 0x7ffffffc, v0
	v_dual_mov_b32 v16, 0 :: v_dual_add_nc_u32 v7, v11, v7
	v_mad_u32_u24 v8, v2, s4, 0x880
	v_add3_u32 v15, v5, v4, 0xcc0
	s_delay_alu instid0(VALU_DEP_4)
	v_lshl_add_u32 v12, v9, 2, v2
	v_cmp_ne_u32_e64 s3, v0, v9
	s_movk_i32 s8, 0x880
	s_mov_b32 s9, 0
	s_add_co_i32 s16, s12, s13
	v_mul_lo_u32 v14, 0x44, v12
	v_lshlrev_b32_e32 v17, 2, v12
	s_branch .LBB10_116
.LBB10_115:                             ;   in Loop: Header=BB10_116 Depth=1
	s_or_b32 exec_lo, exec_lo, s4
	v_add_nc_u32_e32 v8, 4, v8
	s_add_co_i32 s9, s9, 1
	s_add_co_i32 s8, s8, 4
	s_cmp_eq_u32 s9, s5
	s_wait_storecnt_dscnt 0x0
	s_cbranch_scc1 .LBB10_133
.LBB10_116:                             ; =>This Loop Header: Depth=1
                                        ;     Child Loop BB10_126 Depth 2
                                        ;     Child Loop BB10_132 Depth 2
	s_mov_b32 s17, exec_lo
	v_cmpx_eq_u32_e64 s9, v3
	s_cbranch_execz .LBB10_118
; %bb.117:                              ;   in Loop: Header=BB10_116 Depth=1
	ds_load_b32 v0, v13
	ds_load_b32 v1, v7
	s_wait_dscnt 0x0
	v_sub_f32_e32 v0, v0, v1
	s_delay_alu instid0(VALU_DEP_1) | instskip(SKIP_1) | instid1(VALU_DEP_1)
	v_cmp_gt_f32_e32 vcc_lo, 0, v0
	v_cndmask_b32_e64 v0, v0, -v0, vcc_lo
	v_mul_f32_e32 v1, 0x4f800000, v0
	v_cmp_gt_f32_e32 vcc_lo, 0xf800000, v0
	s_delay_alu instid0(VALU_DEP_2) | instskip(NEXT) | instid1(VALU_DEP_1)
	v_cndmask_b32_e32 v0, v0, v1, vcc_lo
	v_sqrt_f32_e32 v1, v0
	v_nop
	s_delay_alu instid0(TRANS32_DEP_1) | instskip(NEXT) | instid1(VALU_DEP_1)
	v_dual_add_nc_u32 v18, -1, v1 :: v_dual_add_nc_u32 v19, 1, v1
	v_dual_fma_f32 v20, -v18, v1, v0 :: v_dual_fma_f32 v21, -v19, v1, v0
	s_delay_alu instid0(VALU_DEP_1) | instskip(NEXT) | instid1(VALU_DEP_1)
	v_cmp_ge_f32_e64 s4, 0, v20
	v_cndmask_b32_e64 v1, v1, v18, s4
	s_delay_alu instid0(VALU_DEP_3) | instskip(NEXT) | instid1(VALU_DEP_1)
	v_cmp_lt_f32_e64 s4, 0, v21
	v_cndmask_b32_e64 v1, v1, v19, s4
	s_delay_alu instid0(VALU_DEP_1) | instskip(NEXT) | instid1(VALU_DEP_1)
	v_mul_f32_e32 v18, 0x37800000, v1
	v_cndmask_b32_e32 v1, v1, v18, vcc_lo
	v_cmp_class_f32_e64 vcc_lo, v0, 0x260
	s_delay_alu instid0(VALU_DEP_2)
	v_cndmask_b32_e32 v0, v1, v0, vcc_lo
	ds_store_b32 v13, v0
.LBB10_118:                             ;   in Loop: Header=BB10_116 Depth=1
	s_or_b32 exec_lo, exec_lo, s17
	s_lshl_b32 s4, s9, 2
	s_mul_i32 s17, s9, 0x44
	s_wait_dscnt 0x0
	s_add_co_i32 s17, s17, s4
	s_delay_alu instid0(SALU_CYCLE_1)
	v_dual_mov_b32 v0, s17 :: v_dual_add_nc_u32 v1, s4, v10
	ds_load_b32 v18, v0 offset:2176
	ds_load_b32 v0, v1
	s_wait_dscnt 0x1
	v_readfirstlane_b32 s4, v18
	s_cmp_neq_f32 s4, 0
	s_cselect_b32 vcc_lo, -1, 0
	v_cndmask_b32_e32 v18, 1.0, v18, vcc_lo
	s_nor_b32 s17, vcc_lo, s1
	s_delay_alu instid0(SALU_CYCLE_1)
	s_and_saveexec_b32 s4, s17
	s_cbranch_execz .LBB10_122
; %bb.119:                              ;   in Loop: Header=BB10_116 Depth=1
	v_mbcnt_lo_u32_b32 v18, exec_lo, 0
	s_mov_b32 s17, exec_lo
	s_delay_alu instid0(VALU_DEP_1)
	v_cmpx_eq_u32_e32 0, v18
	s_cbranch_execz .LBB10_121
; %bb.120:                              ;   in Loop: Header=BB10_116 Depth=1
	v_mov_b32_e32 v18, s16
	global_atomic_min_i32 v16, v18, s[14:15] scope:SCOPE_DEV
.LBB10_121:                             ;   in Loop: Header=BB10_116 Depth=1
	s_wait_xcnt 0x0
	s_or_b32 exec_lo, exec_lo, s17
	v_mov_b32_e32 v18, 1.0
.LBB10_122:                             ;   in Loop: Header=BB10_116 Depth=1
	s_or_b32 exec_lo, exec_lo, s4
	s_delay_alu instid0(SALU_CYCLE_1)
	s_mov_b32 s4, exec_lo
	v_cmpx_lt_u32_e64 s9, v3
	s_cbranch_execz .LBB10_115
; %bb.123:                              ;   in Loop: Header=BB10_116 Depth=1
	v_lshl_add_u32 v19, s9, 2, v11
	ds_load_b32 v19, v19
	s_wait_dscnt 0x0
	v_sub_f32_e32 v0, v0, v19
	s_delay_alu instid0(VALU_DEP_1) | instskip(NEXT) | instid1(VALU_DEP_1)
	v_div_scale_f32 v19, null, v18, v18, v0
	v_rcp_f32_e32 v20, v19
	v_nop
	s_delay_alu instid0(TRANS32_DEP_1) | instskip(NEXT) | instid1(VALU_DEP_1)
	v_fma_f32 v21, -v19, v20, 1.0
	v_fmac_f32_e32 v20, v21, v20
	v_div_scale_f32 v22, vcc_lo, v0, v18, v0
	s_delay_alu instid0(VALU_DEP_1) | instskip(NEXT) | instid1(VALU_DEP_1)
	v_mul_f32_e32 v21, v22, v20
	v_fma_f32 v23, -v19, v21, v22
	s_delay_alu instid0(VALU_DEP_1) | instskip(NEXT) | instid1(VALU_DEP_1)
	v_fmac_f32_e32 v21, v23, v20
	v_fma_f32 v19, -v19, v21, v22
	s_delay_alu instid0(VALU_DEP_1) | instskip(NEXT) | instid1(VALU_DEP_1)
	v_div_fmas_f32 v19, v19, v20, v21
	v_div_fixup_f32 v0, v19, v18, v0
	ds_store_b32 v1, v0
	s_wait_storecnt_dscnt 0x0
	s_and_b32 exec_lo, exec_lo, s0
	s_cbranch_execz .LBB10_115
; %bb.124:                              ;   in Loop: Header=BB10_116 Depth=1
	v_dual_mov_b32 v1, v2 :: v_dual_mov_b32 v18, v4
	v_mov_b32_e32 v19, v6
	s_mov_b32 s18, -1
	s_and_saveexec_b32 s17, s2
	s_cbranch_execz .LBB10_130
; %bb.125:                              ;   in Loop: Header=BB10_116 Depth=1
	v_dual_mov_b32 v1, v0 :: v_dual_mov_b32 v18, v9
	v_dual_mov_b32 v19, v15 :: v_dual_mov_b32 v20, v8
	s_mov_b32 s18, 0
.LBB10_126:                             ;   Parent Loop BB10_116 Depth=1
                                        ; =>  This Inner Loop Header: Depth=2
	ds_load_2addr_b32 v[22:23], v20 offset1:68
	ds_load_2addr_b32 v[24:25], v20 offset0:136 offset1:204
	ds_load_2addr_b32 v[26:27], v19 offset1:4
	ds_load_2addr_b32 v[28:29], v19 offset0:8 offset1:12
	v_add_nc_u32_e32 v18, -4, v18
	v_add_nc_u32_e32 v20, 0x440, v20
	s_wait_dscnt 0x1
	v_pk_fma_f32 v[22:23], v[0:1], v[22:23], v[26:27]
	s_wait_dscnt 0x0
	v_pk_fma_f32 v[24:25], v[0:1], v[24:25], v[28:29]
	ds_store_2addr_b32 v19, v22, v23 offset1:4
	ds_store_2addr_b32 v19, v24, v25 offset0:8 offset1:12
	v_add_nc_u32_e32 v19, 64, v19
	v_cmp_eq_u32_e32 vcc_lo, 0, v18
	s_or_b32 s18, vcc_lo, s18
	s_delay_alu instid0(SALU_CYCLE_1)
	s_and_not1_b32 exec_lo, exec_lo, s18
	s_cbranch_execnz .LBB10_126
; %bb.127:                              ;   in Loop: Header=BB10_116 Depth=1
	s_or_b32 exec_lo, exec_lo, s18
	s_mov_b32 s18, 0
	s_and_saveexec_b32 s19, s3
; %bb.128:                              ;   in Loop: Header=BB10_116 Depth=1
	s_mov_b32 s18, exec_lo
; %bb.129:                              ;   in Loop: Header=BB10_116 Depth=1
	s_or_b32 exec_lo, exec_lo, s19
	v_dual_mov_b32 v1, v12 :: v_dual_mov_b32 v18, v17
	v_mov_b32_e32 v19, v14
	s_or_not1_b32 s18, s18, exec_lo
.LBB10_130:                             ;   in Loop: Header=BB10_116 Depth=1
	s_or_b32 exec_lo, exec_lo, s17
	s_delay_alu instid0(SALU_CYCLE_1)
	s_and_b32 exec_lo, exec_lo, s18
	s_cbranch_execz .LBB10_115
; %bb.131:                              ;   in Loop: Header=BB10_116 Depth=1
	v_dual_add_nc_u32 v18, v11, v18 :: v_dual_add_nc_u32 v19, s8, v19
	s_mov_b32 s17, 0
.LBB10_132:                             ;   Parent Loop BB10_116 Depth=1
                                        ; =>  This Inner Loop Header: Depth=2
	ds_load_b32 v20, v19
	ds_load_b32 v21, v18
	v_add_nc_u32_e32 v1, 4, v1
	v_add_nc_u32_e32 v19, 0x110, v19
	s_wait_dscnt 0x0
	v_fmac_f32_e32 v21, v0, v20
	s_delay_alu instid0(VALU_DEP_3) | instskip(SKIP_3) | instid1(SALU_CYCLE_1)
	v_cmp_le_i32_e32 vcc_lo, s5, v1
	ds_store_b32 v18, v21
	v_add_nc_u32_e32 v18, 16, v18
	s_or_b32 s17, vcc_lo, s17
	s_and_not1_b32 exec_lo, exec_lo, s17
	s_cbranch_execnz .LBB10_132
	s_branch .LBB10_115
.LBB10_133:
	s_and_saveexec_b32 s1, s0
	s_cbranch_execz .LBB10_142
; %bb.134:
	s_mul_i32 s30, s30, s5
	v_add3_u32 v1, v5, v4, 0x880
	v_dual_add_nc_u32 v0, s30, v3 :: v_dual_mov_b32 v4, v2
	v_cmp_gt_i32_e64 s0, s5, v3
	s_cmp_lg_u32 s31, 0
	s_mov_b32 s2, 0
	v_mul_lo_u32 v0, v0, s5
	s_cselect_b32 s3, -1, 0
	s_branch .LBB10_138
.LBB10_135:                             ;   in Loop: Header=BB10_138 Depth=1
	v_add_nc_u32_e32 v6, v0, v4
.LBB10_136:                             ;   in Loop: Header=BB10_138 Depth=1
	s_wait_dscnt 0x0
	global_store_b32 v6, v5, s[20:21] scale_offset
.LBB10_137:                             ;   in Loop: Header=BB10_138 Depth=1
	s_wait_xcnt 0x0
	s_or_b32 exec_lo, exec_lo, s4
	v_dual_add_nc_u32 v4, 4, v4 :: v_dual_add_nc_u32 v1, 16, v1
	s_delay_alu instid0(VALU_DEP_1) | instskip(SKIP_1) | instid1(SALU_CYCLE_1)
	v_cmp_le_i32_e32 vcc_lo, s5, v4
	s_or_b32 s2, vcc_lo, s2
	s_and_not1_b32 exec_lo, exec_lo, s2
	s_cbranch_execz .LBB10_142
.LBB10_138:                             ; =>This Inner Loop Header: Depth=1
	s_and_saveexec_b32 s4, s0
	s_cbranch_execz .LBB10_137
; %bb.139:                              ;   in Loop: Header=BB10_138 Depth=1
	ds_load_b32 v5, v1
	s_and_b32 vcc_lo, exec_lo, s3
	s_cbranch_vccz .LBB10_141
; %bb.140:                              ;   in Loop: Header=BB10_138 Depth=1
	v_add_nc_u32_e32 v6, s30, v4
	s_delay_alu instid0(VALU_DEP_1)
	v_mad_u32 v6, v6, s5, v3
	s_cbranch_execnz .LBB10_136
	s_branch .LBB10_135
.LBB10_141:                             ;   in Loop: Header=BB10_138 Depth=1
                                        ; implicit-def: $vgpr6
	s_branch .LBB10_135
.LBB10_142:
	s_or_b32 exec_lo, exec_lo, s1
	v_or_b32_e32 v0, v2, v3
	s_mov_b32 s0, 0
	s_mov_b32 s1, exec_lo
	s_delay_alu instid0(VALU_DEP_1)
	v_cmpx_eq_u32_e32 0, v0
	s_cbranch_execz .LBB10_144
; %bb.143:
	v_dual_mov_b32 v0, 0 :: v_dual_mov_b32 v1, 1
	s_add_nc_u64 s[2:3], s[10:11], s[6:7]
	global_wb scope:SCOPE_DEV
	s_wait_storecnt 0x0
	global_store_b32 v0, v1, s[2:3] scope:SCOPE_DEV
.LBB10_144:
	s_wait_xcnt 0x0
	s_or_b32 exec_lo, exec_lo, s1
	s_delay_alu instid0(SALU_CYCLE_1)
	s_and_b32 vcc_lo, exec_lo, s0
	s_cbranch_vccnz .LBB10_147
.LBB10_145:
	s_endpgm
.LBB10_146:
	s_cbranch_execz .LBB10_145
.LBB10_147:
	v_or_b32_e32 v0, v2, v3
	s_mov_b32 s0, exec_lo
	s_delay_alu instid0(VALU_DEP_1)
	v_cmpx_eq_u32_e32 0, v0
	s_cbranch_execz .LBB10_145
; %bb.148:
	v_mbcnt_lo_u32_b32 v0, exec_lo, 0
	s_mov_b32 s0, exec_lo
	s_delay_alu instid0(VALU_DEP_1)
	v_cmpx_eq_u32_e32 0, v0
	s_cbranch_execz .LBB10_150
; %bb.149:
	s_add_co_i32 s1, s12, s13
	s_delay_alu instid0(SALU_CYCLE_1)
	v_dual_mov_b32 v0, 0 :: v_dual_mov_b32 v1, s1
	global_atomic_min_i32 v0, v1, s[14:15] scope:SCOPE_DEV
.LBB10_150:
	s_wait_xcnt 0x0
	s_or_b32 exec_lo, exec_lo, s0
	v_dual_mov_b32 v0, 0 :: v_dual_mov_b32 v1, 1
	s_add_nc_u64 s[0:1], s[10:11], s[6:7]
	global_wb scope:SCOPE_DEV
	s_wait_storecnt 0x0
	global_store_b32 v0, v1, s[0:1] scope:SCOPE_DEV
	s_endpgm
	.section	.rodata,"a",@progbits
	.p2align	6, 0x0
	.amdhsa_kernel _ZN9rocsparseL18bsric0_9_16_kernelILi64ELi32ELi16EfEEv20rocsparse_direction_iiPKiS3_PT2_S3_PiS3_S6_21rocsparse_index_base_
		.amdhsa_group_segment_fixed_size 4736
		.amdhsa_private_segment_fixed_size 0
		.amdhsa_kernarg_size 76
		.amdhsa_user_sgpr_count 2
		.amdhsa_user_sgpr_dispatch_ptr 0
		.amdhsa_user_sgpr_queue_ptr 0
		.amdhsa_user_sgpr_kernarg_segment_ptr 1
		.amdhsa_user_sgpr_dispatch_id 0
		.amdhsa_user_sgpr_kernarg_preload_length 0
		.amdhsa_user_sgpr_kernarg_preload_offset 0
		.amdhsa_user_sgpr_private_segment_size 0
		.amdhsa_wavefront_size32 1
		.amdhsa_uses_dynamic_stack 0
		.amdhsa_enable_private_segment 0
		.amdhsa_system_sgpr_workgroup_id_x 1
		.amdhsa_system_sgpr_workgroup_id_y 0
		.amdhsa_system_sgpr_workgroup_id_z 0
		.amdhsa_system_sgpr_workgroup_info 0
		.amdhsa_system_vgpr_workitem_id 1
		.amdhsa_next_free_vgpr 40
		.amdhsa_next_free_sgpr 46
		.amdhsa_named_barrier_count 0
		.amdhsa_reserve_vcc 1
		.amdhsa_float_round_mode_32 0
		.amdhsa_float_round_mode_16_64 0
		.amdhsa_float_denorm_mode_32 3
		.amdhsa_float_denorm_mode_16_64 3
		.amdhsa_fp16_overflow 0
		.amdhsa_memory_ordered 1
		.amdhsa_forward_progress 1
		.amdhsa_inst_pref_size 37
		.amdhsa_round_robin_scheduling 0
		.amdhsa_exception_fp_ieee_invalid_op 0
		.amdhsa_exception_fp_denorm_src 0
		.amdhsa_exception_fp_ieee_div_zero 0
		.amdhsa_exception_fp_ieee_overflow 0
		.amdhsa_exception_fp_ieee_underflow 0
		.amdhsa_exception_fp_ieee_inexact 0
		.amdhsa_exception_int_div_zero 0
	.end_amdhsa_kernel
	.section	.text._ZN9rocsparseL18bsric0_9_16_kernelILi64ELi32ELi16EfEEv20rocsparse_direction_iiPKiS3_PT2_S3_PiS3_S6_21rocsparse_index_base_,"axG",@progbits,_ZN9rocsparseL18bsric0_9_16_kernelILi64ELi32ELi16EfEEv20rocsparse_direction_iiPKiS3_PT2_S3_PiS3_S6_21rocsparse_index_base_,comdat
.Lfunc_end10:
	.size	_ZN9rocsparseL18bsric0_9_16_kernelILi64ELi32ELi16EfEEv20rocsparse_direction_iiPKiS3_PT2_S3_PiS3_S6_21rocsparse_index_base_, .Lfunc_end10-_ZN9rocsparseL18bsric0_9_16_kernelILi64ELi32ELi16EfEEv20rocsparse_direction_iiPKiS3_PT2_S3_PiS3_S6_21rocsparse_index_base_
                                        ; -- End function
	.set _ZN9rocsparseL18bsric0_9_16_kernelILi64ELi32ELi16EfEEv20rocsparse_direction_iiPKiS3_PT2_S3_PiS3_S6_21rocsparse_index_base_.num_vgpr, 40
	.set _ZN9rocsparseL18bsric0_9_16_kernelILi64ELi32ELi16EfEEv20rocsparse_direction_iiPKiS3_PT2_S3_PiS3_S6_21rocsparse_index_base_.num_agpr, 0
	.set _ZN9rocsparseL18bsric0_9_16_kernelILi64ELi32ELi16EfEEv20rocsparse_direction_iiPKiS3_PT2_S3_PiS3_S6_21rocsparse_index_base_.numbered_sgpr, 46
	.set _ZN9rocsparseL18bsric0_9_16_kernelILi64ELi32ELi16EfEEv20rocsparse_direction_iiPKiS3_PT2_S3_PiS3_S6_21rocsparse_index_base_.num_named_barrier, 0
	.set _ZN9rocsparseL18bsric0_9_16_kernelILi64ELi32ELi16EfEEv20rocsparse_direction_iiPKiS3_PT2_S3_PiS3_S6_21rocsparse_index_base_.private_seg_size, 0
	.set _ZN9rocsparseL18bsric0_9_16_kernelILi64ELi32ELi16EfEEv20rocsparse_direction_iiPKiS3_PT2_S3_PiS3_S6_21rocsparse_index_base_.uses_vcc, 1
	.set _ZN9rocsparseL18bsric0_9_16_kernelILi64ELi32ELi16EfEEv20rocsparse_direction_iiPKiS3_PT2_S3_PiS3_S6_21rocsparse_index_base_.uses_flat_scratch, 0
	.set _ZN9rocsparseL18bsric0_9_16_kernelILi64ELi32ELi16EfEEv20rocsparse_direction_iiPKiS3_PT2_S3_PiS3_S6_21rocsparse_index_base_.has_dyn_sized_stack, 0
	.set _ZN9rocsparseL18bsric0_9_16_kernelILi64ELi32ELi16EfEEv20rocsparse_direction_iiPKiS3_PT2_S3_PiS3_S6_21rocsparse_index_base_.has_recursion, 0
	.set _ZN9rocsparseL18bsric0_9_16_kernelILi64ELi32ELi16EfEEv20rocsparse_direction_iiPKiS3_PT2_S3_PiS3_S6_21rocsparse_index_base_.has_indirect_call, 0
	.section	.AMDGPU.csdata,"",@progbits
; Kernel info:
; codeLenInByte = 4716
; TotalNumSgprs: 48
; NumVgprs: 40
; ScratchSize: 0
; MemoryBound: 0
; FloatMode: 240
; IeeeMode: 1
; LDSByteSize: 4736 bytes/workgroup (compile time only)
; SGPRBlocks: 0
; VGPRBlocks: 2
; NumSGPRsForWavesPerEU: 48
; NumVGPRsForWavesPerEU: 40
; NamedBarCnt: 0
; Occupancy: 16
; WaveLimiterHint : 1
; COMPUTE_PGM_RSRC2:SCRATCH_EN: 0
; COMPUTE_PGM_RSRC2:USER_SGPR: 2
; COMPUTE_PGM_RSRC2:TRAP_HANDLER: 0
; COMPUTE_PGM_RSRC2:TGID_X_EN: 1
; COMPUTE_PGM_RSRC2:TGID_Y_EN: 0
; COMPUTE_PGM_RSRC2:TGID_Z_EN: 0
; COMPUTE_PGM_RSRC2:TIDIG_COMP_CNT: 1
	.section	.text._ZN9rocsparseL19bsric0_17_32_kernelILi64ELi32ELi32EfEEv20rocsparse_direction_iiPKiS3_PT2_S3_PiS3_S6_21rocsparse_index_base_,"axG",@progbits,_ZN9rocsparseL19bsric0_17_32_kernelILi64ELi32ELi32EfEEv20rocsparse_direction_iiPKiS3_PT2_S3_PiS3_S6_21rocsparse_index_base_,comdat
	.globl	_ZN9rocsparseL19bsric0_17_32_kernelILi64ELi32ELi32EfEEv20rocsparse_direction_iiPKiS3_PT2_S3_PiS3_S6_21rocsparse_index_base_ ; -- Begin function _ZN9rocsparseL19bsric0_17_32_kernelILi64ELi32ELi32EfEEv20rocsparse_direction_iiPKiS3_PT2_S3_PiS3_S6_21rocsparse_index_base_
	.p2align	8
	.type	_ZN9rocsparseL19bsric0_17_32_kernelILi64ELi32ELi32EfEEv20rocsparse_direction_iiPKiS3_PT2_S3_PiS3_S6_21rocsparse_index_base_,@function
_ZN9rocsparseL19bsric0_17_32_kernelILi64ELi32ELi32EfEEv20rocsparse_direction_iiPKiS3_PT2_S3_PiS3_S6_21rocsparse_index_base_: ; @_ZN9rocsparseL19bsric0_17_32_kernelILi64ELi32ELi32EfEEv20rocsparse_direction_iiPKiS3_PT2_S3_PiS3_S6_21rocsparse_index_base_
; %bb.0:
	s_load_b256 s[8:15], s[0:1], 0x28
	s_bfe_u32 s2, ttmp6, 0x4000c
	s_and_b32 s3, ttmp6, 15
	s_add_co_i32 s2, s2, 1
	s_getreg_b32 s4, hwreg(HW_REG_IB_STS2, 6, 4)
	s_mul_i32 s2, ttmp9, s2
	v_and_b32_e32 v2, 0x3ff, v0
	s_add_co_i32 s3, s3, s2
	s_cmp_eq_u32 s4, 0
	v_bfe_u32 v3, v0, 10, 10
	s_cselect_b32 s2, ttmp9, s3
	s_wait_kmcnt 0x0
	s_load_b32 s12, s[12:13], s2 offset:0x0 scale_offset
	s_wait_kmcnt 0x0
	s_ashr_i32 s13, s12, 31
	s_delay_alu instid0(SALU_CYCLE_1) | instskip(NEXT) | instid1(SALU_CYCLE_1)
	s_lshl_b64 s[6:7], s[12:13], 2
	s_add_nc_u64 s[2:3], s[8:9], s[6:7]
	s_load_b32 s13, s[2:3], 0x0
	s_load_b32 s5, s[0:1], 0x48
	s_wait_kmcnt 0x0
	s_cmp_lg_u32 s13, -1
	s_cbranch_scc0 .LBB11_132
; %bb.1:
	s_clause 0x1
	s_load_b128 s[16:19], s[0:1], 0x10
	s_load_b64 s[20:21], s[0:1], 0x20
	v_dual_lshlrev_b32 v0, 1, v3 :: v_dual_lshlrev_b32 v4, 2, v2
	s_wait_kmcnt 0x0
	s_add_nc_u64 s[2:3], s[16:17], s[6:7]
	s_load_b32 s2, s[2:3], 0x0
	s_wait_kmcnt 0x0
	s_sub_co_i32 s33, s2, s5
	s_mov_b32 s2, exec_lo
	v_add3_u32 v0, v0, v2, s33
	s_delay_alu instid0(VALU_DEP_1)
	v_cmpx_ge_i32_e64 s13, v0
	s_cbranch_execz .LBB11_4
; %bb.2:
	v_dual_lshlrev_b32 v1, 3, v3 :: v_dual_lshlrev_b32 v5, 2, v2
	s_mov_b32 s3, 0
	s_delay_alu instid0(VALU_DEP_1)
	v_add3_u32 v1, v1, v5, 0x3280
.LBB11_3:                               ; =>This Inner Loop Header: Depth=1
	global_load_b32 v5, v0, s[18:19] scale_offset
	s_wait_xcnt 0x0
	v_add_nc_u32_e32 v0, 64, v0
	s_delay_alu instid0(VALU_DEP_1)
	v_cmp_lt_i32_e32 vcc_lo, s13, v0
	s_or_b32 s3, vcc_lo, s3
	s_wait_loadcnt 0x0
	v_subrev_nc_u32_e32 v5, s5, v5
	ds_store_b32 v1, v5
	v_add_nc_u32_e32 v1, 0x100, v1
	s_and_not1_b32 exec_lo, exec_lo, s3
	s_cbranch_execnz .LBB11_3
.LBB11_4:
	s_or_b32 exec_lo, exec_lo, s2
	v_mul_u32_u24_e32 v5, 0x84, v3
	s_mov_b32 s2, exec_lo
	v_cmpx_gt_u32_e32 32, v2
	s_cbranch_execz .LBB11_7
; %bb.5:
	v_dual_lshlrev_b32 v1, 2, v2 :: v_dual_add_nc_u32 v0, -2, v2
	v_mov_b32_e32 v6, 0
	s_mov_b32 s3, 0
	s_delay_alu instid0(VALU_DEP_2)
	v_add3_u32 v1, v5, v1, 0x2100
.LBB11_6:                               ; =>This Inner Loop Header: Depth=1
	s_delay_alu instid0(VALU_DEP_3) | instskip(SKIP_4) | instid1(SALU_CYCLE_1)
	v_add_nc_u32_e32 v0, 2, v0
	ds_store_b32 v1, v6
	v_add_nc_u32_e32 v1, 8, v1
	v_cmp_lt_u32_e32 vcc_lo, 29, v0
	s_or_b32 s3, vcc_lo, s3
	s_and_not1_b32 exec_lo, exec_lo, s3
	s_cbranch_execnz .LBB11_6
.LBB11_7:
	s_or_b32 exec_lo, exec_lo, s2
	s_clause 0x1
	s_load_b32 s30, s[0:1], 0x8
	s_load_b32 s31, s[0:1], 0x0
	v_mul_u32_u24_e32 v6, 0x84, v2
	s_cmp_ge_i32 s33, s13
	s_wait_dscnt 0x0
	s_wait_kmcnt 0x0
	v_cmp_gt_i32_e64 s0, s30, v2
	v_xad_u32 v7, v2, -1, s30
	s_cbranch_scc1 .LBB11_86
; %bb.8:
	s_delay_alu instid0(VALU_DEP_1) | instskip(SKIP_3) | instid1(VALU_DEP_4)
	v_dual_lshrrev_b32 v0, 1, v7 :: v_dual_lshlrev_b32 v11, 2, v2
	v_mad_u32 v1, s30, s33, v3
	v_mul_lo_u32 v9, s30, v3
	v_mul_lo_u32 v14, v2, s30
	v_dual_add_nc_u32 v0, 1, v0 :: v_dual_bitop2_b32 v12, v2, v3 bitop3:0x54
	v_mad_u32_u24 v13, 0x84, v3, v11
	s_movk_i32 s22, 0x1080
	s_cmp_eq_u32 s31, 0
	s_delay_alu instid0(VALU_DEP_2) | instskip(SKIP_3) | instid1(VALU_DEP_4)
	v_dual_mov_b32 v22, 0 :: v_dual_bitop2_b32 v10, -4, v0 bitop3:0x40
	v_cmp_ne_u32_e64 s2, 0, v12
	v_mul_lo_u32 v17, s30, v1
	v_mad_u32_u24 v8, 0x84, v3, s22
	v_lshl_add_u32 v12, v10, 1, v2
	v_mad_u32_u24 v16, 0x84, v2, s22
	s_movk_i32 s22, 0x2100
	s_cselect_b32 s34, -1, 0
	s_cmp_lg_u32 s31, 0
	v_mul_lo_u32 v20, 0x84, v12
	v_cmp_gt_i32_e64 s1, s30, v3
	v_cmp_lt_u32_e64 s3, 5, v7
	v_cmp_ne_u32_e64 s4, v0, v10
	v_mul_u32_u24_e32 v15, 0x84, v2
	v_add_nc_u32_e32 v18, 0x2100, v13
	v_mad_u32_u24 v19, 0x84, v3, s22
	v_add_nc_u32_e32 v21, 0x1080, v13
	v_lshlrev_b32_e32 v23, 2, v12
	s_cselect_b32 s35, -1, 0
	s_cmp_gt_i32 s30, 0
	s_mul_i32 s37, s30, s30
	s_cselect_b32 s36, -1, 0
	s_lshl_b32 s38, s30, 1
	s_mov_b32 s22, s33
	s_branch .LBB11_10
.LBB11_9:                               ;   in Loop: Header=BB11_10 Depth=1
	s_or_b32 exec_lo, exec_lo, s24
	s_add_co_i32 s22, s22, 1
	v_add_nc_u32_e32 v17, s37, v17
	s_cmp_ge_i32 s22, s13
	global_wb scope:SCOPE_DEV
	s_wait_storecnt 0x0
	global_inv scope:SCOPE_DEV
	s_cselect_b32 s23, -1, 0
	s_delay_alu instid0(SALU_CYCLE_1)
	s_and_b32 vcc_lo, exec_lo, s23
	s_cbranch_vccnz .LBB11_86
.LBB11_10:                              ; =>This Loop Header: Depth=1
                                        ;     Child Loop BB11_14 Depth 2
                                        ;     Child Loop BB11_26 Depth 2
	;; [unrolled: 1-line block ×4, first 2 shown]
                                        ;       Child Loop BB11_43 Depth 3
                                        ;         Child Loop BB11_48 Depth 4
                                        ;     Child Loop BB11_57 Depth 2
                                        ;       Child Loop BB11_64 Depth 3
                                        ;       Child Loop BB11_69 Depth 3
	;; [unrolled: 1-line block ×3, first 2 shown]
                                        ;     Child Loop BB11_80 Depth 2
	s_ashr_i32 s23, s22, 31
	s_delay_alu instid0(SALU_CYCLE_1) | instskip(NEXT) | instid1(SALU_CYCLE_1)
	s_lshl_b64 s[24:25], s[22:23], 2
	s_add_nc_u64 s[24:25], s[18:19], s[24:25]
	s_load_b32 s39, s[24:25], 0x0
	s_wait_kmcnt 0x0
	s_sub_co_i32 s26, s39, s5
	s_delay_alu instid0(SALU_CYCLE_1) | instskip(SKIP_2) | instid1(SALU_CYCLE_1)
	s_ashr_i32 s27, s26, 31
	s_wait_xcnt 0x0
	s_lshl_b64 s[24:25], s[26:27], 2
	s_add_nc_u64 s[28:29], s[8:9], s[24:25]
	s_load_b32 s27, s[28:29], 0x0
	s_wait_kmcnt 0x0
	s_cmp_eq_u32 s27, -1
	s_cbranch_scc1 .LBB11_85
; %bb.11:                               ;   in Loop: Header=BB11_10 Depth=1
	s_wait_xcnt 0x0
	s_add_nc_u64 s[28:29], s[16:17], s[24:25]
	s_mul_i32 s23, s22, s30
	s_load_b32 s28, s[28:29], 0x0
	s_wait_xcnt 0x0
	s_and_saveexec_b32 s29, s0
	s_cbranch_execz .LBB11_24
; %bb.12:                               ;   in Loop: Header=BB11_10 Depth=1
	v_dual_mov_b32 v0, v13 :: v_dual_mov_b32 v1, v2
	s_mov_b32 s40, 0
	s_branch .LBB11_14
.LBB11_13:                              ;   in Loop: Header=BB11_14 Depth=2
	s_wait_xcnt 0x0
	s_or_b32 exec_lo, exec_lo, s42
	v_add_nc_u32_e32 v1, 2, v1
	s_wait_loadcnt 0x0
	ds_store_b32 v0, v25 offset:4224
	ds_store_b32 v0, v22
	v_add_nc_u32_e32 v0, 8, v0
	v_cmp_le_i32_e32 vcc_lo, s30, v1
	s_or_b32 s40, vcc_lo, s40
	s_delay_alu instid0(SALU_CYCLE_1)
	s_and_not1_b32 exec_lo, exec_lo, s40
	s_cbranch_execz .LBB11_24
.LBB11_14:                              ;   Parent Loop BB11_10 Depth=1
                                        ; =>  This Inner Loop Header: Depth=2
	s_mov_b32 s42, -1
	s_and_b32 vcc_lo, exec_lo, s35
	s_mov_b32 s41, 0
                                        ; implicit-def: $vgpr24
	s_cbranch_vccz .LBB11_19
; %bb.15:                               ;   in Loop: Header=BB11_14 Depth=2
	s_mov_b32 s42, 0
                                        ; implicit-def: $vgpr24
	s_and_saveexec_b32 s43, s1
	s_delay_alu instid0(SALU_CYCLE_1)
	s_xor_b32 s43, exec_lo, s43
; %bb.16:                               ;   in Loop: Header=BB11_14 Depth=2
	v_add_nc_u32_e32 v24, s23, v1
	s_mov_b32 s41, exec_lo
	s_delay_alu instid0(VALU_DEP_1)
	v_mad_u32 v24, v24, s30, v3
; %bb.17:                               ;   in Loop: Header=BB11_14 Depth=2
	s_or_b32 exec_lo, exec_lo, s43
	s_delay_alu instid0(SALU_CYCLE_1)
	s_and_b32 vcc_lo, exec_lo, s42
	s_cbranch_vccnz .LBB11_20
.LBB11_18:                              ;   in Loop: Header=BB11_14 Depth=2
	v_mov_b32_e32 v25, 0
	s_and_saveexec_b32 s42, s41
	s_cbranch_execz .LBB11_13
	s_branch .LBB11_23
.LBB11_19:                              ;   in Loop: Header=BB11_14 Depth=2
	s_and_b32 vcc_lo, exec_lo, s42
	s_cbranch_vccz .LBB11_18
.LBB11_20:                              ;   in Loop: Header=BB11_14 Depth=2
                                        ; implicit-def: $vgpr24
	s_and_saveexec_b32 s42, s1
; %bb.21:                               ;   in Loop: Header=BB11_14 Depth=2
	v_add_nc_u32_e32 v24, v17, v1
	s_or_b32 s41, s41, exec_lo
; %bb.22:                               ;   in Loop: Header=BB11_14 Depth=2
	s_or_b32 exec_lo, exec_lo, s42
	v_mov_b32_e32 v25, 0
	s_and_saveexec_b32 s42, s41
	s_cbranch_execz .LBB11_13
.LBB11_23:                              ;   in Loop: Header=BB11_14 Depth=2
	global_load_b32 v25, v24, s[20:21] scale_offset
	s_branch .LBB11_13
.LBB11_24:                              ;   in Loop: Header=BB11_10 Depth=1
	s_or_b32 exec_lo, exec_lo, s29
	ds_load_b32 v0, v22 offset:12928
	s_wait_kmcnt 0x0
	s_sub_co_i32 s28, s28, s5
	s_delay_alu instid0(SALU_CYCLE_1) | instskip(SKIP_4) | instid1(SALU_CYCLE_1)
	s_cmp_le_i32 s28, s27
	s_cselect_b32 s29, -1, 0
	s_wait_dscnt 0x0
	v_cmp_ge_i32_e32 vcc_lo, s26, v0
	s_and_b32 s29, s29, vcc_lo
	s_and_not1_b32 vcc_lo, exec_lo, s29
	s_mov_b32 s29, 0
	s_cbranch_vccnz .LBB11_36
; %bb.25:                               ;   in Loop: Header=BB11_10 Depth=1
	s_mov_b32 s40, 0
	s_mov_b32 s41, 0
.LBB11_26:                              ;   Parent Loop BB11_10 Depth=1
                                        ; =>  This Inner Loop Header: Depth=2
	s_ashr_i32 s29, s28, 31
	s_lshl_b32 s44, s41, 2
	s_lshl_b64 s[42:43], s[28:29], 2
	v_mov_b32_e32 v0, s44
	s_add_nc_u64 s[42:43], s[18:19], s[42:43]
	s_mov_b32 s45, -1
	s_load_b32 s29, s[42:43], 0x0
                                        ; implicit-def: $sgpr44
                                        ; implicit-def: $sgpr43
	ds_load_b32 v0, v0 offset:12928
	s_wait_kmcnt 0x0
	s_sub_co_i32 s46, s29, s5
                                        ; implicit-def: $sgpr29
	s_wait_dscnt 0x0
	s_wait_xcnt 0x0
	v_readfirstlane_b32 s42, v0
	v_cmp_ge_i32_e32 vcc_lo, s46, v0
	s_cbranch_vccz .LBB11_32
; %bb.27:                               ;   in Loop: Header=BB11_26 Depth=2
	s_cmp_le_i32 s46, s42
                                        ; implicit-def: $sgpr29
                                        ; implicit-def: $sgpr44
                                        ; implicit-def: $sgpr43
	s_cbranch_scc0 .LBB11_29
; %bb.28:                               ;   in Loop: Header=BB11_26 Depth=2
	s_add_co_i32 s29, s41, s33
	s_lshl_b32 s43, s40, 2
	s_mul_i32 s29, s29, s37
	s_mul_i32 s44, s28, s37
	s_delay_alu instid0(SALU_CYCLE_1)
	v_dual_mov_b32 v0, s29 :: v_dual_mov_b32 v1, s44
	v_add_nc_u32_e64 v24, 0x3000, s43
	s_add_co_i32 s43, s41, 1
	s_add_co_i32 s44, s28, 1
	;; [unrolled: 1-line block ×3, first 2 shown]
	s_mov_b32 s45, 0
	ds_store_2addr_b32 v24, v1, v0 offset0:96 offset1:128
.LBB11_29:                              ;   in Loop: Header=BB11_26 Depth=2
	s_and_not1_b32 vcc_lo, exec_lo, s45
	s_cbranch_vccnz .LBB11_31
; %bb.30:                               ;   in Loop: Header=BB11_26 Depth=2
	s_add_co_i32 s43, s41, 1
	s_mov_b32 s29, s40
	s_mov_b32 s44, s28
.LBB11_31:                              ;   in Loop: Header=BB11_26 Depth=2
	s_mov_b32 s45, 0
.LBB11_32:                              ;   in Loop: Header=BB11_26 Depth=2
	s_delay_alu instid0(SALU_CYCLE_1)
	s_and_not1_b32 vcc_lo, exec_lo, s45
	s_cbranch_vccnz .LBB11_34
; %bb.33:                               ;   in Loop: Header=BB11_26 Depth=2
	s_add_co_i32 s44, s28, 1
	s_mov_b32 s43, s41
	s_mov_b32 s29, s40
.LBB11_34:                              ;   in Loop: Header=BB11_26 Depth=2
	s_cmp_le_i32 s44, s27
	s_cselect_b32 s28, -1, 0
	s_cmp_le_i32 s42, s26
	s_cselect_b32 s40, -1, 0
	s_delay_alu instid0(SALU_CYCLE_1) | instskip(NEXT) | instid1(SALU_CYCLE_1)
	s_and_b32 s28, s28, s40
	s_and_b32 vcc_lo, exec_lo, s28
	s_cbranch_vccz .LBB11_36
; %bb.35:                               ;   in Loop: Header=BB11_26 Depth=2
	s_mov_b32 s40, s29
	s_mov_b32 s28, s44
	;; [unrolled: 1-line block ×3, first 2 shown]
	s_branch .LBB11_26
.LBB11_36:                              ;   in Loop: Header=BB11_10 Depth=1
	s_add_nc_u64 s[24:25], s[10:11], s[24:25]
	s_wait_dscnt 0x0
.LBB11_37:                              ;   Parent Loop BB11_10 Depth=1
                                        ; =>  This Inner Loop Header: Depth=2
	global_load_b32 v0, v22, s[24:25] scope:SCOPE_DEV
	s_wait_loadcnt 0x0
	v_cmp_eq_u32_e32 vcc_lo, 0, v0
	s_cbranch_vccnz .LBB11_37
; %bb.38:                               ;   in Loop: Header=BB11_10 Depth=1
	s_cmp_lt_i32 s29, 2
	global_inv scope:SCOPE_DEV
	s_cbranch_scc1 .LBB11_54
; %bb.39:                               ;   in Loop: Header=BB11_10 Depth=1
	s_wait_xcnt 0x0
	s_add_co_i32 s24, s29, -2
	s_mov_b32 s25, 0
	s_branch .LBB11_41
.LBB11_40:                              ;   in Loop: Header=BB11_41 Depth=2
	s_or_b32 exec_lo, exec_lo, s26
	s_add_co_i32 s26, s25, 1
	s_cmp_eq_u32 s25, s24
	s_mov_b32 s25, s26
	s_cbranch_scc1 .LBB11_54
.LBB11_41:                              ;   Parent Loop BB11_10 Depth=1
                                        ; =>  This Loop Header: Depth=2
                                        ;       Child Loop BB11_43 Depth 3
                                        ;         Child Loop BB11_48 Depth 4
	s_and_saveexec_b32 s26, s0
	s_cbranch_execz .LBB11_40
; %bb.42:                               ;   in Loop: Header=BB11_41 Depth=2
	s_lshl_b32 s28, s25, 2
	s_delay_alu instid0(SALU_CYCLE_1)
	v_add_nc_u32_e64 v0, 0x3000, s28
	s_mov_b32 s28, 0
	ds_load_2addr_b32 v[26:27], v0 offset0:96 offset1:128
	s_wait_dscnt 0x0
	v_dual_add_nc_u32 v0, v27, v9 :: v_dual_add_nc_u32 v24, v2, v26
	v_dual_add_nc_u32 v1, v3, v27 :: v_dual_add_nc_u32 v25, v14, v26
	v_mov_b32_e32 v26, v2
.LBB11_43:                              ;   Parent Loop BB11_10 Depth=1
                                        ;     Parent Loop BB11_41 Depth=2
                                        ; =>    This Loop Header: Depth=3
                                        ;         Child Loop BB11_48 Depth 4
	s_delay_alu instid0(VALU_DEP_3) | instskip(NEXT) | instid1(VALU_DEP_3)
	v_dual_mov_b32 v29, 0 :: v_dual_mov_b32 v27, v24
	v_mov_b32_e32 v28, v1
	s_mov_b32 s29, 0
	s_and_b32 vcc_lo, exec_lo, s35
	s_mov_b32 s40, -1
                                        ; implicit-def: $vgpr30
	s_cbranch_vccz .LBB11_48
	s_branch .LBB11_45
.LBB11_44:                              ;   in Loop: Header=BB11_48 Depth=4
	v_mov_b32_e32 v29, v30
	s_and_b32 vcc_lo, exec_lo, s35
	s_mov_b32 s40, -1
                                        ; implicit-def: $vgpr30
	s_cbranch_vccz .LBB11_48
.LBB11_45:                              ;   in Loop: Header=BB11_43 Depth=3
	global_load_b32 v30, v27, s[20:21] scale_offset
	v_mov_b32_e32 v31, 0
	s_wait_xcnt 0x0
	s_and_saveexec_b32 s40, s1
	s_cbranch_execz .LBB11_47
; %bb.46:                               ;   in Loop: Header=BB11_43 Depth=3
	global_load_b32 v31, v28, s[20:21] scale_offset
.LBB11_47:                              ;   in Loop: Header=BB11_43 Depth=3
	s_wait_xcnt 0x0
	s_or_b32 exec_lo, exec_lo, s40
	s_wait_loadcnt 0x0
	v_fma_f32 v30, v30, v31, v29
	s_mov_b32 s40, 0
.LBB11_48:                              ;   Parent Loop BB11_10 Depth=1
                                        ;     Parent Loop BB11_41 Depth=2
                                        ;       Parent Loop BB11_43 Depth=3
                                        ; =>      This Inner Loop Header: Depth=4
	s_delay_alu instid0(SALU_CYCLE_1)
	s_and_b32 vcc_lo, exec_lo, s40
	s_cbranch_vccz .LBB11_52
; %bb.49:                               ;   in Loop: Header=BB11_48 Depth=4
	v_dual_mov_b32 v31, 0 :: v_dual_add_nc_u32 v30, s29, v25
	global_load_b32 v30, v30, s[20:21] scale_offset
	s_wait_xcnt 0x0
	s_and_saveexec_b32 s40, s1
	s_cbranch_execz .LBB11_51
; %bb.50:                               ;   in Loop: Header=BB11_48 Depth=4
	v_add_nc_u32_e32 v31, s29, v0
	global_load_b32 v31, v31, s[20:21] scale_offset
.LBB11_51:                              ;   in Loop: Header=BB11_48 Depth=4
	s_wait_xcnt 0x0
	s_or_b32 exec_lo, exec_lo, s40
	s_wait_loadcnt 0x0
	v_fmac_f32_e32 v29, v30, v31
	s_delay_alu instid0(VALU_DEP_1)
	v_mov_b32_e32 v30, v29
.LBB11_52:                              ;   in Loop: Header=BB11_48 Depth=4
	v_dual_add_nc_u32 v28, s30, v28 :: v_dual_add_nc_u32 v27, s30, v27
	s_add_co_i32 s29, s29, 1
	s_delay_alu instid0(SALU_CYCLE_1)
	s_cmp_eq_u32 s30, s29
	s_cbranch_scc0 .LBB11_44
; %bb.53:                               ;   in Loop: Header=BB11_43 Depth=3
	v_lshl_add_u32 v27, v26, 2, v5
	v_dual_add_nc_u32 v24, 2, v24 :: v_dual_add_nc_u32 v25, s38, v25
	ds_load_b32 v28, v27
	s_wait_dscnt 0x0
	v_dual_add_nc_u32 v26, 2, v26 :: v_dual_add_f32 v28, v30, v28
	s_delay_alu instid0(VALU_DEP_1) | instskip(SKIP_2) | instid1(SALU_CYCLE_1)
	v_cmp_le_i32_e32 vcc_lo, s30, v26
	ds_store_b32 v27, v28
	s_or_b32 s28, vcc_lo, s28
	s_and_not1_b32 exec_lo, exec_lo, s28
	s_cbranch_execnz .LBB11_43
	s_branch .LBB11_40
.LBB11_54:                              ;   in Loop: Header=BB11_10 Depth=1
	s_and_not1_b32 vcc_lo, exec_lo, s36
	s_wait_loadcnt_dscnt 0x0
	s_cbranch_vccnz .LBB11_76
; %bb.55:                               ;   in Loop: Header=BB11_10 Depth=1
	v_mov_b32_e32 v24, v16
	s_wait_xcnt 0x0
	s_mul_i32 s24, s37, s27
	s_mov_b32 s25, 0
	s_movk_i32 s26, 0x1080
	s_mov_b32 s27, s24
	s_branch .LBB11_57
.LBB11_56:                              ;   in Loop: Header=BB11_57 Depth=2
	s_or_b32 exec_lo, exec_lo, s28
	v_add_nc_u32_e32 v24, 4, v24
	s_add_co_i32 s25, s25, 1
	s_add_co_i32 s27, s27, 1
	;; [unrolled: 1-line block ×3, first 2 shown]
	s_cmp_eq_u32 s25, s30
	s_wait_dscnt 0x0
	s_cbranch_scc1 .LBB11_76
.LBB11_57:                              ;   Parent Loop BB11_10 Depth=1
                                        ; =>  This Loop Header: Depth=2
                                        ;       Child Loop BB11_64 Depth 3
                                        ;       Child Loop BB11_69 Depth 3
	;; [unrolled: 1-line block ×3, first 2 shown]
	s_mul_i32 s28, s25, s30
	v_lshl_add_u32 v1, s25, 2, v8
	s_add_co_i32 s28, s28, s24
	s_delay_alu instid0(SALU_CYCLE_1) | instskip(NEXT) | instid1(SALU_CYCLE_1)
	s_add_co_i32 s29, s28, s25
	v_mov_b32_e32 v0, s29
	global_load_b32 v25, v0, s[20:21] scale_offset
	s_wait_xcnt 0x0
	ds_load_b32 v0, v1
	s_wait_loadcnt 0x0
	v_readfirstlane_b32 s29, v25
	s_cmp_neq_f32 s29, 0
	s_cselect_b32 vcc_lo, -1, 0
	v_cndmask_b32_e32 v25, 1.0, v25, vcc_lo
	s_nor_b32 s40, vcc_lo, s2
	s_delay_alu instid0(SALU_CYCLE_1)
	s_and_saveexec_b32 s29, s40
	s_cbranch_execz .LBB11_61
; %bb.58:                               ;   in Loop: Header=BB11_57 Depth=2
	v_mbcnt_lo_u32_b32 v25, exec_lo, 0
	s_mov_b32 s40, exec_lo
	s_delay_alu instid0(VALU_DEP_1)
	v_cmpx_eq_u32_e32 0, v25
	s_cbranch_execz .LBB11_60
; %bb.59:                               ;   in Loop: Header=BB11_57 Depth=2
	v_mov_b32_e32 v25, s39
	global_atomic_min_i32 v22, v25, s[14:15] scope:SCOPE_DEV
.LBB11_60:                              ;   in Loop: Header=BB11_57 Depth=2
	s_wait_xcnt 0x0
	s_or_b32 exec_lo, exec_lo, s40
	v_mov_b32_e32 v25, 1.0
.LBB11_61:                              ;   in Loop: Header=BB11_57 Depth=2
	s_or_b32 exec_lo, exec_lo, s29
	v_lshl_add_u32 v26, s25, 2, v5
	s_cmp_eq_u32 s25, 0
	ds_load_b32 v26, v26
	s_cbranch_scc1 .LBB11_66
; %bb.62:                               ;   in Loop: Header=BB11_57 Depth=2
	v_mov_b32_e32 v27, v8
	s_mov_b32 s29, 0
	s_mov_b32 s40, s25
	;; [unrolled: 1-line block ×3, first 2 shown]
	s_branch .LBB11_64
.LBB11_63:                              ;   in Loop: Header=BB11_64 Depth=3
	s_wait_xcnt 0x0
	v_mov_b32_e32 v28, s42
	ds_load_b32 v29, v27
	v_add_nc_u32_e32 v27, 4, v27
	s_add_co_i32 s40, s40, -1
	s_add_co_i32 s29, s29, 1
	global_load_b32 v28, v28, s[20:21] scale_offset
	s_add_co_i32 s41, s41, s30
	s_cmp_eq_u32 s40, 0
	s_wait_loadcnt_dscnt 0x0
	v_fmac_f32_e32 v26, v28, v29
	s_cbranch_scc1 .LBB11_66
.LBB11_64:                              ;   Parent Loop BB11_10 Depth=1
                                        ;     Parent Loop BB11_57 Depth=2
                                        ; =>    This Inner Loop Header: Depth=3
	s_and_not1_b32 vcc_lo, exec_lo, s34
	s_mov_b32 s42, s41
	s_cbranch_vccnz .LBB11_63
; %bb.65:                               ;   in Loop: Header=BB11_64 Depth=3
	s_add_co_i32 s42, s29, s28
	s_branch .LBB11_63
.LBB11_66:                              ;   in Loop: Header=BB11_57 Depth=2
	s_wait_dscnt 0x0
	s_delay_alu instid0(VALU_DEP_1) | instskip(NEXT) | instid1(VALU_DEP_1)
	v_sub_f32_e32 v0, v0, v26
	v_div_scale_f32 v26, null, v25, v25, v0
	v_div_scale_f32 v29, vcc_lo, v0, v25, v0
	s_delay_alu instid0(VALU_DEP_2) | instskip(SKIP_2) | instid1(TRANS32_DEP_1)
	v_rcp_f32_e32 v27, v26
	s_wait_xcnt 0x0
	v_nop
	v_fma_f32 v28, -v26, v27, 1.0
	s_delay_alu instid0(VALU_DEP_1) | instskip(NEXT) | instid1(VALU_DEP_1)
	v_fmac_f32_e32 v27, v28, v27
	v_mul_f32_e32 v28, v29, v27
	s_delay_alu instid0(VALU_DEP_1) | instskip(NEXT) | instid1(VALU_DEP_1)
	v_fma_f32 v30, -v26, v28, v29
	v_fmac_f32_e32 v28, v30, v27
	s_delay_alu instid0(VALU_DEP_1) | instskip(NEXT) | instid1(VALU_DEP_1)
	v_fma_f32 v26, -v26, v28, v29
	v_div_fmas_f32 v26, v26, v27, v28
	s_delay_alu instid0(VALU_DEP_1)
	v_div_fixup_f32 v0, v26, v25, v0
	ds_store_b32 v1, v0
	s_wait_storecnt_dscnt 0x0
	s_and_saveexec_b32 s28, s0
	s_cbranch_execz .LBB11_56
; %bb.67:                               ;   in Loop: Header=BB11_57 Depth=2
	v_dual_mov_b32 v1, v2 :: v_dual_mov_b32 v25, v11
	v_mov_b32_e32 v26, v15
	s_mov_b32 s40, -1
	s_and_saveexec_b32 s29, s3
	s_cbranch_execz .LBB11_73
; %bb.68:                               ;   in Loop: Header=BB11_57 Depth=2
	v_dual_mov_b32 v1, v0 :: v_dual_mov_b32 v25, v10
	v_dual_mov_b32 v26, v18 :: v_dual_mov_b32 v27, v24
	s_mov_b32 s40, 0
.LBB11_69:                              ;   Parent Loop BB11_10 Depth=1
                                        ;     Parent Loop BB11_57 Depth=2
                                        ; =>    This Inner Loop Header: Depth=3
	ds_load_2addr_b32 v[28:29], v27 offset1:66
	ds_load_2addr_b32 v[30:31], v27 offset0:132 offset1:198
	ds_load_2addr_b32 v[32:33], v26 offset1:2
	ds_load_2addr_b32 v[34:35], v26 offset0:4 offset1:6
	v_add_nc_u32_e32 v25, -4, v25
	v_add_nc_u32_e32 v27, 0x420, v27
	s_wait_dscnt 0x1
	v_pk_fma_f32 v[28:29], v[0:1], v[28:29], v[32:33]
	s_wait_dscnt 0x0
	v_pk_fma_f32 v[30:31], v[0:1], v[30:31], v[34:35]
	ds_store_2addr_b32 v26, v28, v29 offset1:2
	ds_store_2addr_b32 v26, v30, v31 offset0:4 offset1:6
	v_add_nc_u32_e32 v26, 32, v26
	v_cmp_eq_u32_e32 vcc_lo, 0, v25
	s_or_b32 s40, vcc_lo, s40
	s_delay_alu instid0(SALU_CYCLE_1)
	s_and_not1_b32 exec_lo, exec_lo, s40
	s_cbranch_execnz .LBB11_69
; %bb.70:                               ;   in Loop: Header=BB11_57 Depth=2
	s_or_b32 exec_lo, exec_lo, s40
	s_mov_b32 s40, 0
	s_and_saveexec_b32 s41, s4
; %bb.71:                               ;   in Loop: Header=BB11_57 Depth=2
	s_mov_b32 s40, exec_lo
; %bb.72:                               ;   in Loop: Header=BB11_57 Depth=2
	s_or_b32 exec_lo, exec_lo, s41
	v_dual_mov_b32 v1, v12 :: v_dual_mov_b32 v25, v23
	v_mov_b32_e32 v26, v20
	s_or_not1_b32 s40, s40, exec_lo
.LBB11_73:                              ;   in Loop: Header=BB11_57 Depth=2
	s_or_b32 exec_lo, exec_lo, s29
	s_delay_alu instid0(SALU_CYCLE_1)
	s_and_b32 exec_lo, exec_lo, s40
	s_cbranch_execz .LBB11_56
; %bb.74:                               ;   in Loop: Header=BB11_57 Depth=2
	v_dual_add_nc_u32 v25, v19, v25 :: v_dual_add_nc_u32 v26, s26, v26
	s_mov_b32 s29, 0
.LBB11_75:                              ;   Parent Loop BB11_10 Depth=1
                                        ;     Parent Loop BB11_57 Depth=2
                                        ; =>    This Inner Loop Header: Depth=3
	ds_load_b32 v27, v26
	ds_load_b32 v28, v25
	v_add_nc_u32_e32 v1, 2, v1
	v_add_nc_u32_e32 v26, 0x108, v26
	s_wait_dscnt 0x0
	v_fmac_f32_e32 v28, v0, v27
	s_delay_alu instid0(VALU_DEP_3) | instskip(SKIP_3) | instid1(SALU_CYCLE_1)
	v_cmp_le_i32_e32 vcc_lo, s30, v1
	ds_store_b32 v25, v28
	v_add_nc_u32_e32 v25, 8, v25
	s_or_b32 s29, vcc_lo, s29
	s_and_not1_b32 exec_lo, exec_lo, s29
	s_cbranch_execnz .LBB11_75
	s_branch .LBB11_56
.LBB11_76:                              ;   in Loop: Header=BB11_10 Depth=1
	s_wait_xcnt 0x0
	s_and_saveexec_b32 s24, s0
	s_cbranch_execz .LBB11_9
; %bb.77:                               ;   in Loop: Header=BB11_10 Depth=1
	v_dual_mov_b32 v0, v21 :: v_dual_mov_b32 v1, v2
	s_mov_b32 s25, 0
	s_branch .LBB11_80
.LBB11_78:                              ;   in Loop: Header=BB11_80 Depth=2
	s_wait_dscnt 0x0
	global_store_b32 v25, v24, s[20:21] scale_offset
.LBB11_79:                              ;   in Loop: Header=BB11_80 Depth=2
	s_wait_xcnt 0x0
	s_or_b32 exec_lo, exec_lo, s26
	v_dual_add_nc_u32 v1, 2, v1 :: v_dual_add_nc_u32 v0, 8, v0
	s_delay_alu instid0(VALU_DEP_1) | instskip(SKIP_1) | instid1(SALU_CYCLE_1)
	v_cmp_le_i32_e32 vcc_lo, s30, v1
	s_or_b32 s25, vcc_lo, s25
	s_and_not1_b32 exec_lo, exec_lo, s25
	s_cbranch_execz .LBB11_9
.LBB11_80:                              ;   Parent Loop BB11_10 Depth=1
                                        ; =>  This Inner Loop Header: Depth=2
	s_and_saveexec_b32 s26, s1
	s_cbranch_execz .LBB11_79
; %bb.81:                               ;   in Loop: Header=BB11_80 Depth=2
	ds_load_b32 v24, v0
	s_and_b32 vcc_lo, exec_lo, s35
	s_mov_b32 s27, -1
                                        ; implicit-def: $vgpr25
	s_cbranch_vccz .LBB11_83
; %bb.82:                               ;   in Loop: Header=BB11_80 Depth=2
	v_add_nc_u32_e32 v25, s23, v1
	s_mov_b32 s27, 0
	s_delay_alu instid0(VALU_DEP_1)
	v_mad_u32 v25, v25, s30, v3
.LBB11_83:                              ;   in Loop: Header=BB11_80 Depth=2
	s_and_not1_b32 vcc_lo, exec_lo, s27
	s_cbranch_vccnz .LBB11_78
; %bb.84:                               ;   in Loop: Header=BB11_80 Depth=2
	v_add_nc_u32_e32 v25, v17, v1
	s_branch .LBB11_78
.LBB11_85:                              ;   in Loop: Header=BB11_10 Depth=1
                                        ; implicit-def: $sgpr22
                                        ; implicit-def: $vgpr17
	s_cbranch_execz .LBB11_10
.LBB11_86:
	v_cmp_gt_i32_e64 s0, s30, v2
	s_and_saveexec_b32 s2, s0
	s_cbranch_execz .LBB11_99
; %bb.87:
	s_mul_i32 s3, s13, s30
	v_cmp_gt_i32_e64 s1, s30, v3
	v_dual_add_nc_u32 v0, s3, v3 :: v_dual_lshlrev_b32 v1, 2, v2
	v_mov_b32_e32 v8, v2
	s_cmp_lg_u32 s31, 0
	s_mov_b32 s4, 0
	s_delay_alu instid0(VALU_DEP_2)
	v_mul_lo_u32 v0, v0, s30
	v_add3_u32 v1, v5, v1, 0x1080
	s_cselect_b32 s8, -1, 0
	s_branch .LBB11_89
.LBB11_88:                              ;   in Loop: Header=BB11_89 Depth=1
	s_wait_xcnt 0x0
	s_or_b32 exec_lo, exec_lo, s16
	v_add_nc_u32_e32 v8, 2, v8
	s_wait_loadcnt 0x0
	ds_store_b32 v1, v10
	v_add_nc_u32_e32 v1, 8, v1
	v_cmp_le_i32_e32 vcc_lo, s30, v8
	s_or_b32 s4, vcc_lo, s4
	s_delay_alu instid0(SALU_CYCLE_1)
	s_and_not1_b32 exec_lo, exec_lo, s4
	s_cbranch_execz .LBB11_99
.LBB11_89:                              ; =>This Inner Loop Header: Depth=1
	s_and_b32 vcc_lo, exec_lo, s8
	s_cbranch_vccz .LBB11_96
; %bb.90:                               ;   in Loop: Header=BB11_89 Depth=1
	s_mov_b32 s16, 0
	s_mov_b32 s9, 0
                                        ; implicit-def: $vgpr9
	s_and_saveexec_b32 s17, s1
	s_delay_alu instid0(SALU_CYCLE_1)
	s_xor_b32 s17, exec_lo, s17
; %bb.91:                               ;   in Loop: Header=BB11_89 Depth=1
	v_add_nc_u32_e32 v9, s3, v8
	s_mov_b32 s9, exec_lo
	s_delay_alu instid0(VALU_DEP_1)
	v_mad_u32 v9, v9, s30, v3
; %bb.92:                               ;   in Loop: Header=BB11_89 Depth=1
	s_or_b32 exec_lo, exec_lo, s17
	s_delay_alu instid0(SALU_CYCLE_1)
	s_and_b32 vcc_lo, exec_lo, s16
	s_cbranch_vccz .LBB11_97
.LBB11_93:                              ;   in Loop: Header=BB11_89 Depth=1
                                        ; implicit-def: $vgpr9
	s_and_saveexec_b32 s16, s1
; %bb.94:                               ;   in Loop: Header=BB11_89 Depth=1
	s_delay_alu instid0(VALU_DEP_2)
	v_add_nc_u32_e32 v9, v0, v8
	s_or_b32 s9, s9, exec_lo
; %bb.95:                               ;   in Loop: Header=BB11_89 Depth=1
	s_or_b32 exec_lo, exec_lo, s16
	v_mov_b32_e32 v10, 0
	s_and_saveexec_b32 s16, s9
	s_cbranch_execz .LBB11_88
	s_branch .LBB11_98
.LBB11_96:                              ;   in Loop: Header=BB11_89 Depth=1
	s_mov_b32 s9, 0
                                        ; implicit-def: $vgpr9
	s_cbranch_execnz .LBB11_93
.LBB11_97:                              ;   in Loop: Header=BB11_89 Depth=1
	v_mov_b32_e32 v10, 0
	s_and_saveexec_b32 s16, s9
	s_cbranch_execz .LBB11_88
.LBB11_98:                              ;   in Loop: Header=BB11_89 Depth=1
	global_load_b32 v10, v9, s[20:21] scale_offset
	s_branch .LBB11_88
.LBB11_99:
	s_or_b32 exec_lo, exec_lo, s2
	s_cmp_lt_i32 s30, 1
	s_wait_loadcnt_dscnt 0x0
	s_cbranch_scc1 .LBB11_119
; %bb.100:
	s_movk_i32 s4, 0x84
	v_dual_mov_b32 v16, 0 :: v_dual_lshlrev_b32 v13, 2, v3
	v_mad_u32_u24 v8, v3, s4, 0x1080
	v_lshrrev_b32_e32 v0, 1, v7
	s_movk_i32 s1, 0x2100
	v_cmp_lt_u32_e64 s2, 5, v7
	s_delay_alu instid0(VALU_DEP_3) | instskip(NEXT) | instid1(VALU_DEP_3)
	v_dual_add_nc_u32 v12, v8, v13 :: v_dual_bitop2_b32 v1, v2, v3 bitop3:0x54
	v_add_nc_u32_e32 v0, 1, v0
	v_mad_u32_u24 v10, 0x84, v3, s1
	v_mad_u32_u24 v7, v2, s4, 0x1080
	s_delay_alu instid0(VALU_DEP_4) | instskip(SKIP_1) | instid1(VALU_DEP_4)
	v_cmp_ne_u32_e64 s1, 0, v1
	v_add3_u32 v15, v5, v4, 0x2100
	v_dual_add_nc_u32 v13, v10, v13 :: v_dual_bitop2_b32 v9, -4, v0 bitop3:0x40
	s_movk_i32 s8, 0x1080
	s_mov_b32 s9, 0
	s_add_co_i32 s16, s12, s5
	s_delay_alu instid0(VALU_DEP_1) | instskip(SKIP_1) | instid1(VALU_DEP_2)
	v_lshl_add_u32 v11, v9, 1, v2
	v_cmp_ne_u32_e64 s3, v0, v9
	v_mul_lo_u32 v14, 0x84, v11
	v_lshlrev_b32_e32 v17, 2, v11
	s_branch .LBB11_102
.LBB11_101:                             ;   in Loop: Header=BB11_102 Depth=1
	s_or_b32 exec_lo, exec_lo, s4
	v_add_nc_u32_e32 v7, 4, v7
	s_add_co_i32 s9, s9, 1
	s_add_co_i32 s8, s8, 4
	s_cmp_eq_u32 s9, s30
	s_wait_storecnt_dscnt 0x0
	s_cbranch_scc1 .LBB11_119
.LBB11_102:                             ; =>This Loop Header: Depth=1
                                        ;     Child Loop BB11_112 Depth 2
                                        ;     Child Loop BB11_118 Depth 2
	s_mov_b32 s17, exec_lo
	v_cmpx_eq_u32_e64 s9, v3
	s_cbranch_execz .LBB11_104
; %bb.103:                              ;   in Loop: Header=BB11_102 Depth=1
	ds_load_b32 v0, v12
	ds_load_b32 v1, v13
	s_wait_dscnt 0x0
	v_sub_f32_e32 v0, v0, v1
	s_delay_alu instid0(VALU_DEP_1) | instskip(SKIP_1) | instid1(VALU_DEP_1)
	v_cmp_gt_f32_e32 vcc_lo, 0, v0
	v_cndmask_b32_e64 v0, v0, -v0, vcc_lo
	v_mul_f32_e32 v1, 0x4f800000, v0
	v_cmp_gt_f32_e32 vcc_lo, 0xf800000, v0
	s_delay_alu instid0(VALU_DEP_2) | instskip(NEXT) | instid1(VALU_DEP_1)
	v_cndmask_b32_e32 v0, v0, v1, vcc_lo
	v_sqrt_f32_e32 v1, v0
	v_nop
	s_delay_alu instid0(TRANS32_DEP_1) | instskip(NEXT) | instid1(VALU_DEP_1)
	v_dual_add_nc_u32 v18, -1, v1 :: v_dual_add_nc_u32 v19, 1, v1
	v_dual_fma_f32 v20, -v18, v1, v0 :: v_dual_fma_f32 v21, -v19, v1, v0
	s_delay_alu instid0(VALU_DEP_1) | instskip(NEXT) | instid1(VALU_DEP_1)
	v_cmp_ge_f32_e64 s4, 0, v20
	v_cndmask_b32_e64 v1, v1, v18, s4
	s_delay_alu instid0(VALU_DEP_3) | instskip(NEXT) | instid1(VALU_DEP_1)
	v_cmp_lt_f32_e64 s4, 0, v21
	v_cndmask_b32_e64 v1, v1, v19, s4
	s_delay_alu instid0(VALU_DEP_1) | instskip(NEXT) | instid1(VALU_DEP_1)
	v_mul_f32_e32 v18, 0x37800000, v1
	v_cndmask_b32_e32 v1, v1, v18, vcc_lo
	v_cmp_class_f32_e64 vcc_lo, v0, 0x260
	s_delay_alu instid0(VALU_DEP_2)
	v_cndmask_b32_e32 v0, v1, v0, vcc_lo
	ds_store_b32 v12, v0
.LBB11_104:                             ;   in Loop: Header=BB11_102 Depth=1
	s_or_b32 exec_lo, exec_lo, s17
	s_lshl_b32 s4, s9, 2
	s_mul_i32 s17, s9, 0x84
	s_wait_dscnt 0x0
	s_add_co_i32 s17, s17, s4
	s_delay_alu instid0(SALU_CYCLE_1)
	v_dual_mov_b32 v0, s17 :: v_dual_add_nc_u32 v1, s4, v8
	ds_load_b32 v18, v0 offset:4224
	ds_load_b32 v0, v1
	s_wait_dscnt 0x1
	v_readfirstlane_b32 s4, v18
	s_cmp_neq_f32 s4, 0
	s_cselect_b32 vcc_lo, -1, 0
	v_cndmask_b32_e32 v18, 1.0, v18, vcc_lo
	s_nor_b32 s17, vcc_lo, s1
	s_delay_alu instid0(SALU_CYCLE_1)
	s_and_saveexec_b32 s4, s17
	s_cbranch_execz .LBB11_108
; %bb.105:                              ;   in Loop: Header=BB11_102 Depth=1
	v_mbcnt_lo_u32_b32 v18, exec_lo, 0
	s_mov_b32 s17, exec_lo
	s_delay_alu instid0(VALU_DEP_1)
	v_cmpx_eq_u32_e32 0, v18
	s_cbranch_execz .LBB11_107
; %bb.106:                              ;   in Loop: Header=BB11_102 Depth=1
	v_mov_b32_e32 v18, s16
	global_atomic_min_i32 v16, v18, s[14:15] scope:SCOPE_DEV
.LBB11_107:                             ;   in Loop: Header=BB11_102 Depth=1
	s_wait_xcnt 0x0
	s_or_b32 exec_lo, exec_lo, s17
	v_mov_b32_e32 v18, 1.0
.LBB11_108:                             ;   in Loop: Header=BB11_102 Depth=1
	s_or_b32 exec_lo, exec_lo, s4
	s_delay_alu instid0(SALU_CYCLE_1)
	s_mov_b32 s4, exec_lo
	v_cmpx_lt_u32_e64 s9, v3
	s_cbranch_execz .LBB11_101
; %bb.109:                              ;   in Loop: Header=BB11_102 Depth=1
	v_lshl_add_u32 v19, s9, 2, v10
	ds_load_b32 v19, v19
	s_wait_dscnt 0x0
	v_sub_f32_e32 v0, v0, v19
	s_delay_alu instid0(VALU_DEP_1) | instskip(NEXT) | instid1(VALU_DEP_1)
	v_div_scale_f32 v19, null, v18, v18, v0
	v_rcp_f32_e32 v20, v19
	v_nop
	s_delay_alu instid0(TRANS32_DEP_1) | instskip(NEXT) | instid1(VALU_DEP_1)
	v_fma_f32 v21, -v19, v20, 1.0
	v_fmac_f32_e32 v20, v21, v20
	v_div_scale_f32 v22, vcc_lo, v0, v18, v0
	s_delay_alu instid0(VALU_DEP_1) | instskip(NEXT) | instid1(VALU_DEP_1)
	v_mul_f32_e32 v21, v22, v20
	v_fma_f32 v23, -v19, v21, v22
	s_delay_alu instid0(VALU_DEP_1) | instskip(NEXT) | instid1(VALU_DEP_1)
	v_fmac_f32_e32 v21, v23, v20
	v_fma_f32 v19, -v19, v21, v22
	s_delay_alu instid0(VALU_DEP_1) | instskip(NEXT) | instid1(VALU_DEP_1)
	v_div_fmas_f32 v19, v19, v20, v21
	v_div_fixup_f32 v0, v19, v18, v0
	ds_store_b32 v1, v0
	s_wait_storecnt_dscnt 0x0
	s_and_b32 exec_lo, exec_lo, s0
	s_cbranch_execz .LBB11_101
; %bb.110:                              ;   in Loop: Header=BB11_102 Depth=1
	v_dual_mov_b32 v1, v2 :: v_dual_mov_b32 v18, v4
	v_mov_b32_e32 v19, v6
	s_mov_b32 s18, -1
	s_and_saveexec_b32 s17, s2
	s_cbranch_execz .LBB11_116
; %bb.111:                              ;   in Loop: Header=BB11_102 Depth=1
	v_dual_mov_b32 v1, v0 :: v_dual_mov_b32 v18, v9
	v_dual_mov_b32 v19, v15 :: v_dual_mov_b32 v20, v7
	s_mov_b32 s18, 0
.LBB11_112:                             ;   Parent Loop BB11_102 Depth=1
                                        ; =>  This Inner Loop Header: Depth=2
	ds_load_2addr_b32 v[22:23], v20 offset1:66
	ds_load_2addr_b32 v[24:25], v20 offset0:132 offset1:198
	ds_load_2addr_b32 v[26:27], v19 offset1:2
	ds_load_2addr_b32 v[28:29], v19 offset0:4 offset1:6
	v_add_nc_u32_e32 v18, -4, v18
	v_add_nc_u32_e32 v20, 0x420, v20
	s_wait_dscnt 0x1
	v_pk_fma_f32 v[22:23], v[0:1], v[22:23], v[26:27]
	s_wait_dscnt 0x0
	v_pk_fma_f32 v[24:25], v[0:1], v[24:25], v[28:29]
	ds_store_2addr_b32 v19, v22, v23 offset1:2
	ds_store_2addr_b32 v19, v24, v25 offset0:4 offset1:6
	v_add_nc_u32_e32 v19, 32, v19
	v_cmp_eq_u32_e32 vcc_lo, 0, v18
	s_or_b32 s18, vcc_lo, s18
	s_delay_alu instid0(SALU_CYCLE_1)
	s_and_not1_b32 exec_lo, exec_lo, s18
	s_cbranch_execnz .LBB11_112
; %bb.113:                              ;   in Loop: Header=BB11_102 Depth=1
	s_or_b32 exec_lo, exec_lo, s18
	s_mov_b32 s18, 0
	s_and_saveexec_b32 s19, s3
; %bb.114:                              ;   in Loop: Header=BB11_102 Depth=1
	s_mov_b32 s18, exec_lo
; %bb.115:                              ;   in Loop: Header=BB11_102 Depth=1
	s_or_b32 exec_lo, exec_lo, s19
	v_dual_mov_b32 v1, v11 :: v_dual_mov_b32 v18, v17
	v_mov_b32_e32 v19, v14
	s_or_not1_b32 s18, s18, exec_lo
.LBB11_116:                             ;   in Loop: Header=BB11_102 Depth=1
	s_or_b32 exec_lo, exec_lo, s17
	s_delay_alu instid0(SALU_CYCLE_1)
	s_and_b32 exec_lo, exec_lo, s18
	s_cbranch_execz .LBB11_101
; %bb.117:                              ;   in Loop: Header=BB11_102 Depth=1
	v_dual_add_nc_u32 v18, v10, v18 :: v_dual_add_nc_u32 v19, s8, v19
	s_mov_b32 s17, 0
.LBB11_118:                             ;   Parent Loop BB11_102 Depth=1
                                        ; =>  This Inner Loop Header: Depth=2
	ds_load_b32 v20, v19
	ds_load_b32 v21, v18
	v_add_nc_u32_e32 v1, 2, v1
	v_add_nc_u32_e32 v19, 0x108, v19
	s_wait_dscnt 0x0
	v_fmac_f32_e32 v21, v0, v20
	s_delay_alu instid0(VALU_DEP_3) | instskip(SKIP_3) | instid1(SALU_CYCLE_1)
	v_cmp_le_i32_e32 vcc_lo, s30, v1
	ds_store_b32 v18, v21
	v_add_nc_u32_e32 v18, 8, v18
	s_or_b32 s17, vcc_lo, s17
	s_and_not1_b32 exec_lo, exec_lo, s17
	s_cbranch_execnz .LBB11_118
	s_branch .LBB11_101
.LBB11_119:
	s_and_saveexec_b32 s1, s0
	s_cbranch_execz .LBB11_128
; %bb.120:
	s_mul_i32 s13, s13, s30
	v_add3_u32 v1, v5, v4, 0x1080
	v_dual_add_nc_u32 v0, s13, v3 :: v_dual_mov_b32 v4, v2
	v_cmp_gt_i32_e64 s0, s30, v3
	s_cmp_lg_u32 s31, 0
	s_mov_b32 s2, 0
	v_mul_lo_u32 v0, v0, s30
	s_cselect_b32 s3, -1, 0
	s_branch .LBB11_124
.LBB11_121:                             ;   in Loop: Header=BB11_124 Depth=1
	v_add_nc_u32_e32 v6, v0, v4
.LBB11_122:                             ;   in Loop: Header=BB11_124 Depth=1
	s_wait_dscnt 0x0
	global_store_b32 v6, v5, s[20:21] scale_offset
.LBB11_123:                             ;   in Loop: Header=BB11_124 Depth=1
	s_wait_xcnt 0x0
	s_or_b32 exec_lo, exec_lo, s4
	v_dual_add_nc_u32 v4, 2, v4 :: v_dual_add_nc_u32 v1, 8, v1
	s_delay_alu instid0(VALU_DEP_1) | instskip(SKIP_1) | instid1(SALU_CYCLE_1)
	v_cmp_le_i32_e32 vcc_lo, s30, v4
	s_or_b32 s2, vcc_lo, s2
	s_and_not1_b32 exec_lo, exec_lo, s2
	s_cbranch_execz .LBB11_128
.LBB11_124:                             ; =>This Inner Loop Header: Depth=1
	s_and_saveexec_b32 s4, s0
	s_cbranch_execz .LBB11_123
; %bb.125:                              ;   in Loop: Header=BB11_124 Depth=1
	ds_load_b32 v5, v1
	s_and_b32 vcc_lo, exec_lo, s3
	s_cbranch_vccz .LBB11_127
; %bb.126:                              ;   in Loop: Header=BB11_124 Depth=1
	v_add_nc_u32_e32 v6, s13, v4
	s_delay_alu instid0(VALU_DEP_1)
	v_mad_u32 v6, v6, s30, v3
	s_cbranch_execnz .LBB11_122
	s_branch .LBB11_121
.LBB11_127:                             ;   in Loop: Header=BB11_124 Depth=1
                                        ; implicit-def: $vgpr6
	s_branch .LBB11_121
.LBB11_128:
	s_or_b32 exec_lo, exec_lo, s1
	v_or_b32_e32 v0, v2, v3
	s_mov_b32 s0, 0
	s_mov_b32 s1, exec_lo
	s_delay_alu instid0(VALU_DEP_1)
	v_cmpx_eq_u32_e32 0, v0
	s_cbranch_execz .LBB11_130
; %bb.129:
	v_dual_mov_b32 v0, 0 :: v_dual_mov_b32 v1, 1
	s_add_nc_u64 s[2:3], s[10:11], s[6:7]
	global_wb scope:SCOPE_DEV
	s_wait_storecnt 0x0
	global_store_b32 v0, v1, s[2:3] scope:SCOPE_DEV
.LBB11_130:
	s_wait_xcnt 0x0
	s_or_b32 exec_lo, exec_lo, s1
	s_delay_alu instid0(SALU_CYCLE_1)
	s_and_b32 vcc_lo, exec_lo, s0
	s_cbranch_vccnz .LBB11_133
.LBB11_131:
	s_endpgm
.LBB11_132:
	s_cbranch_execz .LBB11_131
.LBB11_133:
	v_or_b32_e32 v0, v2, v3
	s_mov_b32 s0, exec_lo
	s_delay_alu instid0(VALU_DEP_1)
	v_cmpx_eq_u32_e32 0, v0
	s_cbranch_execz .LBB11_131
; %bb.134:
	v_mbcnt_lo_u32_b32 v0, exec_lo, 0
	s_mov_b32 s0, exec_lo
	s_delay_alu instid0(VALU_DEP_1)
	v_cmpx_eq_u32_e32 0, v0
	s_cbranch_execz .LBB11_136
; %bb.135:
	s_add_co_i32 s1, s12, s5
	s_delay_alu instid0(SALU_CYCLE_1)
	v_dual_mov_b32 v0, 0 :: v_dual_mov_b32 v1, s1
	global_atomic_min_i32 v0, v1, s[14:15] scope:SCOPE_DEV
.LBB11_136:
	s_wait_xcnt 0x0
	s_or_b32 exec_lo, exec_lo, s0
	v_dual_mov_b32 v0, 0 :: v_dual_mov_b32 v1, 1
	s_add_nc_u64 s[0:1], s[10:11], s[6:7]
	global_wb scope:SCOPE_DEV
	s_wait_storecnt 0x0
	global_store_b32 v0, v1, s[0:1] scope:SCOPE_DEV
	s_endpgm
	.section	.rodata,"a",@progbits
	.p2align	6, 0x0
	.amdhsa_kernel _ZN9rocsparseL19bsric0_17_32_kernelILi64ELi32ELi32EfEEv20rocsparse_direction_iiPKiS3_PT2_S3_PiS3_S6_21rocsparse_index_base_
		.amdhsa_group_segment_fixed_size 13056
		.amdhsa_private_segment_fixed_size 0
		.amdhsa_kernarg_size 76
		.amdhsa_user_sgpr_count 2
		.amdhsa_user_sgpr_dispatch_ptr 0
		.amdhsa_user_sgpr_queue_ptr 0
		.amdhsa_user_sgpr_kernarg_segment_ptr 1
		.amdhsa_user_sgpr_dispatch_id 0
		.amdhsa_user_sgpr_kernarg_preload_length 0
		.amdhsa_user_sgpr_kernarg_preload_offset 0
		.amdhsa_user_sgpr_private_segment_size 0
		.amdhsa_wavefront_size32 1
		.amdhsa_uses_dynamic_stack 0
		.amdhsa_enable_private_segment 0
		.amdhsa_system_sgpr_workgroup_id_x 1
		.amdhsa_system_sgpr_workgroup_id_y 0
		.amdhsa_system_sgpr_workgroup_id_z 0
		.amdhsa_system_sgpr_workgroup_info 0
		.amdhsa_system_vgpr_workitem_id 1
		.amdhsa_next_free_vgpr 113
		.amdhsa_next_free_sgpr 47
		.amdhsa_named_barrier_count 0
		.amdhsa_reserve_vcc 1
		.amdhsa_float_round_mode_32 0
		.amdhsa_float_round_mode_16_64 0
		.amdhsa_float_denorm_mode_32 3
		.amdhsa_float_denorm_mode_16_64 3
		.amdhsa_fp16_overflow 0
		.amdhsa_memory_ordered 1
		.amdhsa_forward_progress 1
		.amdhsa_inst_pref_size 35
		.amdhsa_round_robin_scheduling 0
		.amdhsa_exception_fp_ieee_invalid_op 0
		.amdhsa_exception_fp_denorm_src 0
		.amdhsa_exception_fp_ieee_div_zero 0
		.amdhsa_exception_fp_ieee_overflow 0
		.amdhsa_exception_fp_ieee_underflow 0
		.amdhsa_exception_fp_ieee_inexact 0
		.amdhsa_exception_int_div_zero 0
	.end_amdhsa_kernel
	.section	.text._ZN9rocsparseL19bsric0_17_32_kernelILi64ELi32ELi32EfEEv20rocsparse_direction_iiPKiS3_PT2_S3_PiS3_S6_21rocsparse_index_base_,"axG",@progbits,_ZN9rocsparseL19bsric0_17_32_kernelILi64ELi32ELi32EfEEv20rocsparse_direction_iiPKiS3_PT2_S3_PiS3_S6_21rocsparse_index_base_,comdat
.Lfunc_end11:
	.size	_ZN9rocsparseL19bsric0_17_32_kernelILi64ELi32ELi32EfEEv20rocsparse_direction_iiPKiS3_PT2_S3_PiS3_S6_21rocsparse_index_base_, .Lfunc_end11-_ZN9rocsparseL19bsric0_17_32_kernelILi64ELi32ELi32EfEEv20rocsparse_direction_iiPKiS3_PT2_S3_PiS3_S6_21rocsparse_index_base_
                                        ; -- End function
	.set _ZN9rocsparseL19bsric0_17_32_kernelILi64ELi32ELi32EfEEv20rocsparse_direction_iiPKiS3_PT2_S3_PiS3_S6_21rocsparse_index_base_.num_vgpr, 36
	.set _ZN9rocsparseL19bsric0_17_32_kernelILi64ELi32ELi32EfEEv20rocsparse_direction_iiPKiS3_PT2_S3_PiS3_S6_21rocsparse_index_base_.num_agpr, 0
	.set _ZN9rocsparseL19bsric0_17_32_kernelILi64ELi32ELi32EfEEv20rocsparse_direction_iiPKiS3_PT2_S3_PiS3_S6_21rocsparse_index_base_.numbered_sgpr, 47
	.set _ZN9rocsparseL19bsric0_17_32_kernelILi64ELi32ELi32EfEEv20rocsparse_direction_iiPKiS3_PT2_S3_PiS3_S6_21rocsparse_index_base_.num_named_barrier, 0
	.set _ZN9rocsparseL19bsric0_17_32_kernelILi64ELi32ELi32EfEEv20rocsparse_direction_iiPKiS3_PT2_S3_PiS3_S6_21rocsparse_index_base_.private_seg_size, 0
	.set _ZN9rocsparseL19bsric0_17_32_kernelILi64ELi32ELi32EfEEv20rocsparse_direction_iiPKiS3_PT2_S3_PiS3_S6_21rocsparse_index_base_.uses_vcc, 1
	.set _ZN9rocsparseL19bsric0_17_32_kernelILi64ELi32ELi32EfEEv20rocsparse_direction_iiPKiS3_PT2_S3_PiS3_S6_21rocsparse_index_base_.uses_flat_scratch, 0
	.set _ZN9rocsparseL19bsric0_17_32_kernelILi64ELi32ELi32EfEEv20rocsparse_direction_iiPKiS3_PT2_S3_PiS3_S6_21rocsparse_index_base_.has_dyn_sized_stack, 0
	.set _ZN9rocsparseL19bsric0_17_32_kernelILi64ELi32ELi32EfEEv20rocsparse_direction_iiPKiS3_PT2_S3_PiS3_S6_21rocsparse_index_base_.has_recursion, 0
	.set _ZN9rocsparseL19bsric0_17_32_kernelILi64ELi32ELi32EfEEv20rocsparse_direction_iiPKiS3_PT2_S3_PiS3_S6_21rocsparse_index_base_.has_indirect_call, 0
	.section	.AMDGPU.csdata,"",@progbits
; Kernel info:
; codeLenInByte = 4460
; TotalNumSgprs: 49
; NumVgprs: 36
; ScratchSize: 0
; MemoryBound: 0
; FloatMode: 240
; IeeeMode: 1
; LDSByteSize: 13056 bytes/workgroup (compile time only)
; SGPRBlocks: 0
; VGPRBlocks: 7
; NumSGPRsForWavesPerEU: 49
; NumVGPRsForWavesPerEU: 113
; NamedBarCnt: 0
; Occupancy: 8
; WaveLimiterHint : 1
; COMPUTE_PGM_RSRC2:SCRATCH_EN: 0
; COMPUTE_PGM_RSRC2:USER_SGPR: 2
; COMPUTE_PGM_RSRC2:TRAP_HANDLER: 0
; COMPUTE_PGM_RSRC2:TGID_X_EN: 1
; COMPUTE_PGM_RSRC2:TGID_Y_EN: 0
; COMPUTE_PGM_RSRC2:TGID_Z_EN: 0
; COMPUTE_PGM_RSRC2:TIDIG_COMP_CNT: 1
	.section	.text._ZN9rocsparseL23bsric0_binsearch_kernelILj64ELj64ELb0EfEEv20rocsparse_direction_iiPKiS3_PT2_S3_PiS3_S6_21rocsparse_index_base_,"axG",@progbits,_ZN9rocsparseL23bsric0_binsearch_kernelILj64ELj64ELb0EfEEv20rocsparse_direction_iiPKiS3_PT2_S3_PiS3_S6_21rocsparse_index_base_,comdat
	.globl	_ZN9rocsparseL23bsric0_binsearch_kernelILj64ELj64ELb0EfEEv20rocsparse_direction_iiPKiS3_PT2_S3_PiS3_S6_21rocsparse_index_base_ ; -- Begin function _ZN9rocsparseL23bsric0_binsearch_kernelILj64ELj64ELb0EfEEv20rocsparse_direction_iiPKiS3_PT2_S3_PiS3_S6_21rocsparse_index_base_
	.p2align	8
	.type	_ZN9rocsparseL23bsric0_binsearch_kernelILj64ELj64ELb0EfEEv20rocsparse_direction_iiPKiS3_PT2_S3_PiS3_S6_21rocsparse_index_base_,@function
_ZN9rocsparseL23bsric0_binsearch_kernelILj64ELj64ELb0EfEEv20rocsparse_direction_iiPKiS3_PT2_S3_PiS3_S6_21rocsparse_index_base_: ; @_ZN9rocsparseL23bsric0_binsearch_kernelILj64ELj64ELb0EfEEv20rocsparse_direction_iiPKiS3_PT2_S3_PiS3_S6_21rocsparse_index_base_
; %bb.0:
	s_load_b256 s[8:15], s[0:1], 0x28
	s_bfe_u32 s2, ttmp6, 0x4000c
	s_and_b32 s3, ttmp6, 15
	s_add_co_i32 s2, s2, 1
	s_getreg_b32 s4, hwreg(HW_REG_IB_STS2, 6, 4)
	s_mul_i32 s2, ttmp9, s2
	s_load_b32 s7, s[0:1], 0x48
	s_add_co_i32 s3, s3, s2
	s_cmp_eq_u32 s4, 0
	s_cselect_b32 s2, ttmp9, s3
	s_delay_alu instid0(SALU_CYCLE_1)
	v_mov_b32_e32 v1, s2
	s_wait_kmcnt 0x0
	global_load_b32 v2, v1, s[12:13] scale_offset
	s_wait_loadcnt 0x0
	global_load_b32 v1, v2, s[8:9] scale_offset
	v_ashrrev_i32_e32 v3, 31, v2
	s_wait_loadcnt 0x0
	v_readfirstlane_b32 s2, v1
	s_cmp_lg_u32 s2, -1
	s_cselect_b32 s2, -1, 0
	s_delay_alu instid0(SALU_CYCLE_1) | instskip(NEXT) | instid1(SALU_CYCLE_1)
	s_and_saveexec_b32 s3, s2
	s_xor_b32 s20, exec_lo, s3
	s_cbranch_execz .LBB12_69
; %bb.1:
	s_load_b32 s21, s[0:1], 0x8
	s_mov_b32 s22, exec_lo
	s_wait_kmcnt 0x0
	v_cmpx_gt_i32_e64 s21, v0
	s_cbranch_execz .LBB12_66
; %bb.2:
	s_clause 0x2
	s_load_b128 s[16:19], s[0:1], 0x10
	s_load_b32 s5, s[0:1], 0x0
	s_load_b64 s[12:13], s[0:1], 0x20
	s_mul_i32 s23, s21, s21
	s_wait_xcnt 0x0
	v_cmp_ne_u32_e64 s0, 0, v0
	v_mul_lo_u32 v17, v1, s23
	s_mov_b32 s24, 0
	v_add_nc_u32_e32 v14, s7, v2
	s_wait_kmcnt 0x0
	v_lshl_add_u64 v[4:5], v[2:3], 2, s[16:17]
	s_cmp_eq_u32 s5, 0
	s_cselect_b32 s1, -1, 0
	s_cmp_lg_u32 s5, 0
	global_load_b64 v[4:5], v[4:5], off
	s_cselect_b32 s25, -1, 0
	s_wait_loadcnt 0x0
	v_subrev_nc_u32_e32 v12, s7, v4
	v_xad_u32 v13, s7, -1, v5
	s_delay_alu instid0(VALU_DEP_2) | instskip(NEXT) | instid1(VALU_DEP_2)
	v_mul_lo_u32 v15, s23, v12
	v_dual_add_nc_u32 v4, v13, v12 :: v_dual_mov_b32 v16, 0
	v_cmp_lt_i32_e64 s2, v12, v1
	v_cmp_ge_i32_e64 s3, v12, v1
	v_cmp_lt_i32_e64 s4, v12, v13
	s_delay_alu instid0(VALU_DEP_4) | instskip(NEXT) | instid1(VALU_DEP_1)
	v_ashrrev_i32_e32 v4, 1, v4
	v_ashrrev_i32_e32 v5, 31, v4
	v_add_nc_u32_e32 v18, v15, v0
	s_delay_alu instid0(VALU_DEP_2)
	v_lshl_add_u64 v[6:7], v[4:5], 2, s[18:19]
	v_mov_b32_e32 v5, v0
	s_branch .LBB12_4
.LBB12_3:                               ;   in Loop: Header=BB12_4 Depth=1
	v_dual_add_nc_u32 v5, 64, v5 :: v_dual_add_nc_u32 v18, 64, v18
	s_delay_alu instid0(VALU_DEP_1) | instskip(SKIP_1) | instid1(SALU_CYCLE_1)
	v_cmp_le_i32_e32 vcc_lo, s21, v5
	s_or_b32 s24, vcc_lo, s24
	s_and_not1_b32 exec_lo, exec_lo, s24
	s_cbranch_execz .LBB12_66
.LBB12_4:                               ; =>This Loop Header: Depth=1
                                        ;     Child Loop BB12_9 Depth 2
                                        ;       Child Loop BB12_12 Depth 3
                                        ;       Child Loop BB12_16 Depth 3
                                        ;         Child Loop BB12_18 Depth 4
                                        ;         Child Loop BB12_25 Depth 4
                                        ;           Child Loop BB12_27 Depth 5
                                        ;           Child Loop BB12_33 Depth 5
                                        ;     Child Loop BB12_40 Depth 2
                                        ;       Child Loop BB12_44 Depth 3
                                        ;       Child Loop BB12_52 Depth 3
                                        ;         Child Loop BB12_54 Depth 4
                                        ;       Child Loop BB12_62 Depth 3
	s_delay_alu instid0(VALU_DEP_1) | instskip(SKIP_1) | instid1(SALU_CYCLE_1)
	v_mul_lo_u32 v19, v5, s21
	s_and_saveexec_b32 s5, s3
	s_xor_b32 s5, exec_lo, s5
; %bb.5:                                ;   in Loop: Header=BB12_4 Depth=1
	v_mul_lo_u32 v19, v5, s21
; %bb.6:                                ;   in Loop: Header=BB12_4 Depth=1
	s_or_saveexec_b32 s26, s5
	v_mov_b32_e32 v20, 0
	s_xor_b32 exec_lo, exec_lo, s26
	s_cbranch_execz .LBB12_37
; %bb.7:                                ;   in Loop: Header=BB12_4 Depth=1
	v_dual_mov_b32 v20, 0 :: v_dual_mov_b32 v21, v12
	s_mov_b32 s27, 0
	s_branch .LBB12_9
.LBB12_8:                               ;   in Loop: Header=BB12_9 Depth=2
	s_wait_xcnt 0x0
	s_or_b32 exec_lo, exec_lo, s28
	v_add_nc_u32_e32 v21, 1, v21
	s_xor_b32 s5, s5, -1
	s_delay_alu instid0(VALU_DEP_1) | instskip(SKIP_1) | instid1(SALU_CYCLE_1)
	v_cmp_ge_i32_e32 vcc_lo, v21, v1
	s_or_b32 s5, s5, vcc_lo
	s_and_b32 s5, exec_lo, s5
	s_delay_alu instid0(SALU_CYCLE_1) | instskip(NEXT) | instid1(SALU_CYCLE_1)
	s_or_b32 s27, s5, s27
	s_and_not1_b32 exec_lo, exec_lo, s27
	s_cbranch_execz .LBB12_36
.LBB12_9:                               ;   Parent Loop BB12_4 Depth=1
                                        ; =>  This Loop Header: Depth=2
                                        ;       Child Loop BB12_12 Depth 3
                                        ;       Child Loop BB12_16 Depth 3
                                        ;         Child Loop BB12_18 Depth 4
                                        ;         Child Loop BB12_25 Depth 4
                                        ;           Child Loop BB12_27 Depth 5
                                        ;           Child Loop BB12_33 Depth 5
	global_load_b32 v22, v21, s[18:19] scale_offset
	s_wait_loadcnt 0x0
	v_subrev_nc_u32_e32 v8, s7, v22
	global_load_b32 v23, v8, s[8:9] scale_offset
	s_wait_loadcnt 0x0
	v_cmp_ne_u32_e64 s5, -1, v23
	s_wait_xcnt 0x0
	s_and_saveexec_b32 s28, s5
	s_cbranch_execz .LBB12_8
; %bb.10:                               ;   in Loop: Header=BB12_9 Depth=2
	v_ashrrev_i32_e32 v9, 31, v8
	s_mov_b32 s6, exec_lo
	s_delay_alu instid0(VALU_DEP_1) | instskip(NEXT) | instid1(VALU_DEP_1)
	v_lshlrev_b64_e32 v[10:11], 2, v[8:9]
	v_add_nc_u64_e32 v[24:25], s[16:17], v[10:11]
	v_add_nc_u64_e32 v[10:11], s[10:11], v[10:11]
	global_load_b32 v9, v[24:25], off
	global_load_b32 v26, v[10:11], off scope:SCOPE_DEV
	s_wait_loadcnt 0x0
	s_wait_xcnt 0x0
	v_cmpx_eq_u32_e32 0, v26
	s_cbranch_execz .LBB12_13
; %bb.11:                               ;   in Loop: Header=BB12_9 Depth=2
	s_mov_b32 s29, 0
.LBB12_12:                              ;   Parent Loop BB12_4 Depth=1
                                        ;     Parent Loop BB12_9 Depth=2
                                        ; =>    This Inner Loop Header: Depth=3
	global_load_b32 v24, v[10:11], off scope:SCOPE_DEV
	s_wait_loadcnt 0x0
	v_cmp_ne_u32_e32 vcc_lo, 0, v24
	s_or_b32 s29, vcc_lo, s29
	s_wait_xcnt 0x0
	s_and_not1_b32 exec_lo, exec_lo, s29
	s_cbranch_execnz .LBB12_12
.LBB12_13:                              ;   in Loop: Header=BB12_9 Depth=2
	s_or_b32 exec_lo, exec_lo, s6
	v_mul_lo_u32 v27, v21, s23
	v_subrev_nc_u32_e32 v10, s7, v9
	v_mul_lo_u32 v11, v8, s21
	v_mul_lo_u32 v24, v23, s23
	s_mov_b32 s29, 0
	global_inv scope:SCOPE_DEV
	v_mul_lo_u32 v25, s23, v10
	v_cmp_le_i32_e64 s6, v10, v23
	v_dual_add_nc_u32 v26, v27, v5 :: v_dual_add_nc_u32 v27, v27, v19
	s_branch .LBB12_16
.LBB12_14:                              ;   in Loop: Header=BB12_16 Depth=3
	s_or_b32 exec_lo, exec_lo, s33
.LBB12_15:                              ;   in Loop: Header=BB12_16 Depth=3
	s_delay_alu instid0(SALU_CYCLE_1)
	s_or_b32 exec_lo, exec_lo, s31
	s_wait_loadcnt 0x0
	v_dual_ashrrev_i32 v9, 31, v8 :: v_dual_sub_f32 v29, v29, v30
	s_add_co_i32 s29, s29, 1
	v_add_nc_u32_e32 v25, 1, v25
	s_cmp_eq_u32 s29, s21
	s_delay_alu instid0(VALU_DEP_2) | instskip(SKIP_2) | instid1(VALU_DEP_2)
	v_lshl_add_u64 v[8:9], v[8:9], 2, s[12:13]
	v_div_scale_f32 v30, null, v28, v28, v29
	v_div_scale_f32 v33, vcc_lo, v29, v28, v29
	v_rcp_f32_e32 v31, v30
	v_nop
	s_delay_alu instid0(TRANS32_DEP_1) | instskip(NEXT) | instid1(VALU_DEP_1)
	v_fma_f32 v32, -v30, v31, 1.0
	v_fmac_f32_e32 v31, v32, v31
	s_delay_alu instid0(VALU_DEP_1) | instskip(NEXT) | instid1(VALU_DEP_1)
	v_mul_f32_e32 v32, v33, v31
	v_fma_f32 v34, -v30, v32, v33
	s_delay_alu instid0(VALU_DEP_1) | instskip(NEXT) | instid1(VALU_DEP_1)
	v_fmac_f32_e32 v32, v34, v31
	v_fma_f32 v30, -v30, v32, v33
	s_delay_alu instid0(VALU_DEP_1) | instskip(NEXT) | instid1(VALU_DEP_1)
	v_div_fmas_f32 v30, v30, v31, v32
	v_div_fixup_f32 v28, v30, v28, v29
	s_delay_alu instid0(VALU_DEP_1)
	v_fmac_f32_e32 v20, v28, v28
	global_store_b32 v[8:9], v28, off
	s_cbranch_scc1 .LBB12_8
.LBB12_16:                              ;   Parent Loop BB12_4 Depth=1
                                        ;     Parent Loop BB12_9 Depth=2
                                        ; =>    This Loop Header: Depth=3
                                        ;         Child Loop BB12_18 Depth 4
                                        ;         Child Loop BB12_25 Depth 4
                                        ;           Child Loop BB12_27 Depth 5
                                        ;           Child Loop BB12_33 Depth 5
	s_mul_i32 s30, s29, s21
	s_wait_xcnt 0x0
	v_add3_u32 v8, s30, s29, v24
	global_load_b32 v8, v8, s[12:13] scale_offset
	s_wait_loadcnt 0x0
	v_cmp_neq_f32_e32 vcc_lo, 0, v8
	v_cndmask_b32_e32 v28, 1.0, v8, vcc_lo
	s_nor_b32 s33, vcc_lo, s0
	s_wait_xcnt 0x0
	s_and_saveexec_b32 s31, s33
	s_cbranch_execz .LBB12_22
; %bb.17:                               ;   in Loop: Header=BB12_16 Depth=3
	s_mov_b32 s34, exec_lo
	s_brev_b32 s33, -2
.LBB12_18:                              ;   Parent Loop BB12_4 Depth=1
                                        ;     Parent Loop BB12_9 Depth=2
                                        ;       Parent Loop BB12_16 Depth=3
                                        ; =>      This Inner Loop Header: Depth=4
	s_ctz_i32_b32 s35, s34
	s_delay_alu instid0(SALU_CYCLE_1) | instskip(SKIP_1) | instid1(SALU_CYCLE_1)
	v_readlane_b32 s36, v22, s35
	s_lshl_b32 s35, 1, s35
	s_and_not1_b32 s34, s34, s35
	s_min_i32 s33, s33, s36
	s_cmp_lg_u32 s34, 0
	s_cbranch_scc1 .LBB12_18
; %bb.19:                               ;   in Loop: Header=BB12_16 Depth=3
	v_mbcnt_lo_u32_b32 v8, exec_lo, 0
	s_mov_b32 s34, exec_lo
	s_delay_alu instid0(VALU_DEP_1)
	v_cmpx_eq_u32_e32 0, v8
	s_xor_b32 s34, exec_lo, s34
	s_cbranch_execz .LBB12_21
; %bb.20:                               ;   in Loop: Header=BB12_16 Depth=3
	v_mov_b32_e32 v8, s33
	global_atomic_min_i32 v16, v8, s[14:15] scope:SCOPE_DEV
.LBB12_21:                              ;   in Loop: Header=BB12_16 Depth=3
	s_wait_xcnt 0x0
	s_or_b32 exec_lo, exec_lo, s34
	v_mov_b32_e32 v28, 1.0
.LBB12_22:                              ;   in Loop: Header=BB12_16 Depth=3
	s_or_b32 exec_lo, exec_lo, s31
	v_dual_add_nc_u32 v8, s30, v26 :: v_dual_add_nc_u32 v9, s29, v27
	s_delay_alu instid0(VALU_DEP_1)
	v_dual_mov_b32 v30, 0 :: v_dual_cndmask_b32 v8, v8, v9, s1
	global_load_b32 v29, v8, s[12:13] scale_offset
	s_wait_xcnt 0x0
	s_and_saveexec_b32 s31, s6
	s_cbranch_execz .LBB12_15
; %bb.23:                               ;   in Loop: Header=BB12_16 Depth=3
	global_load_b32 v9, v[6:7], off
	v_dual_mov_b32 v30, 0 :: v_dual_add_nc_u32 v31, s29, v11
	v_dual_mov_b32 v32, v25 :: v_dual_mov_b32 v33, v10
	s_mov_b32 s33, 0
	s_branch .LBB12_25
.LBB12_24:                              ;   in Loop: Header=BB12_25 Depth=4
	s_or_b32 exec_lo, exec_lo, s34
	v_dual_add_nc_u32 v34, 1, v33 :: v_dual_add_nc_u32 v32, s23, v32
	v_cmp_ge_i32_e32 vcc_lo, v33, v23
	s_delay_alu instid0(VALU_DEP_2) | instskip(SKIP_1) | instid1(SALU_CYCLE_1)
	v_mov_b32_e32 v33, v34
	s_or_b32 s33, vcc_lo, s33
	s_and_not1_b32 exec_lo, exec_lo, s33
	s_cbranch_execz .LBB12_14
.LBB12_25:                              ;   Parent Loop BB12_4 Depth=1
                                        ;     Parent Loop BB12_9 Depth=2
                                        ;       Parent Loop BB12_16 Depth=3
                                        ; =>      This Loop Header: Depth=4
                                        ;           Child Loop BB12_27 Depth 5
                                        ;           Child Loop BB12_33 Depth 5
	global_load_b32 v34, v33, s[18:19] scale_offset
	s_wait_loadcnt 0x1
	v_dual_mov_b32 v36, v9 :: v_dual_mov_b32 v35, v4
	s_wait_xcnt 0x0
	s_and_saveexec_b32 s34, s4
	s_cbranch_execz .LBB12_29
; %bb.26:                               ;   in Loop: Header=BB12_25 Depth=4
	v_dual_mov_b32 v36, v9 :: v_dual_mov_b32 v35, v4
	v_dual_mov_b32 v37, v13 :: v_dual_mov_b32 v38, v12
	s_mov_b32 s35, 0
.LBB12_27:                              ;   Parent Loop BB12_4 Depth=1
                                        ;     Parent Loop BB12_9 Depth=2
                                        ;       Parent Loop BB12_16 Depth=3
                                        ;         Parent Loop BB12_25 Depth=4
                                        ; =>        This Inner Loop Header: Depth=5
	s_wait_loadcnt 0x0
	s_delay_alu instid0(VALU_DEP_2) | instskip(NEXT) | instid1(VALU_DEP_2)
	v_cmp_lt_i32_e32 vcc_lo, v36, v34
	v_dual_add_nc_u32 v39, 1, v35 :: v_dual_cndmask_b32 v37, v35, v37, vcc_lo
	s_delay_alu instid0(VALU_DEP_1) | instskip(NEXT) | instid1(VALU_DEP_1)
	v_cndmask_b32_e32 v38, v38, v39, vcc_lo
	v_add_nc_u32_e32 v35, v37, v38
	v_cmp_ge_i32_e32 vcc_lo, v38, v37
	s_delay_alu instid0(VALU_DEP_2)
	v_ashrrev_i32_e32 v35, 1, v35
	s_or_b32 s35, vcc_lo, s35
	global_load_b32 v36, v35, s[18:19] scale_offset
	s_wait_xcnt 0x0
	s_and_not1_b32 exec_lo, exec_lo, s35
	s_cbranch_execnz .LBB12_27
; %bb.28:                               ;   in Loop: Header=BB12_25 Depth=4
	s_or_b32 exec_lo, exec_lo, s35
.LBB12_29:                              ;   in Loop: Header=BB12_25 Depth=4
	s_delay_alu instid0(SALU_CYCLE_1) | instskip(NEXT) | instid1(SALU_CYCLE_1)
	s_or_b32 exec_lo, exec_lo, s34
	s_mov_b32 s34, exec_lo
	s_wait_loadcnt 0x0
	v_cmpx_eq_u32_e64 v36, v34
	s_cbranch_execz .LBB12_24
; %bb.30:                               ;   in Loop: Header=BB12_25 Depth=4
	v_mul_lo_u32 v37, v35, s23
	v_subrev_nc_u32_e32 v35, s7, v34
	v_mad_u32 v34, v33, s23, s30
	s_mov_b32 s35, 0
	v_mov_b32_e32 v38, v32
	s_delay_alu instid0(VALU_DEP_3)
	v_mul_lo_u32 v35, v35, s21
	v_add_nc_u32_e32 v36, v37, v19
	v_add_nc_u32_e32 v37, v5, v37
	s_branch .LBB12_33
.LBB12_31:                              ;   in Loop: Header=BB12_33 Depth=5
	s_clause 0x1
	global_load_b32 v41, v39, s[12:13] scale_offset
	global_load_b32 v42, v40, s[12:13] scale_offset
	s_wait_loadcnt 0x0
	v_fmac_f32_e32 v30, v41, v42
.LBB12_32:                              ;   in Loop: Header=BB12_33 Depth=5
	s_wait_xcnt 0x0
	s_or_b32 exec_lo, exec_lo, s36
	v_dual_add_nc_u32 v37, s21, v37 :: v_dual_add_nc_u32 v38, s21, v38
	s_add_co_i32 s35, s35, 1
	s_delay_alu instid0(SALU_CYCLE_1)
	s_cmp_lg_u32 s21, s35
	s_cbranch_scc0 .LBB12_24
.LBB12_33:                              ;   Parent Loop BB12_4 Depth=1
                                        ;     Parent Loop BB12_9 Depth=2
                                        ;       Parent Loop BB12_16 Depth=3
                                        ;         Parent Loop BB12_25 Depth=4
                                        ; =>        This Inner Loop Header: Depth=5
	s_delay_alu instid0(VALU_DEP_3) | instskip(SKIP_1) | instid1(VALU_DEP_1)
	v_add_nc_u32_e32 v39, s35, v35
	s_mov_b32 s36, exec_lo
	v_cmpx_lt_i32_e64 v39, v31
	s_cbranch_execz .LBB12_32
; %bb.34:                               ;   in Loop: Header=BB12_33 Depth=5
	v_dual_mov_b32 v40, v37 :: v_dual_mov_b32 v39, v38
	s_and_not1_b32 vcc_lo, exec_lo, s1
	s_cbranch_vccnz .LBB12_31
; %bb.35:                               ;   in Loop: Header=BB12_33 Depth=5
	v_dual_add_nc_u32 v39, s35, v34 :: v_dual_add_nc_u32 v40, s35, v36
	s_branch .LBB12_31
.LBB12_36:                              ;   in Loop: Header=BB12_4 Depth=1
	s_or_b32 exec_lo, exec_lo, s27
.LBB12_37:                              ;   in Loop: Header=BB12_4 Depth=1
	s_delay_alu instid0(SALU_CYCLE_1) | instskip(NEXT) | instid1(VALU_DEP_2)
	s_or_b32 exec_lo, exec_lo, s26
	v_add_nc_u32_e32 v10, v19, v17
	v_mov_b32_e32 v11, v15
	s_mov_b32 s6, 0
	s_branch .LBB12_40
.LBB12_38:                              ;   in Loop: Header=BB12_40 Depth=2
	s_wait_loadcnt 0x0
	s_delay_alu instid0(VALU_DEP_1) | instskip(NEXT) | instid1(VALU_DEP_1)
	v_sub_f32_e32 v21, v23, v24
	v_div_scale_f32 v23, null, v22, v22, v21
	s_delay_alu instid0(VALU_DEP_1) | instskip(SKIP_1) | instid1(TRANS32_DEP_1)
	v_rcp_f32_e32 v24, v23
	v_nop
	v_fma_f32 v25, -v23, v24, 1.0
	s_delay_alu instid0(VALU_DEP_1) | instskip(SKIP_2) | instid1(VALU_DEP_1)
	v_fmac_f32_e32 v24, v25, v24
	v_div_scale_f32 v25, vcc_lo, v21, v22, v21
	s_wait_xcnt 0x1
	v_mul_f32_e32 v26, v25, v24
	s_wait_xcnt 0x0
	s_delay_alu instid0(VALU_DEP_1) | instskip(NEXT) | instid1(VALU_DEP_1)
	v_fma_f32 v27, -v23, v26, v25
	v_fmac_f32_e32 v26, v27, v24
	s_delay_alu instid0(VALU_DEP_1) | instskip(NEXT) | instid1(VALU_DEP_1)
	v_fma_f32 v23, -v23, v26, v25
	v_div_fmas_f32 v23, v23, v24, v26
	s_delay_alu instid0(VALU_DEP_1) | instskip(NEXT) | instid1(VALU_DEP_1)
	v_div_fixup_f32 v21, v23, v22, v21
	v_fmac_f32_e32 v20, v21, v21
	global_store_b32 v[8:9], v21, off
.LBB12_39:                              ;   in Loop: Header=BB12_40 Depth=2
	s_wait_xcnt 0x0
	s_or_b32 exec_lo, exec_lo, s5
	v_add_nc_u32_e32 v11, 1, v11
	s_add_co_i32 s6, s6, 1
	global_wb scope:SCOPE_DEV
	s_wait_storecnt 0x0
	global_inv scope:SCOPE_DEV
	s_cmp_eq_u32 s6, s21
	s_cbranch_scc1 .LBB12_3
.LBB12_40:                              ;   Parent Loop BB12_4 Depth=1
                                        ; =>  This Loop Header: Depth=2
                                        ;       Child Loop BB12_44 Depth 3
                                        ;       Child Loop BB12_52 Depth 3
                                        ;         Child Loop BB12_54 Depth 4
                                        ;       Child Loop BB12_62 Depth 3
	s_mul_i32 s26, s6, s21
	s_mov_b32 s27, exec_lo
	v_add_nc_u32_e32 v21, s26, v17
	s_delay_alu instid0(VALU_DEP_1) | instskip(NEXT) | instid1(VALU_DEP_1)
	v_add_nc_u32_e32 v8, s6, v21
	v_ashrrev_i32_e32 v9, 31, v8
	s_delay_alu instid0(VALU_DEP_1)
	v_lshl_add_u64 v[8:9], v[8:9], 2, s[12:13]
	v_cmpx_eq_u32_e64 s6, v5
	s_cbranch_execz .LBB12_42
; %bb.41:                               ;   in Loop: Header=BB12_40 Depth=2
	global_load_b32 v22, v[8:9], off
	s_wait_loadcnt 0x0
	v_sub_f32_e32 v22, v22, v20
	s_delay_alu instid0(VALU_DEP_1) | instskip(SKIP_1) | instid1(VALU_DEP_1)
	v_cmp_gt_f32_e32 vcc_lo, 0, v22
	v_cndmask_b32_e64 v22, v22, -v22, vcc_lo
	v_mul_f32_e32 v23, 0x4f800000, v22
	v_cmp_gt_f32_e32 vcc_lo, 0xf800000, v22
	s_delay_alu instid0(VALU_DEP_2) | instskip(NEXT) | instid1(VALU_DEP_1)
	v_cndmask_b32_e32 v22, v22, v23, vcc_lo
	v_sqrt_f32_e32 v23, v22
	v_nop
	s_delay_alu instid0(TRANS32_DEP_1) | instskip(NEXT) | instid1(VALU_DEP_1)
	v_dual_add_nc_u32 v24, -1, v23 :: v_dual_add_nc_u32 v25, 1, v23
	v_dual_fma_f32 v26, -v24, v23, v22 :: v_dual_fma_f32 v27, -v25, v23, v22
	s_delay_alu instid0(VALU_DEP_1) | instskip(NEXT) | instid1(VALU_DEP_1)
	v_cmp_ge_f32_e64 s5, 0, v26
	v_cndmask_b32_e64 v23, v23, v24, s5
	s_delay_alu instid0(VALU_DEP_3) | instskip(NEXT) | instid1(VALU_DEP_1)
	v_cmp_lt_f32_e64 s5, 0, v27
	v_cndmask_b32_e64 v23, v23, v25, s5
	s_delay_alu instid0(VALU_DEP_1) | instskip(NEXT) | instid1(VALU_DEP_1)
	v_mul_f32_e32 v24, 0x37800000, v23
	v_cndmask_b32_e32 v23, v23, v24, vcc_lo
	v_cmp_class_f32_e64 vcc_lo, v22, 0x260
	s_delay_alu instid0(VALU_DEP_2)
	v_cndmask_b32_e32 v22, v23, v22, vcc_lo
	global_store_b32 v[8:9], v22, off
.LBB12_42:                              ;   in Loop: Header=BB12_40 Depth=2
	s_wait_xcnt 0x0
	s_or_b32 exec_lo, exec_lo, s27
	global_wb scope:SCOPE_DEV
	s_wait_storecnt 0x0
	global_inv scope:SCOPE_DEV
	global_load_b32 v8, v[8:9], off
	s_wait_loadcnt 0x0
	v_cmp_neq_f32_e32 vcc_lo, 0, v8
	v_cndmask_b32_e32 v22, 1.0, v8, vcc_lo
	s_nor_b32 s27, vcc_lo, s0
	s_wait_xcnt 0x0
	s_and_saveexec_b32 s5, s27
	s_cbranch_execz .LBB12_48
; %bb.43:                               ;   in Loop: Header=BB12_40 Depth=2
	s_mov_b32 s28, exec_lo
	s_brev_b32 s27, -2
.LBB12_44:                              ;   Parent Loop BB12_4 Depth=1
                                        ;     Parent Loop BB12_40 Depth=2
                                        ; =>    This Inner Loop Header: Depth=3
	s_ctz_i32_b32 s29, s28
	s_delay_alu instid0(SALU_CYCLE_1) | instskip(SKIP_1) | instid1(SALU_CYCLE_1)
	v_readlane_b32 s30, v14, s29
	s_lshl_b32 s29, 1, s29
	s_and_not1_b32 s28, s28, s29
	s_min_i32 s27, s27, s30
	s_cmp_lg_u32 s28, 0
	s_cbranch_scc1 .LBB12_44
; %bb.45:                               ;   in Loop: Header=BB12_40 Depth=2
	v_mbcnt_lo_u32_b32 v8, exec_lo, 0
	s_mov_b32 s28, exec_lo
	s_delay_alu instid0(VALU_DEP_1)
	v_cmpx_eq_u32_e32 0, v8
	s_xor_b32 s28, exec_lo, s28
	s_cbranch_execz .LBB12_47
; %bb.46:                               ;   in Loop: Header=BB12_40 Depth=2
	v_mov_b32_e32 v8, s27
	global_atomic_min_i32 v16, v8, s[14:15] scope:SCOPE_DEV
.LBB12_47:                              ;   in Loop: Header=BB12_40 Depth=2
	s_wait_xcnt 0x0
	s_or_b32 exec_lo, exec_lo, s28
	v_mov_b32_e32 v22, 1.0
.LBB12_48:                              ;   in Loop: Header=BB12_40 Depth=2
	s_or_b32 exec_lo, exec_lo, s5
	s_delay_alu instid0(SALU_CYCLE_1)
	s_mov_b32 s5, exec_lo
	v_cmpx_lt_i32_e64 s6, v5
	s_cbranch_execz .LBB12_39
; %bb.49:                               ;   in Loop: Header=BB12_40 Depth=2
	v_dual_add_nc_u32 v8, v21, v5 :: v_dual_add_nc_u32 v9, s6, v10
	s_delay_alu instid0(VALU_DEP_1)
	v_dual_mov_b32 v24, 0 :: v_dual_cndmask_b32 v8, v8, v9, s1
	global_load_b32 v23, v8, s[12:13] scale_offset
	s_wait_xcnt 0x0
	s_and_saveexec_b32 s27, s2
	s_cbranch_execz .LBB12_59
; %bb.50:                               ;   in Loop: Header=BB12_40 Depth=2
	v_dual_mov_b32 v24, 0 :: v_dual_mov_b32 v9, v11
	v_dual_mov_b32 v25, v18 :: v_dual_mov_b32 v26, v12
	s_mov_b32 s28, 0
	s_branch .LBB12_52
.LBB12_51:                              ;   in Loop: Header=BB12_52 Depth=3
	v_dual_add_nc_u32 v26, 1, v26 :: v_dual_add_nc_u32 v25, s23, v25
	v_add_nc_u32_e32 v9, s23, v9
	s_delay_alu instid0(VALU_DEP_2)
	v_cmp_ge_i32_e32 vcc_lo, v26, v1
	s_or_b32 s28, vcc_lo, s28
	s_wait_xcnt 0x0
	s_and_not1_b32 exec_lo, exec_lo, s28
	s_cbranch_execz .LBB12_58
.LBB12_52:                              ;   Parent Loop BB12_4 Depth=1
                                        ;     Parent Loop BB12_40 Depth=2
                                        ; =>    This Loop Header: Depth=3
                                        ;         Child Loop BB12_54 Depth 4
	s_delay_alu instid0(VALU_DEP_1) | instskip(SKIP_3) | instid1(VALU_DEP_1)
	v_mul_lo_u32 v28, v26, s23
	s_mov_b32 s29, s21
	s_mov_b32 s30, 0
	s_mov_b32 s31, 0
	v_dual_add_nc_u32 v27, s26, v28 :: v_dual_add_nc_u32 v28, v28, v19
	s_branch .LBB12_54
.LBB12_53:                              ;   in Loop: Header=BB12_54 Depth=4
	s_clause 0x1
	global_load_b32 v31, v29, s[12:13] scale_offset
	global_load_b32 v32, v30, s[12:13] scale_offset
	s_add_co_i32 s29, s29, -1
	s_add_co_i32 s31, s31, 1
	s_add_co_i32 s30, s30, s21
	s_cmp_eq_u32 s29, 0
	s_wait_loadcnt 0x0
	v_fmac_f32_e32 v24, v31, v32
	s_cbranch_scc1 .LBB12_51
.LBB12_54:                              ;   Parent Loop BB12_4 Depth=1
                                        ;     Parent Loop BB12_40 Depth=2
                                        ;       Parent Loop BB12_52 Depth=3
                                        ; =>      This Inner Loop Header: Depth=4
	s_and_b32 vcc_lo, exec_lo, s25
	s_mov_b32 s33, -1
                                        ; implicit-def: $vgpr29
                                        ; implicit-def: $vgpr30
	s_cbranch_vccz .LBB12_56
; %bb.55:                               ;   in Loop: Header=BB12_54 Depth=4
	s_wait_xcnt 0x1
	v_add_nc_u32_e32 v29, s30, v9
	s_wait_xcnt 0x0
	v_add_nc_u32_e32 v30, s30, v25
	s_mov_b32 s33, 0
.LBB12_56:                              ;   in Loop: Header=BB12_54 Depth=4
	s_delay_alu instid0(SALU_CYCLE_1)
	s_and_not1_b32 vcc_lo, exec_lo, s33
	s_cbranch_vccnz .LBB12_53
; %bb.57:                               ;   in Loop: Header=BB12_54 Depth=4
	s_wait_xcnt 0x0
	v_dual_add_nc_u32 v29, s31, v27 :: v_dual_add_nc_u32 v30, s31, v28
	s_branch .LBB12_53
.LBB12_58:                              ;   in Loop: Header=BB12_40 Depth=2
	s_or_b32 exec_lo, exec_lo, s28
.LBB12_59:                              ;   in Loop: Header=BB12_40 Depth=2
	s_delay_alu instid0(SALU_CYCLE_1) | instskip(SKIP_2) | instid1(VALU_DEP_1)
	s_or_b32 exec_lo, exec_lo, s27
	v_ashrrev_i32_e32 v9, 31, v8
	s_cmp_eq_u32 s6, 0
	v_lshl_add_u64 v[8:9], v[8:9], 2, s[12:13]
	s_cbranch_scc1 .LBB12_38
; %bb.60:                               ;   in Loop: Header=BB12_40 Depth=2
	v_mov_b32_e32 v25, v17
	s_mov_b32 s26, 0
	s_branch .LBB12_62
.LBB12_61:                              ;   in Loop: Header=BB12_62 Depth=3
	s_clause 0x1
	global_load_b32 v28, v26, s[12:13] scale_offset
	global_load_b32 v29, v27, s[12:13] scale_offset
	v_add_nc_u32_e32 v25, s21, v25
	s_add_co_i32 s26, s26, 1
	s_delay_alu instid0(SALU_CYCLE_1)
	s_cmp_eq_u32 s6, s26
	s_wait_loadcnt 0x0
	v_fmac_f32_e32 v24, v28, v29
	s_cbranch_scc1 .LBB12_38
.LBB12_62:                              ;   Parent Loop BB12_4 Depth=1
                                        ;     Parent Loop BB12_40 Depth=2
                                        ; =>    This Inner Loop Header: Depth=3
	s_and_b32 vcc_lo, exec_lo, s25
	s_mov_b32 s27, -1
                                        ; implicit-def: $vgpr26
                                        ; implicit-def: $vgpr27
	s_cbranch_vccz .LBB12_64
; %bb.63:                               ;   in Loop: Header=BB12_62 Depth=3
	s_wait_xcnt 0x0
	v_dual_add_nc_u32 v26, s6, v25 :: v_dual_add_nc_u32 v27, v5, v25
	s_mov_b32 s27, 0
.LBB12_64:                              ;   in Loop: Header=BB12_62 Depth=3
	s_delay_alu instid0(SALU_CYCLE_1)
	s_and_not1_b32 vcc_lo, exec_lo, s27
	s_cbranch_vccnz .LBB12_61
; %bb.65:                               ;   in Loop: Header=BB12_62 Depth=3
	s_wait_xcnt 0x0
	v_dual_add_nc_u32 v26, s26, v21 :: v_dual_add_nc_u32 v27, s26, v10
	s_branch .LBB12_61
.LBB12_66:
	s_or_b32 exec_lo, exec_lo, s22
	s_delay_alu instid0(SALU_CYCLE_1)
	s_mov_b32 s0, exec_lo
	v_cmpx_eq_u32_e32 63, v0
	s_cbranch_execz .LBB12_68
; %bb.67:
	v_lshl_add_u64 v[0:1], v[2:3], 2, s[10:11]
	v_mov_b32_e32 v2, 1
	global_wb scope:SCOPE_DEV
	s_wait_loadcnt 0x0
	s_wait_storecnt 0x0
	global_store_b32 v[0:1], v2, off scope:SCOPE_DEV
.LBB12_68:
	s_wait_xcnt 0x0
	s_or_b32 exec_lo, exec_lo, s0
                                        ; implicit-def: $vgpr0
                                        ; implicit-def: $vgpr2_vgpr3
.LBB12_69:
	s_and_not1_saveexec_b32 s0, s20
	s_cbranch_execz .LBB12_76
; %bb.70:
	s_mov_b32 s0, exec_lo
	v_cmpx_eq_u32_e32 63, v0
	s_cbranch_execz .LBB12_76
; %bb.71:
	v_add_nc_u32_e32 v0, s7, v2
	s_mov_b32 s1, exec_lo
	s_brev_b32 s0, -2
.LBB12_72:                              ; =>This Inner Loop Header: Depth=1
	s_ctz_i32_b32 s2, s1
	s_delay_alu instid0(VALU_DEP_1) | instid1(SALU_CYCLE_1)
	v_readlane_b32 s3, v0, s2
	s_lshl_b32 s2, 1, s2
	s_delay_alu instid0(SALU_CYCLE_1)
	s_and_not1_b32 s1, s1, s2
	s_min_i32 s0, s0, s3
	s_cmp_lg_u32 s1, 0
	s_cbranch_scc1 .LBB12_72
; %bb.73:
	v_mbcnt_lo_u32_b32 v0, exec_lo, 0
	s_mov_b32 s1, exec_lo
	s_delay_alu instid0(VALU_DEP_1)
	v_cmpx_eq_u32_e32 0, v0
	s_xor_b32 s1, exec_lo, s1
	s_cbranch_execz .LBB12_75
; %bb.74:
	v_dual_mov_b32 v0, 0 :: v_dual_mov_b32 v1, s0
	global_atomic_min_i32 v0, v1, s[14:15] scope:SCOPE_DEV
.LBB12_75:
	s_wait_xcnt 0x0
	s_or_b32 exec_lo, exec_lo, s1
	v_lshl_add_u64 v[0:1], v[2:3], 2, s[10:11]
	v_mov_b32_e32 v2, 1
	global_wb scope:SCOPE_DEV
	s_wait_loadcnt 0x0
	s_wait_storecnt 0x0
	global_store_b32 v[0:1], v2, off scope:SCOPE_DEV
.LBB12_76:
	s_endpgm
	.section	.rodata,"a",@progbits
	.p2align	6, 0x0
	.amdhsa_kernel _ZN9rocsparseL23bsric0_binsearch_kernelILj64ELj64ELb0EfEEv20rocsparse_direction_iiPKiS3_PT2_S3_PiS3_S6_21rocsparse_index_base_
		.amdhsa_group_segment_fixed_size 0
		.amdhsa_private_segment_fixed_size 0
		.amdhsa_kernarg_size 76
		.amdhsa_user_sgpr_count 2
		.amdhsa_user_sgpr_dispatch_ptr 0
		.amdhsa_user_sgpr_queue_ptr 0
		.amdhsa_user_sgpr_kernarg_segment_ptr 1
		.amdhsa_user_sgpr_dispatch_id 0
		.amdhsa_user_sgpr_kernarg_preload_length 0
		.amdhsa_user_sgpr_kernarg_preload_offset 0
		.amdhsa_user_sgpr_private_segment_size 0
		.amdhsa_wavefront_size32 1
		.amdhsa_uses_dynamic_stack 0
		.amdhsa_enable_private_segment 0
		.amdhsa_system_sgpr_workgroup_id_x 1
		.amdhsa_system_sgpr_workgroup_id_y 0
		.amdhsa_system_sgpr_workgroup_id_z 0
		.amdhsa_system_sgpr_workgroup_info 0
		.amdhsa_system_vgpr_workitem_id 0
		.amdhsa_next_free_vgpr 43
		.amdhsa_next_free_sgpr 37
		.amdhsa_named_barrier_count 0
		.amdhsa_reserve_vcc 1
		.amdhsa_float_round_mode_32 0
		.amdhsa_float_round_mode_16_64 0
		.amdhsa_float_denorm_mode_32 3
		.amdhsa_float_denorm_mode_16_64 3
		.amdhsa_fp16_overflow 0
		.amdhsa_memory_ordered 1
		.amdhsa_forward_progress 1
		.amdhsa_inst_pref_size 23
		.amdhsa_round_robin_scheduling 0
		.amdhsa_exception_fp_ieee_invalid_op 0
		.amdhsa_exception_fp_denorm_src 0
		.amdhsa_exception_fp_ieee_div_zero 0
		.amdhsa_exception_fp_ieee_overflow 0
		.amdhsa_exception_fp_ieee_underflow 0
		.amdhsa_exception_fp_ieee_inexact 0
		.amdhsa_exception_int_div_zero 0
	.end_amdhsa_kernel
	.section	.text._ZN9rocsparseL23bsric0_binsearch_kernelILj64ELj64ELb0EfEEv20rocsparse_direction_iiPKiS3_PT2_S3_PiS3_S6_21rocsparse_index_base_,"axG",@progbits,_ZN9rocsparseL23bsric0_binsearch_kernelILj64ELj64ELb0EfEEv20rocsparse_direction_iiPKiS3_PT2_S3_PiS3_S6_21rocsparse_index_base_,comdat
.Lfunc_end12:
	.size	_ZN9rocsparseL23bsric0_binsearch_kernelILj64ELj64ELb0EfEEv20rocsparse_direction_iiPKiS3_PT2_S3_PiS3_S6_21rocsparse_index_base_, .Lfunc_end12-_ZN9rocsparseL23bsric0_binsearch_kernelILj64ELj64ELb0EfEEv20rocsparse_direction_iiPKiS3_PT2_S3_PiS3_S6_21rocsparse_index_base_
                                        ; -- End function
	.set _ZN9rocsparseL23bsric0_binsearch_kernelILj64ELj64ELb0EfEEv20rocsparse_direction_iiPKiS3_PT2_S3_PiS3_S6_21rocsparse_index_base_.num_vgpr, 43
	.set _ZN9rocsparseL23bsric0_binsearch_kernelILj64ELj64ELb0EfEEv20rocsparse_direction_iiPKiS3_PT2_S3_PiS3_S6_21rocsparse_index_base_.num_agpr, 0
	.set _ZN9rocsparseL23bsric0_binsearch_kernelILj64ELj64ELb0EfEEv20rocsparse_direction_iiPKiS3_PT2_S3_PiS3_S6_21rocsparse_index_base_.numbered_sgpr, 37
	.set _ZN9rocsparseL23bsric0_binsearch_kernelILj64ELj64ELb0EfEEv20rocsparse_direction_iiPKiS3_PT2_S3_PiS3_S6_21rocsparse_index_base_.num_named_barrier, 0
	.set _ZN9rocsparseL23bsric0_binsearch_kernelILj64ELj64ELb0EfEEv20rocsparse_direction_iiPKiS3_PT2_S3_PiS3_S6_21rocsparse_index_base_.private_seg_size, 0
	.set _ZN9rocsparseL23bsric0_binsearch_kernelILj64ELj64ELb0EfEEv20rocsparse_direction_iiPKiS3_PT2_S3_PiS3_S6_21rocsparse_index_base_.uses_vcc, 1
	.set _ZN9rocsparseL23bsric0_binsearch_kernelILj64ELj64ELb0EfEEv20rocsparse_direction_iiPKiS3_PT2_S3_PiS3_S6_21rocsparse_index_base_.uses_flat_scratch, 0
	.set _ZN9rocsparseL23bsric0_binsearch_kernelILj64ELj64ELb0EfEEv20rocsparse_direction_iiPKiS3_PT2_S3_PiS3_S6_21rocsparse_index_base_.has_dyn_sized_stack, 0
	.set _ZN9rocsparseL23bsric0_binsearch_kernelILj64ELj64ELb0EfEEv20rocsparse_direction_iiPKiS3_PT2_S3_PiS3_S6_21rocsparse_index_base_.has_recursion, 0
	.set _ZN9rocsparseL23bsric0_binsearch_kernelILj64ELj64ELb0EfEEv20rocsparse_direction_iiPKiS3_PT2_S3_PiS3_S6_21rocsparse_index_base_.has_indirect_call, 0
	.section	.AMDGPU.csdata,"",@progbits
; Kernel info:
; codeLenInByte = 2868
; TotalNumSgprs: 39
; NumVgprs: 43
; ScratchSize: 0
; MemoryBound: 0
; FloatMode: 240
; IeeeMode: 1
; LDSByteSize: 0 bytes/workgroup (compile time only)
; SGPRBlocks: 0
; VGPRBlocks: 2
; NumSGPRsForWavesPerEU: 39
; NumVGPRsForWavesPerEU: 43
; NamedBarCnt: 0
; Occupancy: 16
; WaveLimiterHint : 1
; COMPUTE_PGM_RSRC2:SCRATCH_EN: 0
; COMPUTE_PGM_RSRC2:USER_SGPR: 2
; COMPUTE_PGM_RSRC2:TRAP_HANDLER: 0
; COMPUTE_PGM_RSRC2:TGID_X_EN: 1
; COMPUTE_PGM_RSRC2:TGID_Y_EN: 0
; COMPUTE_PGM_RSRC2:TGID_Z_EN: 0
; COMPUTE_PGM_RSRC2:TIDIG_COMP_CNT: 0
	.section	.text._ZN9rocsparseL17bsric0_2_8_kernelILi64ELi64ELi8EfEEv20rocsparse_direction_iiPKiS3_PT2_S3_PiS3_S6_21rocsparse_index_base_,"axG",@progbits,_ZN9rocsparseL17bsric0_2_8_kernelILi64ELi64ELi8EfEEv20rocsparse_direction_iiPKiS3_PT2_S3_PiS3_S6_21rocsparse_index_base_,comdat
	.globl	_ZN9rocsparseL17bsric0_2_8_kernelILi64ELi64ELi8EfEEv20rocsparse_direction_iiPKiS3_PT2_S3_PiS3_S6_21rocsparse_index_base_ ; -- Begin function _ZN9rocsparseL17bsric0_2_8_kernelILi64ELi64ELi8EfEEv20rocsparse_direction_iiPKiS3_PT2_S3_PiS3_S6_21rocsparse_index_base_
	.p2align	8
	.type	_ZN9rocsparseL17bsric0_2_8_kernelILi64ELi64ELi8EfEEv20rocsparse_direction_iiPKiS3_PT2_S3_PiS3_S6_21rocsparse_index_base_,@function
_ZN9rocsparseL17bsric0_2_8_kernelILi64ELi64ELi8EfEEv20rocsparse_direction_iiPKiS3_PT2_S3_PiS3_S6_21rocsparse_index_base_: ; @_ZN9rocsparseL17bsric0_2_8_kernelILi64ELi64ELi8EfEEv20rocsparse_direction_iiPKiS3_PT2_S3_PiS3_S6_21rocsparse_index_base_
; %bb.0:
	s_load_b256 s[4:11], s[0:1], 0x28
	s_bfe_u32 s2, ttmp6, 0x4000c
	s_and_b32 s3, ttmp6, 15
	s_add_co_i32 s2, s2, 1
	s_getreg_b32 s12, hwreg(HW_REG_IB_STS2, 6, 4)
	s_mul_i32 s2, ttmp9, s2
	v_and_b32_e32 v4, 0x3ff, v0
	s_add_co_i32 s3, s3, s2
	s_cmp_eq_u32 s12, 0
	v_bfe_u32 v5, v0, 10, 10
	s_cselect_b32 s2, ttmp9, s3
	s_wait_kmcnt 0x0
	s_load_b32 s16, s[8:9], s2 offset:0x0 scale_offset
	s_wait_kmcnt 0x0
	s_ashr_i32 s17, s16, 31
	s_delay_alu instid0(SALU_CYCLE_1) | instskip(NEXT) | instid1(SALU_CYCLE_1)
	s_lshl_b64 s[8:9], s[16:17], 2
	s_add_nc_u64 s[12:13], s[4:5], s[8:9]
	s_load_b32 s28, s[12:13], 0x0
	s_load_b32 s3, s[0:1], 0x48
	s_wait_kmcnt 0x0
	s_cmp_lg_u32 s28, -1
	s_cbranch_scc0 .LBB13_88
; %bb.1:
	s_clause 0x1
	s_load_b128 s[12:15], s[0:1], 0x10
	s_load_b64 s[18:19], s[0:1], 0x20
	s_mov_b32 s2, exec_lo
	s_wait_kmcnt 0x0
	s_add_nc_u64 s[20:21], s[12:13], s[8:9]
	s_load_b32 s17, s[20:21], 0x0
	s_wait_kmcnt 0x0
	s_sub_co_i32 s29, s17, s3
	v_lshlrev_b32_e32 v1, 3, v5
	s_delay_alu instid0(VALU_DEP_1) | instskip(NEXT) | instid1(VALU_DEP_1)
	v_add_nc_u32_e32 v2, v1, v4
	v_add_nc_u32_e32 v0, s29, v2
	s_delay_alu instid0(VALU_DEP_1)
	v_cmpx_ge_i32_e64 s28, v0
	s_cbranch_execz .LBB13_13
; %bb.2:
	v_dual_add_nc_u32 v2, s17, v2 :: v_dual_add_nc_u32 v1, s17, v1
	s_add_co_i32 s20, s28, 1
	v_not_b32_e32 v3, v4
	s_mov_b32 s21, -1
	s_delay_alu instid0(VALU_DEP_2) | instskip(NEXT) | instid1(VALU_DEP_1)
	v_subrev_nc_u32_e32 v2, s3, v2
	v_add_max_i32_e64 v2, v2, 64, s20
	s_mov_b32 s20, exec_lo
	s_delay_alu instid0(VALU_DEP_1) | instskip(NEXT) | instid1(VALU_DEP_1)
	v_add3_u32 v2, s3, v2, v3
	v_sub_nc_u32_e32 v1, v2, v1
	s_delay_alu instid0(VALU_DEP_1)
	v_cmpx_lt_u32_e32 63, v1
	s_cbranch_execz .LBB13_10
; %bb.3:
	v_dual_lshrrev_b32 v6, 6, v1 :: v_dual_add_nc_u32 v1, 64, v0
	s_delay_alu instid0(VALU_DEP_1) | instskip(NEXT) | instid1(VALU_DEP_1)
	v_add_nc_u32_e32 v2, -1, v6
	v_lshrrev_b32_e32 v3, 1, v2
	v_cmp_lt_u32_e32 vcc_lo, 13, v2
	s_delay_alu instid0(VALU_DEP_2)
	v_add_nc_u32_e32 v7, 1, v3
	v_mov_b64_e32 v[2:3], v[0:1]
	s_and_saveexec_b32 s21, vcc_lo
	s_cbranch_execz .LBB13_7
; %bb.4:
	v_mov_b64_e32 v[2:3], v[0:1]
	v_and_b32_e32 v8, -8, v7
	s_mov_b32 s22, 0
.LBB13_5:                               ; =>This Inner Loop Header: Depth=1
	s_clause 0x1
	global_load_b32 v1, v2, s[14:15] scale_offset
	global_load_b32 v9, v3, s[14:15] scale_offset
	v_add_nc_u32_e32 v16, 0x200, v3
	v_add_nc_u32_e32 v14, 0x180, v3
	;; [unrolled: 1-line block ×14, first 2 shown]
	s_clause 0xd
	global_load_b32 v24, v16, s[14:15] scale_offset
	global_load_b32 v25, v14, s[14:15] scale_offset
	;; [unrolled: 1-line block ×14, first 2 shown]
	v_subrev_nc_u32_e32 v38, s29, v2
	v_subrev_nc_u32_e32 v39, s29, v3
	v_add_nc_u32_e32 v8, -8, v8
	s_wait_xcnt 0xa
	v_subrev_nc_u32_e32 v10, s29, v10
	s_wait_xcnt 0x9
	v_subrev_nc_u32_e32 v11, s29, v11
	v_dual_lshlrev_b32 v38, 2, v38 :: v_dual_lshlrev_b32 v39, 2, v39
	s_wait_xcnt 0x8
	v_subrev_nc_u32_e32 v13, s29, v13
	v_subrev_nc_u32_e32 v12, s29, v12
	v_cmp_eq_u32_e32 vcc_lo, 0, v8
	s_wait_xcnt 0x7
	v_subrev_nc_u32_e32 v15, s29, v15
	v_add_nc_u32_e32 v3, 0x400, v3
	v_subrev_nc_u32_e32 v14, s29, v14
	v_subrev_nc_u32_e32 v16, s29, v16
	s_wait_xcnt 0x6
	v_subrev_nc_u32_e32 v17, s29, v17
	s_wait_xcnt 0x3
	;; [unrolled: 2-line block ×3, first 2 shown]
	v_subrev_nc_u32_e32 v19, s29, v19
	v_subrev_nc_u32_e32 v20, s29, v20
	s_wait_xcnt 0x1
	v_subrev_nc_u32_e32 v21, s29, v21
	v_subrev_nc_u32_e32 v22, s29, v22
	s_wait_xcnt 0x0
	v_subrev_nc_u32_e32 v23, s29, v23
	v_add_nc_u32_e32 v2, 0x400, v2
	v_dual_lshlrev_b32 v11, 2, v11 :: v_dual_lshlrev_b32 v13, 2, v13
	v_dual_lshlrev_b32 v10, 2, v10 :: v_dual_lshlrev_b32 v12, 2, v12
	v_lshlrev_b32_e32 v15, 2, v15
	s_or_b32 s22, vcc_lo, s22
	v_dual_lshlrev_b32 v14, 2, v14 :: v_dual_lshlrev_b32 v17, 2, v17
	v_dual_lshlrev_b32 v16, 2, v16 :: v_dual_lshlrev_b32 v19, 2, v19
	v_dual_lshlrev_b32 v18, 2, v18 :: v_dual_lshlrev_b32 v21, 2, v21
	v_dual_lshlrev_b32 v20, 2, v20 :: v_dual_lshlrev_b32 v23, 2, v23
	v_lshlrev_b32_e32 v22, 2, v22
	s_wait_loadcnt 0xf
	v_subrev_nc_u32_e32 v1, s3, v1
	s_wait_loadcnt 0xe
	v_subrev_nc_u32_e32 v9, s3, v9
	ds_store_b32 v38, v1 offset:1664
	ds_store_b32 v39, v9 offset:1664
	s_wait_loadcnt 0xa
	v_subrev_nc_u32_e32 v1, s3, v27
	s_wait_loadcnt 0x9
	v_subrev_nc_u32_e32 v9, s3, v28
	;; [unrolled: 2-line block ×3, first 2 shown]
	v_subrev_nc_u32_e32 v26, s3, v26
	s_wait_loadcnt 0x7
	v_subrev_nc_u32_e32 v28, s3, v30
	v_subrev_nc_u32_e32 v25, s3, v25
	;; [unrolled: 1-line block ×3, first 2 shown]
	s_wait_loadcnt 0x6
	v_subrev_nc_u32_e32 v29, s3, v31
	s_wait_loadcnt 0x3
	v_subrev_nc_u32_e32 v30, s3, v34
	s_wait_loadcnt 0x2
	v_subrev_nc_u32_e32 v31, s3, v35
	v_subrev_nc_u32_e32 v33, s3, v33
	s_wait_loadcnt 0x1
	v_subrev_nc_u32_e32 v34, s3, v36
	v_subrev_nc_u32_e32 v32, s3, v32
	s_wait_loadcnt 0x0
	v_subrev_nc_u32_e32 v35, s3, v37
	ds_store_b32 v11, v9 offset:1664
	ds_store_b32 v10, v1 offset:1664
	;; [unrolled: 1-line block ×14, first 2 shown]
	s_and_not1_b32 exec_lo, exec_lo, s22
	s_cbranch_execnz .LBB13_5
; %bb.6:
	s_or_b32 exec_lo, exec_lo, s22
.LBB13_7:
	s_delay_alu instid0(SALU_CYCLE_1) | instskip(SKIP_3) | instid1(VALU_DEP_1)
	s_or_b32 exec_lo, exec_lo, s21
	v_and_b32_e32 v1, 7, v7
	s_mov_b32 s22, 0
	s_mov_b32 s21, exec_lo
	v_cmpx_ne_u32_e32 0, v1
	s_cbranch_execz .LBB13_9
.LBB13_8:                               ; =>This Inner Loop Header: Depth=1
	s_clause 0x1
	global_load_b32 v7, v2, s[14:15] scale_offset
	global_load_b32 v8, v3, s[14:15] scale_offset
	v_subrev_nc_u32_e32 v10, s29, v3
	v_add_nc_u32_e32 v1, -1, v1
	v_subrev_nc_u32_e32 v9, s29, v2
	s_wait_xcnt 0x0
	v_add_nc_u32_e32 v3, 0x80, v3
	v_add_nc_u32_e32 v2, 0x80, v2
	v_lshlrev_b32_e32 v10, 2, v10
	v_cmp_eq_u32_e32 vcc_lo, 0, v1
	v_lshlrev_b32_e32 v9, 2, v9
	s_or_b32 s22, vcc_lo, s22
	s_wait_loadcnt 0x1
	v_subrev_nc_u32_e32 v7, s3, v7
	s_wait_loadcnt 0x0
	v_subrev_nc_u32_e32 v8, s3, v8
	ds_store_b32 v9, v7 offset:1664
	ds_store_b32 v10, v8 offset:1664
	s_and_not1_b32 exec_lo, exec_lo, s22
	s_cbranch_execnz .LBB13_8
.LBB13_9:
	s_or_b32 exec_lo, exec_lo, s21
	v_add_nc_u32_e32 v1, 1, v6
	s_delay_alu instid0(VALU_DEP_1) | instskip(NEXT) | instid1(VALU_DEP_1)
	v_and_b32_e32 v2, 0x7fffffe, v1
	v_cmp_ne_u32_e32 vcc_lo, v1, v2
	v_lshl_add_u32 v0, v2, 6, v0
	s_or_not1_b32 s21, vcc_lo, exec_lo
.LBB13_10:
	s_or_b32 exec_lo, exec_lo, s20
	s_delay_alu instid0(SALU_CYCLE_1)
	s_and_b32 exec_lo, exec_lo, s21
	s_cbranch_execz .LBB13_13
; %bb.11:
	v_add_nc_u32_e32 v1, s3, v0
	s_delay_alu instid0(VALU_DEP_1) | instskip(SKIP_2) | instid1(VALU_DEP_2)
	v_subrev_nc_u32_e32 v2, s17, v1
	v_ashrrev_i32_e32 v1, 31, v0
	s_mov_b32 s17, 0
	v_lshl_add_u32 v6, v2, 2, 0x680
	s_delay_alu instid0(VALU_DEP_2)
	v_lshl_add_u64 v[2:3], v[0:1], 2, s[14:15]
.LBB13_12:                              ; =>This Inner Loop Header: Depth=1
	global_load_b32 v1, v[2:3], off
	v_add_nc_u32_e32 v0, 64, v0
	s_wait_xcnt 0x0
	v_add_nc_u64_e32 v[2:3], 0x100, v[2:3]
	s_delay_alu instid0(VALU_DEP_2)
	v_cmp_lt_i32_e32 vcc_lo, s28, v0
	s_or_b32 s17, vcc_lo, s17
	s_wait_loadcnt 0x0
	v_subrev_nc_u32_e32 v1, s3, v1
	ds_store_b32 v6, v1
	v_add_nc_u32_e32 v6, 0x100, v6
	s_and_not1_b32 exec_lo, exec_lo, s17
	s_cbranch_execnz .LBB13_12
.LBB13_13:
	s_or_b32 exec_lo, exec_lo, s2
	s_clause 0x1
	s_load_b32 s30, s[0:1], 0x0
	s_load_b32 s17, s[0:1], 0x8
	v_mad_u32_u24 v1, v5, 36, 0x360
	v_mov_b32_e32 v3, 0
	v_mad_u32_u24 v2, v5, 36, 0x240
	s_cmp_ge_i32 s29, s28
	s_delay_alu instid0(VALU_DEP_3)
	v_lshl_add_u32 v0, v4, 2, v1
	ds_store_b32 v0, v3
	s_wait_dscnt 0x0
	s_cbranch_scc1 .LBB13_66
; %bb.14:
	s_wait_kmcnt 0x0
	s_cmp_lg_u32 s30, 0
	v_mul_lo_u32 v10, s17, v4
	v_mul_lo_u32 v11, s17, v5
	v_cmp_gt_i32_e64 s0, s17, v4
	v_cmp_gt_i32_e64 s1, s17, v5
	v_mad_u32_u24 v6, v5, 36, 0x240
	v_dual_lshlrev_b32 v12, 2, v4 :: v_dual_bitop2_b32 v13, v4, v5 bitop3:0x54
	v_mad_u32_u24 v9, v5, 36, 0x120
	s_cselect_b32 s31, -1, 0
	s_cmp_eq_u32 s30, 0
	s_delay_alu instid0(VALU_DEP_2)
	v_add_nc_u32_e32 v7, v6, v12
	s_cselect_b32 vcc_lo, -1, 0
	s_and_b32 s33, s0, s1
	v_mad_u32_u24 v8, v5, 36, v12
	v_add_nc_u32_e32 v12, v9, v12
	v_cmp_ne_u32_e64 s2, 0, v13
	v_mad_u32_u24 v13, v4, 36, 0x240
	v_dual_cndmask_b32 v14, v5, v4 :: v_dual_cndmask_b32 v15, v4, v5
	v_mov_b32_e32 v16, 0
	s_cmp_gt_i32 s17, 0
	s_mul_i32 s35, s17, s17
	s_cselect_b32 s34, -1, 0
	s_mov_b32 s20, s29
	s_branch .LBB13_17
.LBB13_15:                              ;   in Loop: Header=BB13_17 Depth=1
	s_wait_xcnt 0x0
	s_or_b32 exec_lo, exec_lo, s21
	s_add_co_i32 s20, s20, 1
	global_wb scope:SCOPE_DEV
	s_wait_storecnt 0x0
	global_inv scope:SCOPE_DEV
	s_cmp_ge_i32 s20, s28
	s_cselect_b32 s26, -1, 0
.LBB13_16:                              ;   in Loop: Header=BB13_17 Depth=1
	s_delay_alu instid0(SALU_CYCLE_1)
	s_and_b32 vcc_lo, exec_lo, s26
	s_cbranch_vccnz .LBB13_66
.LBB13_17:                              ; =>This Loop Header: Depth=1
                                        ;     Child Loop BB13_22 Depth 2
                                        ;     Child Loop BB13_33 Depth 2
	;; [unrolled: 1-line block ×4, first 2 shown]
                                        ;       Child Loop BB13_63 Depth 3
	s_ashr_i32 s21, s20, 31
	s_delay_alu instid0(SALU_CYCLE_1) | instskip(NEXT) | instid1(SALU_CYCLE_1)
	s_lshl_b64 s[22:23], s[20:21], 2
	s_add_nc_u64 s[22:23], s[14:15], s[22:23]
	s_load_b32 s21, s[22:23], 0x0
	s_wait_kmcnt 0x0
	s_sub_co_i32 s24, s21, s3
	s_delay_alu instid0(SALU_CYCLE_1) | instskip(SKIP_2) | instid1(SALU_CYCLE_1)
	s_ashr_i32 s25, s24, 31
	s_wait_xcnt 0x0
	s_lshl_b64 s[22:23], s[24:25], 2
	s_add_nc_u64 s[26:27], s[4:5], s[22:23]
	s_load_b32 s25, s[26:27], 0x0
	s_wait_xcnt 0x0
	s_mov_b32 s26, -1
	s_wait_kmcnt 0x0
	s_cmp_eq_u32 s25, -1
	s_cbranch_scc1 .LBB13_16
; %bb.18:                               ;   in Loop: Header=BB13_17 Depth=1
	v_mad_u32 v17, s20, s17, v15
	v_mov_b32_e32 v18, 0
	s_delay_alu instid0(VALU_DEP_2)
	v_mad_u32 v17, v17, s17, v14
	s_and_saveexec_b32 s26, s33
	s_cbranch_execz .LBB13_20
; %bb.19:                               ;   in Loop: Header=BB13_17 Depth=1
	global_load_b32 v18, v17, s[18:19] scale_offset
.LBB13_20:                              ;   in Loop: Header=BB13_17 Depth=1
	s_wait_xcnt 0x0
	s_or_b32 exec_lo, exec_lo, s26
	s_add_nc_u64 s[26:27], s[12:13], s[22:23]
	ds_load_b32 v19, v16 offset:1664
	s_load_b32 s26, s[26:27], 0x0
	s_wait_loadcnt 0x0
	ds_store_b32 v7, v18
	s_wait_dscnt 0x1
	v_cmp_ge_i32_e32 vcc_lo, s24, v19
	s_wait_kmcnt 0x0
	s_sub_co_i32 s26, s26, s3
	s_delay_alu instid0(SALU_CYCLE_1) | instskip(SKIP_1) | instid1(SALU_CYCLE_1)
	s_cmp_le_i32 s26, s25
	s_cselect_b32 s27, -1, 0
	s_and_b32 s27, s27, vcc_lo
	s_delay_alu instid0(SALU_CYCLE_1)
	s_and_not1_b32 vcc_lo, exec_lo, s27
	s_mov_b32 s27, 0
	s_cbranch_vccnz .LBB13_32
; %bb.21:                               ;   in Loop: Header=BB13_17 Depth=1
	s_mov_b32 s36, 0
	s_mov_b32 s37, 0
.LBB13_22:                              ;   Parent Loop BB13_17 Depth=1
                                        ; =>  This Inner Loop Header: Depth=2
	s_ashr_i32 s27, s26, 31
	s_lshl_b32 s40, s37, 2
	s_lshl_b64 s[38:39], s[26:27], 2
	v_mov_b32_e32 v18, s40
	s_add_nc_u64 s[38:39], s[14:15], s[38:39]
	s_mov_b32 s41, -1
	s_load_b32 s27, s[38:39], 0x0
                                        ; implicit-def: $sgpr40
                                        ; implicit-def: $sgpr39
	ds_load_b32 v18, v18 offset:1664
	s_wait_kmcnt 0x0
	s_sub_co_i32 s42, s27, s3
                                        ; implicit-def: $sgpr27
	s_wait_dscnt 0x0
	v_readfirstlane_b32 s38, v18
	v_cmp_ge_i32_e32 vcc_lo, s42, v18
	s_cbranch_vccz .LBB13_28
; %bb.23:                               ;   in Loop: Header=BB13_22 Depth=2
	s_cmp_le_i32 s42, s38
                                        ; implicit-def: $sgpr27
                                        ; implicit-def: $sgpr40
                                        ; implicit-def: $sgpr39
	s_cbranch_scc0 .LBB13_25
; %bb.24:                               ;   in Loop: Header=BB13_22 Depth=2
	s_add_co_i32 s27, s37, s29
	s_lshl_b32 s39, s36, 2
	s_mul_i32 s27, s27, s35
	s_mul_i32 s40, s26, s35
	s_delay_alu instid0(SALU_CYCLE_1)
	v_dual_mov_b32 v18, s27 :: v_dual_mov_b32 v19, s40
	v_add_nc_u32_e64 v20, 0x80, s39
	s_add_co_i32 s39, s37, 1
	s_add_co_i32 s40, s26, 1
	;; [unrolled: 1-line block ×3, first 2 shown]
	s_mov_b32 s41, 0
	ds_store_2addr_stride64_b32 v20, v19, v18 offset0:4 offset1:5
.LBB13_25:                              ;   in Loop: Header=BB13_22 Depth=2
	s_and_not1_b32 vcc_lo, exec_lo, s41
	s_cbranch_vccnz .LBB13_27
; %bb.26:                               ;   in Loop: Header=BB13_22 Depth=2
	s_add_co_i32 s39, s37, 1
	s_mov_b32 s27, s36
	s_mov_b32 s40, s26
.LBB13_27:                              ;   in Loop: Header=BB13_22 Depth=2
	s_mov_b32 s41, 0
.LBB13_28:                              ;   in Loop: Header=BB13_22 Depth=2
	s_delay_alu instid0(SALU_CYCLE_1)
	s_and_not1_b32 vcc_lo, exec_lo, s41
	s_cbranch_vccnz .LBB13_30
; %bb.29:                               ;   in Loop: Header=BB13_22 Depth=2
	s_add_co_i32 s40, s26, 1
	s_mov_b32 s39, s37
	s_mov_b32 s27, s36
.LBB13_30:                              ;   in Loop: Header=BB13_22 Depth=2
	s_cmp_le_i32 s40, s25
	s_cselect_b32 s26, -1, 0
	s_cmp_le_i32 s38, s24
	s_cselect_b32 s36, -1, 0
	s_delay_alu instid0(SALU_CYCLE_1) | instskip(NEXT) | instid1(SALU_CYCLE_1)
	s_and_b32 s26, s26, s36
	s_and_b32 vcc_lo, exec_lo, s26
	s_cbranch_vccz .LBB13_32
; %bb.31:                               ;   in Loop: Header=BB13_22 Depth=2
	s_mov_b32 s36, s27
	s_mov_b32 s26, s40
	;; [unrolled: 1-line block ×3, first 2 shown]
	s_branch .LBB13_22
.LBB13_32:                              ;   in Loop: Header=BB13_17 Depth=1
	s_add_nc_u64 s[22:23], s[6:7], s[22:23]
	s_wait_dscnt 0x0
.LBB13_33:                              ;   Parent Loop BB13_17 Depth=1
                                        ; =>  This Inner Loop Header: Depth=2
	global_load_b32 v18, v16, s[22:23] scope:SCOPE_DEV
	s_wait_loadcnt 0x0
	v_cmp_eq_u32_e32 vcc_lo, 0, v18
	s_cbranch_vccnz .LBB13_33
; %bb.34:                               ;   in Loop: Header=BB13_17 Depth=1
	v_dual_mov_b32 v23, 0 :: v_dual_mov_b32 v18, 0
	global_inv scope:SCOPE_DEV
	s_and_saveexec_b32 s22, s33
	s_cbranch_execz .LBB13_36
; %bb.35:                               ;   in Loop: Header=BB13_17 Depth=1
	v_mad_u32 v18, s25, s17, v15
	s_delay_alu instid0(VALU_DEP_1)
	v_mad_u32 v18, v18, s17, v14
	global_load_b32 v18, v18, s[18:19] scale_offset
.LBB13_36:                              ;   in Loop: Header=BB13_17 Depth=1
	s_wait_xcnt 0x0
	s_or_b32 exec_lo, exec_lo, s22
	s_cmp_lt_i32 s27, 2
	s_wait_loadcnt 0x0
	ds_store_b32 v8, v18
	s_wait_dscnt 0x0
	s_cbranch_scc1 .LBB13_55
; %bb.37:                               ;   in Loop: Header=BB13_17 Depth=1
	v_mov_b32_e32 v18, 0
	s_add_co_i32 s22, s27, -2
	s_mov_b32 s23, 0
	s_and_not1_b32 vcc_lo, exec_lo, s34
	s_cbranch_vccz .LBB13_40
	s_branch .LBB13_39
.LBB13_38:                              ;   in Loop: Header=BB13_17 Depth=1
	v_mov_b32_e32 v18, v23
	s_mov_b32 s23, s24
	s_and_not1_b32 vcc_lo, exec_lo, s34
	s_cbranch_vccz .LBB13_40
.LBB13_39:                              ;   in Loop: Header=BB13_17 Depth=1
	s_delay_alu instid0(VALU_DEP_1)
	v_mov_b32_e32 v23, v18
	s_branch .LBB13_54
.LBB13_40:                              ;   in Loop: Header=BB13_17 Depth=1
	s_lshl_b32 s24, s23, 2
	s_delay_alu instid0(SALU_CYCLE_1)
	v_add_nc_u32_e64 v19, 0x80, s24
	s_mov_b32 s24, 0
	ds_load_2addr_stride64_b32 v[22:23], v19 offset0:4 offset1:5
	s_wait_dscnt 0x0
	v_dual_add_nc_u32 v19, v22, v10 :: v_dual_add_nc_u32 v20, v23, v11
	v_dual_add_nc_u32 v21, v5, v23 :: v_dual_add_nc_u32 v22, v4, v22
	s_and_b32 vcc_lo, exec_lo, s31
	s_mov_b32 s25, -1
                                        ; implicit-def: $vgpr23
	s_cbranch_vccz .LBB13_47
	s_branch .LBB13_42
.LBB13_41:                              ;   in Loop: Header=BB13_47 Depth=2
	v_mov_b32_e32 v18, v23
	s_and_b32 vcc_lo, exec_lo, s31
	s_mov_b32 s25, -1
                                        ; implicit-def: $vgpr23
	s_cbranch_vccz .LBB13_47
.LBB13_42:                              ;   in Loop: Header=BB13_17 Depth=1
	v_dual_mov_b32 v23, 0 :: v_dual_mov_b32 v24, 0
	s_and_saveexec_b32 s25, s0
	s_cbranch_execz .LBB13_44
; %bb.43:                               ;   in Loop: Header=BB13_17 Depth=1
	global_load_b32 v24, v22, s[18:19] scale_offset
.LBB13_44:                              ;   in Loop: Header=BB13_17 Depth=1
	s_wait_xcnt 0x0
	s_or_b32 exec_lo, exec_lo, s25
	s_and_saveexec_b32 s25, s1
	s_cbranch_execz .LBB13_46
; %bb.45:                               ;   in Loop: Header=BB13_17 Depth=1
	global_load_b32 v23, v21, s[18:19] scale_offset
.LBB13_46:                              ;   in Loop: Header=BB13_17 Depth=1
	s_wait_xcnt 0x0
	s_or_b32 exec_lo, exec_lo, s25
	s_wait_loadcnt 0x0
	v_fma_f32 v23, v24, v23, v18
	s_mov_b32 s25, 0
.LBB13_47:                              ;   Parent Loop BB13_17 Depth=1
                                        ; =>  This Inner Loop Header: Depth=2
	s_delay_alu instid0(SALU_CYCLE_1)
	s_and_b32 vcc_lo, exec_lo, s25
	s_cbranch_vccz .LBB13_53
; %bb.48:                               ;   in Loop: Header=BB13_47 Depth=2
	v_dual_mov_b32 v23, 0 :: v_dual_mov_b32 v24, 0
	s_and_saveexec_b32 s25, s0
	s_cbranch_execz .LBB13_50
; %bb.49:                               ;   in Loop: Header=BB13_47 Depth=2
	v_add_nc_u32_e32 v24, s24, v19
	global_load_b32 v24, v24, s[18:19] scale_offset
.LBB13_50:                              ;   in Loop: Header=BB13_47 Depth=2
	s_wait_xcnt 0x0
	s_or_b32 exec_lo, exec_lo, s25
	s_and_saveexec_b32 s25, s1
	s_cbranch_execz .LBB13_52
; %bb.51:                               ;   in Loop: Header=BB13_47 Depth=2
	v_add_nc_u32_e32 v23, s24, v20
	global_load_b32 v23, v23, s[18:19] scale_offset
.LBB13_52:                              ;   in Loop: Header=BB13_47 Depth=2
	s_wait_xcnt 0x0
	s_or_b32 exec_lo, exec_lo, s25
	s_wait_loadcnt 0x0
	v_fmac_f32_e32 v18, v24, v23
	s_delay_alu instid0(VALU_DEP_1)
	v_mov_b32_e32 v23, v18
.LBB13_53:                              ;   in Loop: Header=BB13_47 Depth=2
	v_dual_add_nc_u32 v21, s17, v21 :: v_dual_add_nc_u32 v22, s17, v22
	s_add_co_i32 s24, s24, 1
	s_delay_alu instid0(SALU_CYCLE_1)
	s_cmp_eq_u32 s17, s24
	s_cbranch_scc0 .LBB13_41
.LBB13_54:                              ;   in Loop: Header=BB13_17 Depth=1
	s_add_co_i32 s24, s23, 1
	s_cmp_eq_u32 s23, s22
	s_cbranch_scc0 .LBB13_38
.LBB13_55:                              ;   in Loop: Header=BB13_17 Depth=1
	s_and_not1_b32 vcc_lo, exec_lo, s34
	ds_store_b32 v12, v23
	s_wait_dscnt 0x0
	s_cbranch_vccnz .LBB13_64
; %bb.56:                               ;   in Loop: Header=BB13_17 Depth=1
	s_mov_b32 s22, 0
	s_mov_b32 s23, 0
	s_branch .LBB13_58
.LBB13_57:                              ;   in Loop: Header=BB13_58 Depth=2
	s_wait_dscnt 0x0
	s_delay_alu instid0(VALU_DEP_1) | instskip(SKIP_1) | instid1(VALU_DEP_1)
	v_sub_f32_e32 v19, v19, v21
	s_add_co_i32 s22, s22, 36
	v_div_scale_f32 v21, null, v20, v20, v19
	v_div_scale_f32 v24, vcc_lo, v19, v20, v19
	s_delay_alu instid0(VALU_DEP_2) | instskip(SKIP_1) | instid1(TRANS32_DEP_1)
	v_rcp_f32_e32 v22, v21
	v_nop
	v_fma_f32 v23, -v21, v22, 1.0
	s_delay_alu instid0(VALU_DEP_1) | instskip(NEXT) | instid1(VALU_DEP_1)
	v_fmac_f32_e32 v22, v23, v22
	v_mul_f32_e32 v23, v24, v22
	s_delay_alu instid0(VALU_DEP_1) | instskip(NEXT) | instid1(VALU_DEP_1)
	v_fma_f32 v25, -v21, v23, v24
	v_fmac_f32_e32 v23, v25, v22
	s_delay_alu instid0(VALU_DEP_1) | instskip(NEXT) | instid1(VALU_DEP_1)
	v_fma_f32 v21, -v21, v23, v24
	v_div_fmas_f32 v21, v21, v22, v23
	s_delay_alu instid0(VALU_DEP_1) | instskip(SKIP_2) | instid1(SALU_CYCLE_1)
	v_div_fixup_f32 v19, v21, v20, v19
	v_lshl_add_u32 v20, s23, 2, v13
	s_add_co_i32 s23, s23, 1
	s_cmp_eq_u32 s23, s17
	ds_store_b32 v18, v19
	s_wait_storecnt_dscnt 0x0
	ds_load_b32 v18, v20
	ds_load_b32 v20, v0
	s_wait_dscnt 0x0
	v_fmac_f32_e32 v20, v19, v18
	ds_store_b32 v0, v20
	s_wait_dscnt 0x0
	s_cbranch_scc1 .LBB13_64
.LBB13_58:                              ;   Parent Loop BB13_17 Depth=1
                                        ; =>  This Loop Header: Depth=2
                                        ;       Child Loop BB13_63 Depth 3
	s_lshl_b32 s24, s23, 2
	s_mul_i32 s25, s23, 36
	s_delay_alu instid0(SALU_CYCLE_1) | instskip(NEXT) | instid1(SALU_CYCLE_1)
	s_add_co_i32 s25, s25, s24
	v_mov_b32_e32 v18, s25
	ds_load_b32 v20, v18
	v_add_nc_u32_e32 v18, s24, v6
	ds_load_b32 v19, v18
	s_wait_dscnt 0x1
	v_readfirstlane_b32 s24, v20
	s_cmp_neq_f32 s24, 0
	s_cselect_b32 vcc_lo, -1, 0
	v_cndmask_b32_e32 v20, 1.0, v20, vcc_lo
	s_nor_b32 s25, vcc_lo, s2
	s_delay_alu instid0(SALU_CYCLE_1)
	s_and_saveexec_b32 s24, s25
	s_cbranch_execz .LBB13_62
; %bb.59:                               ;   in Loop: Header=BB13_58 Depth=2
	v_mbcnt_lo_u32_b32 v20, exec_lo, 0
	s_mov_b32 s25, exec_lo
	s_delay_alu instid0(VALU_DEP_1)
	v_cmpx_eq_u32_e32 0, v20
	s_cbranch_execz .LBB13_61
; %bb.60:                               ;   in Loop: Header=BB13_58 Depth=2
	v_mov_b32_e32 v20, s21
	global_atomic_min_i32 v16, v20, s[10:11] scope:SCOPE_DEV
.LBB13_61:                              ;   in Loop: Header=BB13_58 Depth=2
	s_wait_xcnt 0x0
	s_or_b32 exec_lo, exec_lo, s25
	v_mov_b32_e32 v20, 1.0
.LBB13_62:                              ;   in Loop: Header=BB13_58 Depth=2
	s_or_b32 exec_lo, exec_lo, s24
	v_lshl_add_u32 v21, s23, 2, v9
	v_mov_b32_e32 v22, v6
	s_cmp_eq_u32 s23, 0
	s_mov_b32 s24, s22
	s_mov_b32 s25, s23
	ds_load_b32 v21, v21
	s_cbranch_scc1 .LBB13_57
.LBB13_63:                              ;   Parent Loop BB13_17 Depth=1
                                        ;     Parent Loop BB13_58 Depth=2
                                        ; =>    This Inner Loop Header: Depth=3
	v_mov_b32_e32 v23, s24
	s_add_co_i32 s25, s25, -1
	s_add_co_i32 s24, s24, 4
	s_cmp_eq_u32 s25, 0
	ds_load_b32 v24, v22
	ds_load_b32 v23, v23
	s_wait_dscnt 0x0
	v_dual_fmac_f32 v21, v23, v24 :: v_dual_add_nc_u32 v22, 4, v22
	s_cbranch_scc0 .LBB13_63
	s_branch .LBB13_57
.LBB13_64:                              ;   in Loop: Header=BB13_17 Depth=1
	s_and_saveexec_b32 s21, s33
	s_cbranch_execz .LBB13_15
; %bb.65:                               ;   in Loop: Header=BB13_17 Depth=1
	ds_load_b32 v18, v7
	s_wait_dscnt 0x0
	global_store_b32 v17, v18, s[18:19] scale_offset
	s_branch .LBB13_15
.LBB13_66:
	s_wait_kmcnt 0x0
	s_cmp_eq_u32 s30, 0
	v_max_i32_e32 v8, v4, v5
	s_cselect_b32 vcc_lo, -1, 0
	v_dual_cndmask_b32 v6, v5, v4 :: v_dual_cndmask_b32 v7, v4, v5
	s_delay_alu instid0(VALU_DEP_2) | instskip(NEXT) | instid1(VALU_DEP_2)
	v_cmp_gt_i32_e64 s0, s17, v8
	v_mad_u32 v7, s28, s17, v7
	s_and_saveexec_b32 s1, s0
	s_cbranch_execz .LBB13_68
; %bb.67:
	s_delay_alu instid0(VALU_DEP_1)
	v_mad_u32 v3, v7, s17, v6
	global_load_b32 v3, v3, s[18:19] scale_offset
.LBB13_68:
	s_wait_xcnt 0x0
	s_or_b32 exec_lo, exec_lo, s1
	v_lshl_add_u32 v8, v4, 2, v2
	s_cmp_lt_i32 s17, 1
	s_wait_loadcnt 0x0
	ds_store_b32 v8, v3
	s_wait_dscnt 0x0
	s_cbranch_scc1 .LBB13_101
; %bb.69:
	v_dual_lshlrev_b32 v9, 2, v5 :: v_dual_bitop2_b32 v3, v4, v5 bitop3:0x54
	s_add_co_i32 s4, s16, s3
	s_cmp_eq_u32 s17, 1
	s_mov_b32 s5, 0
	s_delay_alu instid0(VALU_DEP_1)
	v_cmp_ne_u32_e64 s1, 0, v3
	v_dual_add_nc_u32 v3, v2, v9 :: v_dual_add_nc_u32 v9, v1, v9
	s_cbranch_scc1 .LBB13_91
; %bb.70:
	v_mad_u32_u24 v10, v4, 36, 0x240
	v_dual_mov_b32 v11, 0 :: v_dual_mov_b32 v12, v2
	s_and_b32 s5, s17, 0x7ffffffe
	s_movk_i32 s12, 0x240
	s_mov_b32 s2, 0
	s_branch .LBB13_72
.LBB13_71:                              ;   in Loop: Header=BB13_72 Depth=1
	s_or_b32 exec_lo, exec_lo, s2
	v_dual_add_nc_u32 v10, 8, v10 :: v_dual_add_nc_u32 v12, 8, v12
	s_add_co_i32 s2, s14, 1
	s_addk_co_i32 s12, 0x50
	s_cmp_eq_u32 s2, s5
	s_wait_storecnt_dscnt 0x0
	s_cbranch_scc1 .LBB13_90
.LBB13_72:                              ; =>This Inner Loop Header: Depth=1
	s_mov_b32 s13, s2
	s_mov_b32 s14, exec_lo
	v_cmpx_eq_u32_e64 s13, v5
	s_cbranch_execz .LBB13_74
; %bb.73:                               ;   in Loop: Header=BB13_72 Depth=1
	ds_load_b32 v13, v3
	ds_load_b32 v14, v9
	s_wait_dscnt 0x0
	v_sub_f32_e32 v13, v13, v14
	s_delay_alu instid0(VALU_DEP_1) | instskip(SKIP_1) | instid1(VALU_DEP_1)
	v_cmp_gt_f32_e32 vcc_lo, 0, v13
	v_cndmask_b32_e64 v13, v13, -v13, vcc_lo
	v_mul_f32_e32 v14, 0x4f800000, v13
	v_cmp_gt_f32_e32 vcc_lo, 0xf800000, v13
	s_delay_alu instid0(VALU_DEP_2) | instskip(NEXT) | instid1(VALU_DEP_1)
	v_cndmask_b32_e32 v13, v13, v14, vcc_lo
	v_sqrt_f32_e32 v14, v13
	v_nop
	s_delay_alu instid0(TRANS32_DEP_1) | instskip(NEXT) | instid1(VALU_DEP_1)
	v_dual_add_nc_u32 v15, -1, v14 :: v_dual_add_nc_u32 v16, 1, v14
	v_dual_fma_f32 v17, -v15, v14, v13 :: v_dual_fma_f32 v18, -v16, v14, v13
	s_delay_alu instid0(VALU_DEP_1) | instskip(NEXT) | instid1(VALU_DEP_1)
	v_cmp_ge_f32_e64 s2, 0, v17
	v_cndmask_b32_e64 v14, v14, v15, s2
	s_delay_alu instid0(VALU_DEP_3) | instskip(NEXT) | instid1(VALU_DEP_1)
	v_cmp_lt_f32_e64 s2, 0, v18
	v_cndmask_b32_e64 v14, v14, v16, s2
	s_delay_alu instid0(VALU_DEP_1) | instskip(NEXT) | instid1(VALU_DEP_1)
	v_mul_f32_e32 v15, 0x37800000, v14
	v_cndmask_b32_e32 v14, v14, v15, vcc_lo
	v_cmp_class_f32_e64 vcc_lo, v13, 0x260
	s_delay_alu instid0(VALU_DEP_2)
	v_cndmask_b32_e32 v13, v14, v13, vcc_lo
	ds_store_b32 v3, v13
.LBB13_74:                              ;   in Loop: Header=BB13_72 Depth=1
	s_or_b32 exec_lo, exec_lo, s14
	v_mov_b32_e32 v13, s12
	s_wait_dscnt 0x0
	ds_load_b32 v13, v13
	s_wait_dscnt 0x0
	v_readfirstlane_b32 s2, v13
	s_cmp_neq_f32 s2, 0
	s_cselect_b32 vcc_lo, -1, 0
	v_cndmask_b32_e32 v13, 1.0, v13, vcc_lo
	s_nor_b32 s14, vcc_lo, s1
	s_delay_alu instid0(SALU_CYCLE_1)
	s_and_saveexec_b32 s2, s14
	s_cbranch_execz .LBB13_78
; %bb.75:                               ;   in Loop: Header=BB13_72 Depth=1
	v_mbcnt_lo_u32_b32 v13, exec_lo, 0
	s_mov_b32 s14, exec_lo
	s_delay_alu instid0(VALU_DEP_1)
	v_cmpx_eq_u32_e32 0, v13
	s_cbranch_execz .LBB13_77
; %bb.76:                               ;   in Loop: Header=BB13_72 Depth=1
	v_mov_b32_e32 v13, s4
	global_atomic_min_i32 v11, v13, s[10:11] scope:SCOPE_DEV
.LBB13_77:                              ;   in Loop: Header=BB13_72 Depth=1
	s_wait_xcnt 0x0
	s_or_b32 exec_lo, exec_lo, s14
	v_mov_b32_e32 v13, 1.0
.LBB13_78:                              ;   in Loop: Header=BB13_72 Depth=1
	s_or_b32 exec_lo, exec_lo, s2
	s_delay_alu instid0(SALU_CYCLE_1)
	s_mov_b32 s2, exec_lo
	v_cmpx_lt_u32_e64 s13, v5
	s_cbranch_execz .LBB13_80
; %bb.79:                               ;   in Loop: Header=BB13_72 Depth=1
	ds_load_2addr_b32 v[14:15], v12 offset1:72
	s_wait_dscnt 0x0
	v_sub_f32_e32 v14, v14, v15
	s_delay_alu instid0(VALU_DEP_1) | instskip(NEXT) | instid1(VALU_DEP_1)
	v_div_scale_f32 v15, null, v13, v13, v14
	v_rcp_f32_e32 v16, v15
	v_nop
	s_delay_alu instid0(TRANS32_DEP_1) | instskip(NEXT) | instid1(VALU_DEP_1)
	v_fma_f32 v17, -v15, v16, 1.0
	v_fmac_f32_e32 v16, v17, v16
	v_div_scale_f32 v18, vcc_lo, v14, v13, v14
	s_delay_alu instid0(VALU_DEP_1) | instskip(NEXT) | instid1(VALU_DEP_1)
	v_mul_f32_e32 v17, v18, v16
	v_fma_f32 v19, -v15, v17, v18
	s_delay_alu instid0(VALU_DEP_1) | instskip(NEXT) | instid1(VALU_DEP_1)
	v_fmac_f32_e32 v17, v19, v16
	v_fma_f32 v15, -v15, v17, v18
	s_delay_alu instid0(VALU_DEP_1) | instskip(NEXT) | instid1(VALU_DEP_1)
	v_div_fmas_f32 v15, v15, v16, v17
	v_div_fixup_f32 v13, v15, v13, v14
	ds_store_b32 v12, v13
	s_wait_storecnt_dscnt 0x0
	ds_load_b32 v14, v10
	ds_load_b32 v15, v0
	s_wait_dscnt 0x0
	v_fmac_f32_e32 v15, v13, v14
	ds_store_b32 v0, v15
.LBB13_80:                              ;   in Loop: Header=BB13_72 Depth=1
	s_or_b32 exec_lo, exec_lo, s2
	s_add_co_i32 s14, s13, 1
	s_mov_b32 s15, exec_lo
	s_wait_storecnt_dscnt 0x0
	v_cmpx_eq_u32_e64 s14, v5
	s_cbranch_execz .LBB13_82
; %bb.81:                               ;   in Loop: Header=BB13_72 Depth=1
	ds_load_b32 v13, v3
	ds_load_b32 v14, v9
	s_wait_dscnt 0x0
	v_sub_f32_e32 v13, v13, v14
	s_delay_alu instid0(VALU_DEP_1) | instskip(SKIP_1) | instid1(VALU_DEP_1)
	v_cmp_gt_f32_e32 vcc_lo, 0, v13
	v_cndmask_b32_e64 v13, v13, -v13, vcc_lo
	v_mul_f32_e32 v14, 0x4f800000, v13
	v_cmp_gt_f32_e32 vcc_lo, 0xf800000, v13
	s_delay_alu instid0(VALU_DEP_2) | instskip(NEXT) | instid1(VALU_DEP_1)
	v_cndmask_b32_e32 v13, v13, v14, vcc_lo
	v_sqrt_f32_e32 v14, v13
	v_nop
	s_delay_alu instid0(TRANS32_DEP_1) | instskip(NEXT) | instid1(VALU_DEP_1)
	v_dual_add_nc_u32 v15, -1, v14 :: v_dual_add_nc_u32 v16, 1, v14
	v_dual_fma_f32 v17, -v15, v14, v13 :: v_dual_fma_f32 v18, -v16, v14, v13
	s_delay_alu instid0(VALU_DEP_1) | instskip(NEXT) | instid1(VALU_DEP_1)
	v_cmp_ge_f32_e64 s2, 0, v17
	v_cndmask_b32_e64 v14, v14, v15, s2
	s_delay_alu instid0(VALU_DEP_3) | instskip(NEXT) | instid1(VALU_DEP_1)
	v_cmp_lt_f32_e64 s2, 0, v18
	v_cndmask_b32_e64 v14, v14, v16, s2
	s_delay_alu instid0(VALU_DEP_1) | instskip(NEXT) | instid1(VALU_DEP_1)
	v_mul_f32_e32 v15, 0x37800000, v14
	v_cndmask_b32_e32 v14, v14, v15, vcc_lo
	v_cmp_class_f32_e64 vcc_lo, v13, 0x260
	s_delay_alu instid0(VALU_DEP_2)
	v_cndmask_b32_e32 v13, v14, v13, vcc_lo
	ds_store_b32 v3, v13
.LBB13_82:                              ;   in Loop: Header=BB13_72 Depth=1
	s_or_b32 exec_lo, exec_lo, s15
	v_mov_b32_e32 v13, s12
	s_wait_dscnt 0x0
	ds_load_b32 v13, v13 offset:40
	s_wait_dscnt 0x0
	v_readfirstlane_b32 s2, v13
	s_cmp_neq_f32 s2, 0
	s_cselect_b32 vcc_lo, -1, 0
	v_cndmask_b32_e32 v13, 1.0, v13, vcc_lo
	s_nor_b32 s15, vcc_lo, s1
	s_delay_alu instid0(SALU_CYCLE_1)
	s_and_saveexec_b32 s2, s15
	s_cbranch_execz .LBB13_86
; %bb.83:                               ;   in Loop: Header=BB13_72 Depth=1
	v_mbcnt_lo_u32_b32 v13, exec_lo, 0
	s_mov_b32 s15, exec_lo
	s_delay_alu instid0(VALU_DEP_1)
	v_cmpx_eq_u32_e32 0, v13
	s_cbranch_execz .LBB13_85
; %bb.84:                               ;   in Loop: Header=BB13_72 Depth=1
	v_mov_b32_e32 v13, s4
	global_atomic_min_i32 v11, v13, s[10:11] scope:SCOPE_DEV
.LBB13_85:                              ;   in Loop: Header=BB13_72 Depth=1
	s_wait_xcnt 0x0
	s_or_b32 exec_lo, exec_lo, s15
	v_mov_b32_e32 v13, 1.0
.LBB13_86:                              ;   in Loop: Header=BB13_72 Depth=1
	s_or_b32 exec_lo, exec_lo, s2
	s_delay_alu instid0(SALU_CYCLE_1)
	s_mov_b32 s2, exec_lo
	v_cmpx_lt_u32_e64 s14, v5
	s_cbranch_execz .LBB13_71
; %bb.87:                               ;   in Loop: Header=BB13_72 Depth=1
	ds_load_2addr_b32 v[14:15], v12 offset0:1 offset1:73
	s_wait_dscnt 0x0
	v_sub_f32_e32 v14, v14, v15
	s_delay_alu instid0(VALU_DEP_1) | instskip(NEXT) | instid1(VALU_DEP_1)
	v_div_scale_f32 v15, null, v13, v13, v14
	v_rcp_f32_e32 v16, v15
	v_nop
	s_delay_alu instid0(TRANS32_DEP_1) | instskip(NEXT) | instid1(VALU_DEP_1)
	v_fma_f32 v17, -v15, v16, 1.0
	v_fmac_f32_e32 v16, v17, v16
	v_div_scale_f32 v18, vcc_lo, v14, v13, v14
	s_delay_alu instid0(VALU_DEP_1) | instskip(NEXT) | instid1(VALU_DEP_1)
	v_mul_f32_e32 v17, v18, v16
	v_fma_f32 v19, -v15, v17, v18
	s_delay_alu instid0(VALU_DEP_1) | instskip(NEXT) | instid1(VALU_DEP_1)
	v_fmac_f32_e32 v17, v19, v16
	v_fma_f32 v15, -v15, v17, v18
	s_delay_alu instid0(VALU_DEP_1) | instskip(NEXT) | instid1(VALU_DEP_1)
	v_div_fmas_f32 v15, v15, v16, v17
	v_div_fixup_f32 v13, v15, v13, v14
	ds_store_b32 v12, v13 offset:4
	s_wait_storecnt_dscnt 0x0
	ds_load_b32 v14, v10 offset:4
	ds_load_b32 v15, v0
	s_wait_dscnt 0x0
	v_fmac_f32_e32 v15, v13, v14
	ds_store_b32 v0, v15
	s_branch .LBB13_71
.LBB13_88:
	s_cbranch_execnz .LBB13_106
.LBB13_89:
	s_endpgm
.LBB13_90:
	s_add_co_i32 s5, s13, 2
.LBB13_91:
	s_bitcmp0_b32 s17, 0
	s_cbranch_scc1 .LBB13_101
; %bb.92:
	s_mov_b32 s12, exec_lo
	v_cmpx_eq_u32_e64 s5, v5
	s_cbranch_execz .LBB13_94
; %bb.93:
	ds_load_b32 v10, v3
	ds_load_b32 v9, v9
	s_wait_dscnt 0x0
	v_sub_f32_e32 v9, v10, v9
	s_delay_alu instid0(VALU_DEP_1) | instskip(SKIP_1) | instid1(VALU_DEP_1)
	v_cmp_gt_f32_e32 vcc_lo, 0, v9
	v_cndmask_b32_e64 v9, v9, -v9, vcc_lo
	v_mul_f32_e32 v10, 0x4f800000, v9
	v_cmp_gt_f32_e32 vcc_lo, 0xf800000, v9
	s_delay_alu instid0(VALU_DEP_2) | instskip(NEXT) | instid1(VALU_DEP_1)
	v_cndmask_b32_e32 v9, v9, v10, vcc_lo
	v_sqrt_f32_e32 v10, v9
	v_nop
	s_delay_alu instid0(TRANS32_DEP_1) | instskip(NEXT) | instid1(VALU_DEP_1)
	v_dual_add_nc_u32 v11, -1, v10 :: v_dual_add_nc_u32 v12, 1, v10
	v_dual_fma_f32 v13, -v11, v10, v9 :: v_dual_fma_f32 v14, -v12, v10, v9
	s_delay_alu instid0(VALU_DEP_1) | instskip(NEXT) | instid1(VALU_DEP_1)
	v_cmp_ge_f32_e64 s2, 0, v13
	v_cndmask_b32_e64 v10, v10, v11, s2
	s_delay_alu instid0(VALU_DEP_3) | instskip(NEXT) | instid1(VALU_DEP_1)
	v_cmp_lt_f32_e64 s2, 0, v14
	v_cndmask_b32_e64 v10, v10, v12, s2
	s_delay_alu instid0(VALU_DEP_1) | instskip(NEXT) | instid1(VALU_DEP_1)
	v_mul_f32_e32 v11, 0x37800000, v10
	v_cndmask_b32_e32 v10, v10, v11, vcc_lo
	v_cmp_class_f32_e64 vcc_lo, v9, 0x260
	s_delay_alu instid0(VALU_DEP_2)
	v_cndmask_b32_e32 v9, v10, v9, vcc_lo
	ds_store_b32 v3, v9
.LBB13_94:
	s_or_b32 exec_lo, exec_lo, s12
	s_mul_i32 s12, s5, 36
	s_lshl_b32 s2, s5, 2
	s_wait_dscnt 0x0
	s_add_co_i32 s12, s12, s2
	s_delay_alu instid0(SALU_CYCLE_1)
	v_mov_b32_e32 v3, s12
	ds_load_b32 v3, v3 offset:576
	s_wait_dscnt 0x0
	v_readfirstlane_b32 s12, v3
	s_cmp_neq_f32 s12, 0
	s_cselect_b32 vcc_lo, -1, 0
	v_cndmask_b32_e32 v3, 1.0, v3, vcc_lo
	s_nor_b32 s12, vcc_lo, s1
	s_delay_alu instid0(SALU_CYCLE_1)
	s_and_saveexec_b32 s1, s12
	s_cbranch_execz .LBB13_98
; %bb.95:
	v_mbcnt_lo_u32_b32 v3, exec_lo, 0
	s_mov_b32 s12, exec_lo
	s_delay_alu instid0(VALU_DEP_1)
	v_cmpx_eq_u32_e32 0, v3
	s_cbranch_execz .LBB13_97
; %bb.96:
	v_dual_mov_b32 v3, 0 :: v_dual_mov_b32 v9, s4
	global_atomic_min_i32 v3, v9, s[10:11] scope:SCOPE_DEV
.LBB13_97:
	s_wait_xcnt 0x0
	s_or_b32 exec_lo, exec_lo, s12
	v_mov_b32_e32 v3, 1.0
.LBB13_98:
	s_or_b32 exec_lo, exec_lo, s1
	s_delay_alu instid0(SALU_CYCLE_1)
	s_mov_b32 s1, exec_lo
	v_cmpx_lt_u32_e64 s5, v5
	s_cbranch_execz .LBB13_100
; %bb.99:
	v_dual_add_nc_u32 v2, s2, v2 :: v_dual_add_nc_u32 v1, s2, v1
	ds_load_b32 v9, v2
	ds_load_b32 v1, v1
	s_wait_dscnt 0x0
	v_sub_f32_e32 v1, v9, v1
	s_delay_alu instid0(VALU_DEP_1) | instskip(NEXT) | instid1(VALU_DEP_1)
	v_div_scale_f32 v9, null, v3, v3, v1
	v_rcp_f32_e32 v10, v9
	v_nop
	s_delay_alu instid0(TRANS32_DEP_1) | instskip(NEXT) | instid1(VALU_DEP_1)
	v_fma_f32 v11, -v9, v10, 1.0
	v_fmac_f32_e32 v10, v11, v10
	v_div_scale_f32 v12, vcc_lo, v1, v3, v1
	s_delay_alu instid0(VALU_DEP_1) | instskip(NEXT) | instid1(VALU_DEP_1)
	v_mul_f32_e32 v11, v12, v10
	v_fma_f32 v13, -v9, v11, v12
	s_delay_alu instid0(VALU_DEP_1) | instskip(NEXT) | instid1(VALU_DEP_1)
	v_fmac_f32_e32 v11, v13, v10
	v_fma_f32 v9, -v9, v11, v12
	s_delay_alu instid0(VALU_DEP_1) | instskip(NEXT) | instid1(VALU_DEP_1)
	v_div_fmas_f32 v9, v9, v10, v11
	v_div_fixup_f32 v1, v9, v3, v1
	v_mad_u32_u24 v3, v4, 36, s2
	ds_store_b32 v2, v1
	s_wait_storecnt_dscnt 0x0
	ds_load_b32 v2, v3 offset:576
	ds_load_b32 v3, v0
	s_wait_dscnt 0x0
	v_fmac_f32_e32 v3, v1, v2
	ds_store_b32 v0, v3
.LBB13_100:
	s_or_b32 exec_lo, exec_lo, s1
	s_wait_storecnt_dscnt 0x0
.LBB13_101:
	s_and_saveexec_b32 s1, s0
	s_cbranch_execz .LBB13_103
; %bb.102:
	ds_load_b32 v0, v8
	v_mad_u32 v1, v7, s17, v6
	s_wait_dscnt 0x0
	global_store_b32 v1, v0, s[18:19] scale_offset
.LBB13_103:
	s_wait_xcnt 0x0
	s_or_b32 exec_lo, exec_lo, s1
	v_or_b32_e32 v0, v4, v5
	s_mov_b32 s0, 0
	s_mov_b32 s1, exec_lo
	s_delay_alu instid0(VALU_DEP_1)
	v_cmpx_eq_u32_e32 0, v0
	s_cbranch_execz .LBB13_105
; %bb.104:
	v_dual_mov_b32 v0, 0 :: v_dual_mov_b32 v1, 1
	s_add_nc_u64 s[4:5], s[6:7], s[8:9]
	global_wb scope:SCOPE_DEV
	s_wait_storecnt 0x0
	global_store_b32 v0, v1, s[4:5] scope:SCOPE_DEV
.LBB13_105:
	s_wait_xcnt 0x0
	s_or_b32 exec_lo, exec_lo, s1
	s_delay_alu instid0(SALU_CYCLE_1)
	s_and_b32 vcc_lo, exec_lo, s0
	s_cbranch_vccz .LBB13_89
.LBB13_106:
	v_or_b32_e32 v0, v4, v5
	s_mov_b32 s0, exec_lo
	s_delay_alu instid0(VALU_DEP_1)
	v_cmpx_eq_u32_e32 0, v0
	s_cbranch_execz .LBB13_89
; %bb.107:
	v_mbcnt_lo_u32_b32 v0, exec_lo, 0
	s_mov_b32 s0, exec_lo
	s_delay_alu instid0(VALU_DEP_1)
	v_cmpx_eq_u32_e32 0, v0
	s_cbranch_execz .LBB13_109
; %bb.108:
	s_add_co_i32 s1, s16, s3
	s_delay_alu instid0(SALU_CYCLE_1)
	v_dual_mov_b32 v0, 0 :: v_dual_mov_b32 v1, s1
	global_atomic_min_i32 v0, v1, s[10:11] scope:SCOPE_DEV
.LBB13_109:
	s_wait_xcnt 0x0
	s_or_b32 exec_lo, exec_lo, s0
	v_dual_mov_b32 v0, 0 :: v_dual_mov_b32 v1, 1
	s_add_nc_u64 s[0:1], s[6:7], s[8:9]
	global_wb scope:SCOPE_DEV
	s_wait_storecnt 0x0
	global_store_b32 v0, v1, s[0:1] scope:SCOPE_DEV
	s_endpgm
	.section	.rodata,"a",@progbits
	.p2align	6, 0x0
	.amdhsa_kernel _ZN9rocsparseL17bsric0_2_8_kernelILi64ELi64ELi8EfEEv20rocsparse_direction_iiPKiS3_PT2_S3_PiS3_S6_21rocsparse_index_base_
		.amdhsa_group_segment_fixed_size 1920
		.amdhsa_private_segment_fixed_size 0
		.amdhsa_kernarg_size 76
		.amdhsa_user_sgpr_count 2
		.amdhsa_user_sgpr_dispatch_ptr 0
		.amdhsa_user_sgpr_queue_ptr 0
		.amdhsa_user_sgpr_kernarg_segment_ptr 1
		.amdhsa_user_sgpr_dispatch_id 0
		.amdhsa_user_sgpr_kernarg_preload_length 0
		.amdhsa_user_sgpr_kernarg_preload_offset 0
		.amdhsa_user_sgpr_private_segment_size 0
		.amdhsa_wavefront_size32 1
		.amdhsa_uses_dynamic_stack 0
		.amdhsa_enable_private_segment 0
		.amdhsa_system_sgpr_workgroup_id_x 1
		.amdhsa_system_sgpr_workgroup_id_y 0
		.amdhsa_system_sgpr_workgroup_id_z 0
		.amdhsa_system_sgpr_workgroup_info 0
		.amdhsa_system_vgpr_workitem_id 1
		.amdhsa_next_free_vgpr 40
		.amdhsa_next_free_sgpr 43
		.amdhsa_named_barrier_count 0
		.amdhsa_reserve_vcc 1
		.amdhsa_float_round_mode_32 0
		.amdhsa_float_round_mode_16_64 0
		.amdhsa_float_denorm_mode_32 3
		.amdhsa_float_denorm_mode_16_64 3
		.amdhsa_fp16_overflow 0
		.amdhsa_memory_ordered 1
		.amdhsa_forward_progress 1
		.amdhsa_inst_pref_size 41
		.amdhsa_round_robin_scheduling 0
		.amdhsa_exception_fp_ieee_invalid_op 0
		.amdhsa_exception_fp_denorm_src 0
		.amdhsa_exception_fp_ieee_div_zero 0
		.amdhsa_exception_fp_ieee_overflow 0
		.amdhsa_exception_fp_ieee_underflow 0
		.amdhsa_exception_fp_ieee_inexact 0
		.amdhsa_exception_int_div_zero 0
	.end_amdhsa_kernel
	.section	.text._ZN9rocsparseL17bsric0_2_8_kernelILi64ELi64ELi8EfEEv20rocsparse_direction_iiPKiS3_PT2_S3_PiS3_S6_21rocsparse_index_base_,"axG",@progbits,_ZN9rocsparseL17bsric0_2_8_kernelILi64ELi64ELi8EfEEv20rocsparse_direction_iiPKiS3_PT2_S3_PiS3_S6_21rocsparse_index_base_,comdat
.Lfunc_end13:
	.size	_ZN9rocsparseL17bsric0_2_8_kernelILi64ELi64ELi8EfEEv20rocsparse_direction_iiPKiS3_PT2_S3_PiS3_S6_21rocsparse_index_base_, .Lfunc_end13-_ZN9rocsparseL17bsric0_2_8_kernelILi64ELi64ELi8EfEEv20rocsparse_direction_iiPKiS3_PT2_S3_PiS3_S6_21rocsparse_index_base_
                                        ; -- End function
	.set _ZN9rocsparseL17bsric0_2_8_kernelILi64ELi64ELi8EfEEv20rocsparse_direction_iiPKiS3_PT2_S3_PiS3_S6_21rocsparse_index_base_.num_vgpr, 40
	.set _ZN9rocsparseL17bsric0_2_8_kernelILi64ELi64ELi8EfEEv20rocsparse_direction_iiPKiS3_PT2_S3_PiS3_S6_21rocsparse_index_base_.num_agpr, 0
	.set _ZN9rocsparseL17bsric0_2_8_kernelILi64ELi64ELi8EfEEv20rocsparse_direction_iiPKiS3_PT2_S3_PiS3_S6_21rocsparse_index_base_.numbered_sgpr, 43
	.set _ZN9rocsparseL17bsric0_2_8_kernelILi64ELi64ELi8EfEEv20rocsparse_direction_iiPKiS3_PT2_S3_PiS3_S6_21rocsparse_index_base_.num_named_barrier, 0
	.set _ZN9rocsparseL17bsric0_2_8_kernelILi64ELi64ELi8EfEEv20rocsparse_direction_iiPKiS3_PT2_S3_PiS3_S6_21rocsparse_index_base_.private_seg_size, 0
	.set _ZN9rocsparseL17bsric0_2_8_kernelILi64ELi64ELi8EfEEv20rocsparse_direction_iiPKiS3_PT2_S3_PiS3_S6_21rocsparse_index_base_.uses_vcc, 1
	.set _ZN9rocsparseL17bsric0_2_8_kernelILi64ELi64ELi8EfEEv20rocsparse_direction_iiPKiS3_PT2_S3_PiS3_S6_21rocsparse_index_base_.uses_flat_scratch, 0
	.set _ZN9rocsparseL17bsric0_2_8_kernelILi64ELi64ELi8EfEEv20rocsparse_direction_iiPKiS3_PT2_S3_PiS3_S6_21rocsparse_index_base_.has_dyn_sized_stack, 0
	.set _ZN9rocsparseL17bsric0_2_8_kernelILi64ELi64ELi8EfEEv20rocsparse_direction_iiPKiS3_PT2_S3_PiS3_S6_21rocsparse_index_base_.has_recursion, 0
	.set _ZN9rocsparseL17bsric0_2_8_kernelILi64ELi64ELi8EfEEv20rocsparse_direction_iiPKiS3_PT2_S3_PiS3_S6_21rocsparse_index_base_.has_indirect_call, 0
	.section	.AMDGPU.csdata,"",@progbits
; Kernel info:
; codeLenInByte = 5204
; TotalNumSgprs: 45
; NumVgprs: 40
; ScratchSize: 0
; MemoryBound: 0
; FloatMode: 240
; IeeeMode: 1
; LDSByteSize: 1920 bytes/workgroup (compile time only)
; SGPRBlocks: 0
; VGPRBlocks: 2
; NumSGPRsForWavesPerEU: 45
; NumVGPRsForWavesPerEU: 40
; NamedBarCnt: 0
; Occupancy: 16
; WaveLimiterHint : 1
; COMPUTE_PGM_RSRC2:SCRATCH_EN: 0
; COMPUTE_PGM_RSRC2:USER_SGPR: 2
; COMPUTE_PGM_RSRC2:TRAP_HANDLER: 0
; COMPUTE_PGM_RSRC2:TGID_X_EN: 1
; COMPUTE_PGM_RSRC2:TGID_Y_EN: 0
; COMPUTE_PGM_RSRC2:TGID_Z_EN: 0
; COMPUTE_PGM_RSRC2:TIDIG_COMP_CNT: 1
	.section	.text._ZN9rocsparseL18bsric0_9_16_kernelILi64ELi64ELi16EfEEv20rocsparse_direction_iiPKiS3_PT2_S3_PiS3_S6_21rocsparse_index_base_,"axG",@progbits,_ZN9rocsparseL18bsric0_9_16_kernelILi64ELi64ELi16EfEEv20rocsparse_direction_iiPKiS3_PT2_S3_PiS3_S6_21rocsparse_index_base_,comdat
	.globl	_ZN9rocsparseL18bsric0_9_16_kernelILi64ELi64ELi16EfEEv20rocsparse_direction_iiPKiS3_PT2_S3_PiS3_S6_21rocsparse_index_base_ ; -- Begin function _ZN9rocsparseL18bsric0_9_16_kernelILi64ELi64ELi16EfEEv20rocsparse_direction_iiPKiS3_PT2_S3_PiS3_S6_21rocsparse_index_base_
	.p2align	8
	.type	_ZN9rocsparseL18bsric0_9_16_kernelILi64ELi64ELi16EfEEv20rocsparse_direction_iiPKiS3_PT2_S3_PiS3_S6_21rocsparse_index_base_,@function
_ZN9rocsparseL18bsric0_9_16_kernelILi64ELi64ELi16EfEEv20rocsparse_direction_iiPKiS3_PT2_S3_PiS3_S6_21rocsparse_index_base_: ; @_ZN9rocsparseL18bsric0_9_16_kernelILi64ELi64ELi16EfEEv20rocsparse_direction_iiPKiS3_PT2_S3_PiS3_S6_21rocsparse_index_base_
; %bb.0:
	s_load_b256 s[8:15], s[0:1], 0x28
	s_bfe_u32 s2, ttmp6, 0x4000c
	s_and_b32 s3, ttmp6, 15
	s_add_co_i32 s2, s2, 1
	s_getreg_b32 s4, hwreg(HW_REG_IB_STS2, 6, 4)
	s_mul_i32 s2, ttmp9, s2
	v_and_b32_e32 v2, 0x3ff, v0
	s_add_co_i32 s3, s3, s2
	s_cmp_eq_u32 s4, 0
	v_bfe_u32 v3, v0, 10, 10
	s_cselect_b32 s2, ttmp9, s3
	s_wait_kmcnt 0x0
	s_load_b32 s12, s[12:13], s2 offset:0x0 scale_offset
	s_wait_kmcnt 0x0
	s_ashr_i32 s13, s12, 31
	s_delay_alu instid0(SALU_CYCLE_1) | instskip(NEXT) | instid1(SALU_CYCLE_1)
	s_lshl_b64 s[6:7], s[12:13], 2
	s_add_nc_u64 s[2:3], s[8:9], s[6:7]
	s_load_b32 s30, s[2:3], 0x0
	s_load_b32 s13, s[0:1], 0x48
	s_wait_kmcnt 0x0
	s_cmp_lg_u32 s30, -1
	s_cbranch_scc0 .LBB14_146
; %bb.1:
	s_clause 0x1
	s_load_b128 s[16:19], s[0:1], 0x10
	s_load_b64 s[20:21], s[0:1], 0x20
	v_dual_lshlrev_b32 v7, 2, v3 :: v_dual_lshlrev_b32 v4, 2, v2
	s_wait_kmcnt 0x0
	s_add_nc_u64 s[2:3], s[16:17], s[6:7]
	s_load_b32 s2, s[2:3], 0x0
	s_wait_kmcnt 0x0
	s_sub_co_i32 s33, s2, s13
	s_mov_b32 s2, exec_lo
	v_add3_u32 v0, v7, v2, s33
	s_delay_alu instid0(VALU_DEP_1)
	v_cmpx_ge_i32_e64 s30, v0
	s_cbranch_execz .LBB14_4
; %bb.2:
	v_dual_lshlrev_b32 v1, 4, v3 :: v_dual_lshlrev_b32 v5, 2, v2
	s_mov_b32 s3, 0
	s_delay_alu instid0(VALU_DEP_1)
	v_add3_u32 v1, v1, v5, 0x1300
.LBB14_3:                               ; =>This Inner Loop Header: Depth=1
	global_load_b32 v5, v0, s[18:19] scale_offset
	s_wait_xcnt 0x0
	v_add_nc_u32_e32 v0, 64, v0
	s_delay_alu instid0(VALU_DEP_1)
	v_cmp_lt_i32_e32 vcc_lo, s30, v0
	s_or_b32 s3, vcc_lo, s3
	s_wait_loadcnt 0x0
	v_subrev_nc_u32_e32 v5, s13, v5
	ds_store_b32 v1, v5
	v_add_nc_u32_e32 v1, 0x100, v1
	s_and_not1_b32 exec_lo, exec_lo, s3
	s_cbranch_execnz .LBB14_3
.LBB14_4:
	s_or_b32 exec_lo, exec_lo, s2
	v_mul_u32_u24_e32 v5, 0x44, v3
	s_mov_b32 s3, exec_lo
	v_cmpx_gt_u32_e32 16, v2
	s_cbranch_execz .LBB14_11
; %bb.5:
	v_sub_nc_u32_e64 v0, 12, v2 clamp
	s_mov_b32 s22, 0
	s_mov_b32 s4, 0
	v_dual_lshlrev_b32 v1, 2, v2 :: v_dual_mov_b32 v9, 0
	s_delay_alu instid0(VALU_DEP_2) | instskip(NEXT) | instid1(VALU_DEP_2)
	v_add_nc_u32_e32 v0, 3, v0
	v_add3_u32 v6, v5, v1, 0xcc0
	s_delay_alu instid0(VALU_DEP_2) | instskip(NEXT) | instid1(VALU_DEP_1)
	v_lshrrev_b32_e32 v0, 2, v0
	v_dual_mov_b32 v1, v0 :: v_dual_add_nc_u32 v8, 2, v0
	s_delay_alu instid0(VALU_DEP_1)
	v_and_b32_e32 v8, 14, v8
	s_branch .LBB14_7
.LBB14_6:                               ;   in Loop: Header=BB14_7 Depth=1
	s_or_b32 exec_lo, exec_lo, s2
	s_add_co_i32 s4, s4, 2
	v_add_nc_u32_e32 v6, 32, v6
	v_cmp_eq_u32_e32 vcc_lo, s4, v8
	s_or_b32 s22, vcc_lo, s22
	s_delay_alu instid0(SALU_CYCLE_1)
	s_and_not1_b32 exec_lo, exec_lo, s22
	s_cbranch_execz .LBB14_11
.LBB14_7:                               ; =>This Inner Loop Header: Depth=1
	s_mov_b32 s5, s4
	s_delay_alu instid0(SALU_CYCLE_1)
	s_or_b64 s[24:25], s[4:5], 0x100000000
	s_mov_b32 s5, exec_lo
	v_cmp_le_u32_e32 vcc_lo, s25, v1
	v_cmpx_le_u32_e64 s24, v0
; %bb.8:                                ;   in Loop: Header=BB14_7 Depth=1
	ds_store_b32 v6, v9
; %bb.9:                                ;   in Loop: Header=BB14_7 Depth=1
	s_or_b32 exec_lo, exec_lo, s5
	s_and_saveexec_b32 s2, vcc_lo
	s_cbranch_execz .LBB14_6
; %bb.10:                               ;   in Loop: Header=BB14_7 Depth=1
	ds_store_b32 v6, v9 offset:16
	s_branch .LBB14_6
.LBB14_11:
	s_or_b32 exec_lo, exec_lo, s3
	s_clause 0x1
	s_load_b32 s5, s[0:1], 0x8
	s_load_b32 s31, s[0:1], 0x0
	v_mul_u32_u24_e32 v6, 0x44, v2
	s_cmp_ge_i32 s33, s30
	s_wait_dscnt 0x0
	s_wait_kmcnt 0x0
	v_cmp_gt_i32_e64 s0, s5, v2
	v_xad_u32 v8, v2, -1, s5
	s_cbranch_scc1 .LBB14_100
; %bb.12:
	s_delay_alu instid0(VALU_DEP_1) | instskip(SKIP_3) | instid1(VALU_DEP_3)
	v_dual_lshrrev_b32 v0, 2, v8 :: v_dual_lshlrev_b32 v11, 2, v2
	v_mad_u32 v1, s5, s33, v3
	s_movk_i32 s2, 0x440
	v_mul_lo_u32 v12, s5, v3
	v_dual_add_nc_u32 v0, 1, v0 :: v_dual_bitop2_b32 v15, v2, v3 bitop3:0x54
	v_mad_u32_u24 v10, 0x44, v3, s2
	v_mul_lo_u32 v17, v2, s5
	v_mad_u32_u24 v14, 0x44, v3, v11
	s_delay_alu instid0(VALU_DEP_4)
	v_and_b32_e32 v13, 0x7ffffffc, v0
	v_cmp_ne_u32_e64 s2, 0, v15
	s_movk_i32 s22, 0x44
	v_mul_lo_u32 v20, s5, v1
	v_mad_u32_u24 v9, v3, s22, 0x880
	v_lshl_add_u32 v15, v13, 2, v2
	v_mad_u32_u24 v19, v2, s22, 0x880
	s_movk_i32 s22, 0xcc0
	s_cmp_lg_u32 s31, 0
	v_cmp_gt_i32_e64 s1, s5, v3
	v_mul_lo_u32 v22, 0x44, v15
	v_cmp_lt_u32_e64 s3, 11, v8
	v_cmp_ne_u32_e64 s4, v0, v13
	v_dual_mov_b32 v25, 0 :: v_dual_add_nc_u32 v16, 0x440, v14
	v_mul_u32_u24_e32 v18, 0x44, v2
	v_add_nc_u32_e32 v21, 0xcc0, v14
	v_mad_u32_u24 v23, 0x44, v3, s22
	v_add_nc_u32_e32 v24, 0x880, v14
	v_lshlrev_b32_e32 v26, 2, v15
	s_cselect_b32 s34, -1, 0
	s_cmp_gt_i32 s5, 0
	s_mul_i32 s36, s5, s5
	s_cselect_b32 s35, -1, 0
	s_lshl_b32 s37, s5, 2
	s_mov_b32 s22, s33
	s_branch .LBB14_14
.LBB14_13:                              ;   in Loop: Header=BB14_14 Depth=1
	s_or_b32 exec_lo, exec_lo, s24
	s_add_co_i32 s22, s22, 1
	v_add_nc_u32_e32 v20, s36, v20
	s_cmp_ge_i32 s22, s30
	global_wb scope:SCOPE_DEV
	s_wait_storecnt 0x0
	global_inv scope:SCOPE_DEV
	s_cselect_b32 s23, -1, 0
	s_delay_alu instid0(SALU_CYCLE_1)
	s_and_b32 vcc_lo, exec_lo, s23
	s_cbranch_vccnz .LBB14_100
.LBB14_14:                              ; =>This Loop Header: Depth=1
                                        ;     Child Loop BB14_18 Depth 2
                                        ;     Child Loop BB14_30 Depth 2
	;; [unrolled: 1-line block ×5, first 2 shown]
                                        ;       Child Loop BB14_60 Depth 3
                                        ;     Child Loop BB14_74 Depth 2
                                        ;       Child Loop BB14_79 Depth 3
                                        ;       Child Loop BB14_83 Depth 3
	;; [unrolled: 1-line block ×3, first 2 shown]
                                        ;     Child Loop BB14_95 Depth 2
	s_ashr_i32 s23, s22, 31
	s_delay_alu instid0(SALU_CYCLE_1) | instskip(NEXT) | instid1(SALU_CYCLE_1)
	s_lshl_b64 s[24:25], s[22:23], 2
	s_add_nc_u64 s[24:25], s[18:19], s[24:25]
	s_load_b32 s38, s[24:25], 0x0
	s_wait_kmcnt 0x0
	s_sub_co_i32 s26, s38, s13
	s_delay_alu instid0(SALU_CYCLE_1) | instskip(SKIP_2) | instid1(SALU_CYCLE_1)
	s_ashr_i32 s27, s26, 31
	s_wait_xcnt 0x0
	s_lshl_b64 s[24:25], s[26:27], 2
	s_add_nc_u64 s[28:29], s[8:9], s[24:25]
	s_load_b32 s27, s[28:29], 0x0
	s_wait_kmcnt 0x0
	s_cmp_eq_u32 s27, -1
	s_cbranch_scc1 .LBB14_99
; %bb.15:                               ;   in Loop: Header=BB14_14 Depth=1
	s_wait_xcnt 0x0
	s_add_nc_u64 s[28:29], s[16:17], s[24:25]
	s_mul_i32 s23, s22, s5
	s_load_b32 s28, s[28:29], 0x0
	s_wait_xcnt 0x0
	s_and_saveexec_b32 s29, s0
	s_cbranch_execz .LBB14_28
; %bb.16:                               ;   in Loop: Header=BB14_14 Depth=1
	v_dual_mov_b32 v0, v16 :: v_dual_mov_b32 v1, v2
	s_mov_b32 s39, 0
	s_branch .LBB14_18
.LBB14_17:                              ;   in Loop: Header=BB14_18 Depth=2
	s_wait_xcnt 0x0
	s_or_b32 exec_lo, exec_lo, s41
	v_add_nc_u32_e32 v1, 4, v1
	s_wait_loadcnt 0x0
	ds_store_b32 v0, v28 offset:1088
	ds_store_b32 v0, v25
	v_add_nc_u32_e32 v0, 16, v0
	v_cmp_le_i32_e32 vcc_lo, s5, v1
	s_or_b32 s39, vcc_lo, s39
	s_delay_alu instid0(SALU_CYCLE_1)
	s_and_not1_b32 exec_lo, exec_lo, s39
	s_cbranch_execz .LBB14_28
.LBB14_18:                              ;   Parent Loop BB14_14 Depth=1
                                        ; =>  This Inner Loop Header: Depth=2
	s_and_b32 vcc_lo, exec_lo, s34
	s_cbranch_vccz .LBB14_25
; %bb.19:                               ;   in Loop: Header=BB14_18 Depth=2
	s_mov_b32 s41, 0
	s_mov_b32 s40, 0
                                        ; implicit-def: $vgpr27
	s_and_saveexec_b32 s42, s1
	s_delay_alu instid0(SALU_CYCLE_1)
	s_xor_b32 s42, exec_lo, s42
; %bb.20:                               ;   in Loop: Header=BB14_18 Depth=2
	v_add_nc_u32_e32 v27, s23, v1
	s_mov_b32 s40, exec_lo
	s_delay_alu instid0(VALU_DEP_1)
	v_mad_u32 v27, v27, s5, v3
; %bb.21:                               ;   in Loop: Header=BB14_18 Depth=2
	s_or_b32 exec_lo, exec_lo, s42
	s_delay_alu instid0(SALU_CYCLE_1)
	s_and_b32 vcc_lo, exec_lo, s41
	s_cbranch_vccz .LBB14_26
.LBB14_22:                              ;   in Loop: Header=BB14_18 Depth=2
                                        ; implicit-def: $vgpr27
	s_and_saveexec_b32 s41, s1
; %bb.23:                               ;   in Loop: Header=BB14_18 Depth=2
	v_add_nc_u32_e32 v27, v20, v1
	s_or_b32 s40, s40, exec_lo
; %bb.24:                               ;   in Loop: Header=BB14_18 Depth=2
	s_or_b32 exec_lo, exec_lo, s41
	v_mov_b32_e32 v28, 0
	s_and_saveexec_b32 s41, s40
	s_cbranch_execz .LBB14_17
	s_branch .LBB14_27
.LBB14_25:                              ;   in Loop: Header=BB14_18 Depth=2
	s_mov_b32 s40, 0
                                        ; implicit-def: $vgpr27
	s_cbranch_execnz .LBB14_22
.LBB14_26:                              ;   in Loop: Header=BB14_18 Depth=2
	v_mov_b32_e32 v28, 0
	s_and_saveexec_b32 s41, s40
	s_cbranch_execz .LBB14_17
.LBB14_27:                              ;   in Loop: Header=BB14_18 Depth=2
	global_load_b32 v28, v27, s[20:21] scale_offset
	s_branch .LBB14_17
.LBB14_28:                              ;   in Loop: Header=BB14_14 Depth=1
	s_or_b32 exec_lo, exec_lo, s29
	ds_load_b32 v0, v25 offset:4864
	s_wait_kmcnt 0x0
	s_sub_co_i32 s28, s28, s13
	s_delay_alu instid0(SALU_CYCLE_1) | instskip(SKIP_4) | instid1(SALU_CYCLE_1)
	s_cmp_le_i32 s28, s27
	s_cselect_b32 s29, -1, 0
	s_wait_dscnt 0x0
	v_cmp_ge_i32_e32 vcc_lo, s26, v0
	s_and_b32 s29, s29, vcc_lo
	s_and_not1_b32 vcc_lo, exec_lo, s29
	s_mov_b32 s29, 0
	s_cbranch_vccnz .LBB14_40
; %bb.29:                               ;   in Loop: Header=BB14_14 Depth=1
	s_mov_b32 s39, 0
	s_mov_b32 s40, 0
.LBB14_30:                              ;   Parent Loop BB14_14 Depth=1
                                        ; =>  This Inner Loop Header: Depth=2
	s_ashr_i32 s29, s28, 31
	s_lshl_b32 s41, s40, 2
	s_wait_xcnt 0x0
	s_lshl_b64 s[42:43], s[28:29], 2
	v_mov_b32_e32 v0, s41
	s_add_nc_u64 s[42:43], s[18:19], s[42:43]
	s_mov_b32 s44, -1
	s_load_b32 s29, s[42:43], 0x0
                                        ; implicit-def: $sgpr43
                                        ; implicit-def: $sgpr42
	ds_load_b32 v0, v0 offset:4864
	s_wait_kmcnt 0x0
	s_sub_co_i32 s45, s29, s13
                                        ; implicit-def: $sgpr29
	s_wait_dscnt 0x0
	v_readfirstlane_b32 s41, v0
	v_cmp_ge_i32_e32 vcc_lo, s45, v0
	s_cbranch_vccz .LBB14_36
; %bb.31:                               ;   in Loop: Header=BB14_30 Depth=2
	s_cmp_le_i32 s45, s41
                                        ; implicit-def: $sgpr29
                                        ; implicit-def: $sgpr43
                                        ; implicit-def: $sgpr42
	s_cbranch_scc0 .LBB14_33
; %bb.32:                               ;   in Loop: Header=BB14_30 Depth=2
	s_add_co_i32 s29, s40, s33
	s_wait_xcnt 0x0
	s_lshl_b32 s42, s39, 2
	s_mul_i32 s29, s29, s36
	s_delay_alu instid0(SALU_CYCLE_1)
	v_dual_mov_b32 v0, s42 :: v_dual_mov_b32 v1, s29
	s_mul_i32 s42, s28, s36
	s_add_co_i32 s43, s28, 1
	v_mov_b32_e32 v27, s42
	s_add_co_i32 s42, s40, 1
	s_add_co_i32 s29, s39, 1
	s_mov_b32 s44, 0
	ds_store_2addr_stride64_b32 v0, v27, v1 offset0:17 offset1:18
.LBB14_33:                              ;   in Loop: Header=BB14_30 Depth=2
	s_and_not1_b32 vcc_lo, exec_lo, s44
	s_cbranch_vccnz .LBB14_35
; %bb.34:                               ;   in Loop: Header=BB14_30 Depth=2
	s_wait_xcnt 0x0
	s_add_co_i32 s42, s40, 1
	s_mov_b32 s29, s39
	s_mov_b32 s43, s28
.LBB14_35:                              ;   in Loop: Header=BB14_30 Depth=2
	s_mov_b32 s44, 0
.LBB14_36:                              ;   in Loop: Header=BB14_30 Depth=2
	s_delay_alu instid0(SALU_CYCLE_1)
	s_and_not1_b32 vcc_lo, exec_lo, s44
	s_cbranch_vccnz .LBB14_38
; %bb.37:                               ;   in Loop: Header=BB14_30 Depth=2
	s_wait_xcnt 0x0
	s_add_co_i32 s43, s28, 1
	s_mov_b32 s42, s40
	s_mov_b32 s29, s39
.LBB14_38:                              ;   in Loop: Header=BB14_30 Depth=2
	s_cmp_le_i32 s43, s27
	s_cselect_b32 s28, -1, 0
	s_cmp_le_i32 s41, s26
	s_cselect_b32 s39, -1, 0
	s_delay_alu instid0(SALU_CYCLE_1) | instskip(NEXT) | instid1(SALU_CYCLE_1)
	s_and_b32 s28, s28, s39
	s_and_b32 vcc_lo, exec_lo, s28
	s_cbranch_vccz .LBB14_40
; %bb.39:                               ;   in Loop: Header=BB14_30 Depth=2
	s_mov_b32 s39, s29
	s_mov_b32 s28, s43
	;; [unrolled: 1-line block ×3, first 2 shown]
	s_branch .LBB14_30
.LBB14_40:                              ;   in Loop: Header=BB14_14 Depth=1
	s_add_nc_u64 s[24:25], s[10:11], s[24:25]
	s_wait_dscnt 0x0
.LBB14_41:                              ;   Parent Loop BB14_14 Depth=1
                                        ; =>  This Inner Loop Header: Depth=2
	global_load_b32 v0, v25, s[24:25] scope:SCOPE_DEV
	s_wait_loadcnt 0x0
	v_cmp_eq_u32_e32 vcc_lo, 0, v0
	s_cbranch_vccnz .LBB14_41
; %bb.42:                               ;   in Loop: Header=BB14_14 Depth=1
	global_inv scope:SCOPE_DEV
	s_wait_xcnt 0x0
	s_and_saveexec_b32 s24, s0
	s_cbranch_execz .LBB14_55
; %bb.43:                               ;   in Loop: Header=BB14_14 Depth=1
	s_mul_i32 s27, s27, s5
	s_delay_alu instid0(SALU_CYCLE_1) | instskip(SKIP_2) | instid1(VALU_DEP_2)
	v_dual_mov_b32 v27, v2 :: v_dual_add_nc_u32 v0, s27, v3
	v_mov_b32_e32 v1, v14
	s_mov_b32 s25, 0
	v_mul_lo_u32 v0, v0, s5
	s_branch .LBB14_45
.LBB14_44:                              ;   in Loop: Header=BB14_45 Depth=2
	s_wait_xcnt 0x0
	s_or_b32 exec_lo, exec_lo, s28
	v_add_nc_u32_e32 v27, 4, v27
	s_wait_loadcnt 0x0
	ds_store_b32 v1, v29
	v_add_nc_u32_e32 v1, 16, v1
	v_cmp_le_i32_e32 vcc_lo, s5, v27
	s_or_b32 s25, vcc_lo, s25
	s_delay_alu instid0(SALU_CYCLE_1)
	s_and_not1_b32 exec_lo, exec_lo, s25
	s_cbranch_execz .LBB14_55
.LBB14_45:                              ;   Parent Loop BB14_14 Depth=1
                                        ; =>  This Inner Loop Header: Depth=2
	s_and_b32 vcc_lo, exec_lo, s34
	s_cbranch_vccz .LBB14_52
; %bb.46:                               ;   in Loop: Header=BB14_45 Depth=2
	s_mov_b32 s28, 0
	s_mov_b32 s26, 0
                                        ; implicit-def: $vgpr28
	s_and_saveexec_b32 s39, s1
	s_delay_alu instid0(SALU_CYCLE_1)
	s_xor_b32 s39, exec_lo, s39
; %bb.47:                               ;   in Loop: Header=BB14_45 Depth=2
	v_add_nc_u32_e32 v28, s27, v27
	s_mov_b32 s26, exec_lo
	s_delay_alu instid0(VALU_DEP_1)
	v_mad_u32 v28, v28, s5, v3
; %bb.48:                               ;   in Loop: Header=BB14_45 Depth=2
	s_or_b32 exec_lo, exec_lo, s39
	s_delay_alu instid0(SALU_CYCLE_1)
	s_and_b32 vcc_lo, exec_lo, s28
	s_cbranch_vccz .LBB14_53
.LBB14_49:                              ;   in Loop: Header=BB14_45 Depth=2
                                        ; implicit-def: $vgpr28
	s_and_saveexec_b32 s28, s1
; %bb.50:                               ;   in Loop: Header=BB14_45 Depth=2
	s_delay_alu instid0(VALU_DEP_1)
	v_add_nc_u32_e32 v28, v0, v27
	s_or_b32 s26, s26, exec_lo
; %bb.51:                               ;   in Loop: Header=BB14_45 Depth=2
	s_or_b32 exec_lo, exec_lo, s28
	v_mov_b32_e32 v29, 0
	s_and_saveexec_b32 s28, s26
	s_cbranch_execz .LBB14_44
	s_branch .LBB14_54
.LBB14_52:                              ;   in Loop: Header=BB14_45 Depth=2
	s_mov_b32 s26, 0
                                        ; implicit-def: $vgpr28
	s_cbranch_execnz .LBB14_49
.LBB14_53:                              ;   in Loop: Header=BB14_45 Depth=2
	v_mov_b32_e32 v29, 0
	s_and_saveexec_b32 s28, s26
	s_cbranch_execz .LBB14_44
.LBB14_54:                              ;   in Loop: Header=BB14_45 Depth=2
	global_load_b32 v29, v28, s[20:21] scale_offset
	s_branch .LBB14_44
.LBB14_55:                              ;   in Loop: Header=BB14_14 Depth=1
	s_or_b32 exec_lo, exec_lo, s24
	s_cmp_lt_i32 s29, 2
	s_cbranch_scc1 .LBB14_71
; %bb.56:                               ;   in Loop: Header=BB14_14 Depth=1
	s_add_co_i32 s24, s29, -2
	s_mov_b32 s25, 0
	s_branch .LBB14_58
.LBB14_57:                              ;   in Loop: Header=BB14_58 Depth=2
	s_or_b32 exec_lo, exec_lo, s26
	s_add_co_i32 s26, s25, 1
	s_cmp_eq_u32 s25, s24
	s_mov_b32 s25, s26
	s_cbranch_scc1 .LBB14_71
.LBB14_58:                              ;   Parent Loop BB14_14 Depth=1
                                        ; =>  This Loop Header: Depth=2
                                        ;       Child Loop BB14_60 Depth 3
	s_and_saveexec_b32 s26, s0
	s_cbranch_execz .LBB14_57
; %bb.59:                               ;   in Loop: Header=BB14_58 Depth=2
	s_lshl_b32 s27, s25, 2
	s_delay_alu instid0(SALU_CYCLE_1)
	v_mov_b32_e32 v0, s27
	s_mov_b32 s27, 0
	ds_load_2addr_stride64_b32 v[28:29], v0 offset0:17 offset1:18
	s_wait_dscnt 0x0
	v_dual_add_nc_u32 v0, v29, v12 :: v_dual_add_nc_u32 v1, v3, v29
	v_dual_add_nc_u32 v27, v2, v28 :: v_dual_add_nc_u32 v28, v17, v28
	v_mov_b32_e32 v29, v2
.LBB14_60:                              ;   Parent Loop BB14_14 Depth=1
                                        ;     Parent Loop BB14_58 Depth=2
                                        ; =>    This Inner Loop Header: Depth=3
	s_delay_alu instid0(VALU_DEP_2) | instskip(NEXT) | instid1(VALU_DEP_4)
	v_dual_mov_b32 v32, 0 :: v_dual_mov_b32 v30, v27
	v_mov_b32_e32 v31, v1
	s_mov_b32 s28, 0
	s_and_b32 vcc_lo, exec_lo, s34
	s_cbranch_vccnz .LBB14_63
	s_branch .LBB14_62
.LBB14_61:                              ;   in Loop: Header=BB14_60 Depth=3
	v_mov_b32_e32 v32, v33
	s_and_b32 vcc_lo, exec_lo, s34
	s_cbranch_vccnz .LBB14_63
.LBB14_62:                              ;   in Loop: Header=BB14_60 Depth=3
                                        ; implicit-def: $vgpr33
	s_cbranch_execz .LBB14_69
	s_branch .LBB14_66
.LBB14_63:                              ;   in Loop: Header=BB14_60 Depth=3
	global_load_b32 v33, v30, s[20:21] scale_offset
	v_mov_b32_e32 v34, 0
	s_wait_xcnt 0x0
	s_and_saveexec_b32 s29, s1
	s_cbranch_execz .LBB14_65
; %bb.64:                               ;   in Loop: Header=BB14_60 Depth=3
	global_load_b32 v34, v31, s[20:21] scale_offset
.LBB14_65:                              ;   in Loop: Header=BB14_60 Depth=3
	s_wait_xcnt 0x0
	s_or_b32 exec_lo, exec_lo, s29
	s_wait_loadcnt 0x0
	v_fma_f32 v33, v33, v34, v32
	s_branch .LBB14_69
.LBB14_66:                              ;   in Loop: Header=BB14_60 Depth=3
	v_dual_mov_b32 v34, 0 :: v_dual_add_nc_u32 v33, s28, v28
	global_load_b32 v33, v33, s[20:21] scale_offset
	s_wait_xcnt 0x0
	s_and_saveexec_b32 s29, s1
	s_cbranch_execz .LBB14_68
; %bb.67:                               ;   in Loop: Header=BB14_60 Depth=3
	v_add_nc_u32_e32 v34, s28, v0
	global_load_b32 v34, v34, s[20:21] scale_offset
.LBB14_68:                              ;   in Loop: Header=BB14_60 Depth=3
	s_wait_xcnt 0x0
	s_or_b32 exec_lo, exec_lo, s29
	s_wait_loadcnt 0x0
	v_fmac_f32_e32 v32, v33, v34
	s_delay_alu instid0(VALU_DEP_1)
	v_mov_b32_e32 v33, v32
.LBB14_69:                              ;   in Loop: Header=BB14_60 Depth=3
	v_dual_add_nc_u32 v31, s5, v31 :: v_dual_add_nc_u32 v30, s5, v30
	s_add_co_i32 s28, s28, 1
	s_delay_alu instid0(SALU_CYCLE_1)
	s_cmp_eq_u32 s5, s28
	s_cbranch_scc0 .LBB14_61
; %bb.70:                               ;   in Loop: Header=BB14_60 Depth=3
	v_lshl_add_u32 v30, v29, 2, v10
	v_dual_add_nc_u32 v27, 4, v27 :: v_dual_add_nc_u32 v28, s37, v28
	ds_load_b32 v31, v30
	s_wait_dscnt 0x0
	v_dual_add_nc_u32 v29, 4, v29 :: v_dual_add_f32 v31, v33, v31
	s_delay_alu instid0(VALU_DEP_1) | instskip(SKIP_2) | instid1(SALU_CYCLE_1)
	v_cmp_le_i32_e32 vcc_lo, s5, v29
	ds_store_b32 v30, v31
	s_or_b32 s27, vcc_lo, s27
	s_and_not1_b32 exec_lo, exec_lo, s27
	s_cbranch_execnz .LBB14_60
	s_branch .LBB14_57
.LBB14_71:                              ;   in Loop: Header=BB14_14 Depth=1
	s_and_not1_b32 vcc_lo, exec_lo, s35
	s_wait_loadcnt_dscnt 0x0
	s_cbranch_vccnz .LBB14_90
; %bb.72:                               ;   in Loop: Header=BB14_14 Depth=1
	v_mov_b32_e32 v27, v19
	s_mov_b32 s24, 0
	s_movk_i32 s25, 0x880
	s_mov_b32 s26, 0
	s_branch .LBB14_74
.LBB14_73:                              ;   in Loop: Header=BB14_74 Depth=2
	s_or_b32 exec_lo, exec_lo, s27
	v_add_nc_u32_e32 v27, 4, v27
	s_add_co_i32 s26, s26, 1
	s_addk_co_i32 s24, 0x44
	s_add_co_i32 s25, s25, 4
	s_cmp_eq_u32 s26, s5
	s_wait_dscnt 0x0
	s_cbranch_scc1 .LBB14_90
.LBB14_74:                              ;   Parent Loop BB14_14 Depth=1
                                        ; =>  This Loop Header: Depth=2
                                        ;       Child Loop BB14_79 Depth 3
                                        ;       Child Loop BB14_83 Depth 3
	;; [unrolled: 1-line block ×3, first 2 shown]
	s_lshl_b32 s27, s26, 2
	s_mul_i32 s28, s26, 0x44
	v_add_nc_u32_e32 v1, s27, v9
	s_add_co_i32 s28, s28, s27
	s_delay_alu instid0(SALU_CYCLE_1)
	v_mov_b32_e32 v0, s28
	ds_load_b32 v28, v0
	ds_load_b32 v0, v1
	s_wait_dscnt 0x1
	v_readfirstlane_b32 s27, v28
	s_cmp_neq_f32 s27, 0
	s_cselect_b32 vcc_lo, -1, 0
	v_cndmask_b32_e32 v28, 1.0, v28, vcc_lo
	s_nor_b32 s28, vcc_lo, s2
	s_delay_alu instid0(SALU_CYCLE_1)
	s_and_saveexec_b32 s27, s28
	s_cbranch_execz .LBB14_78
; %bb.75:                               ;   in Loop: Header=BB14_74 Depth=2
	v_mbcnt_lo_u32_b32 v28, exec_lo, 0
	s_mov_b32 s28, exec_lo
	s_delay_alu instid0(VALU_DEP_1)
	v_cmpx_eq_u32_e32 0, v28
	s_cbranch_execz .LBB14_77
; %bb.76:                               ;   in Loop: Header=BB14_74 Depth=2
	v_mov_b32_e32 v28, s38
	global_atomic_min_i32 v25, v28, s[14:15] scope:SCOPE_DEV
.LBB14_77:                              ;   in Loop: Header=BB14_74 Depth=2
	s_wait_xcnt 0x0
	s_or_b32 exec_lo, exec_lo, s28
	v_mov_b32_e32 v28, 1.0
.LBB14_78:                              ;   in Loop: Header=BB14_74 Depth=2
	s_or_b32 exec_lo, exec_lo, s27
	v_lshl_add_u32 v29, s26, 2, v10
	v_mov_b32_e32 v30, v9
	s_cmp_eq_u32 s26, 0
	s_mov_b32 s27, s24
	s_mov_b32 s28, s26
	ds_load_b32 v29, v29
	s_cbranch_scc1 .LBB14_80
.LBB14_79:                              ;   Parent Loop BB14_14 Depth=1
                                        ;     Parent Loop BB14_74 Depth=2
                                        ; =>    This Inner Loop Header: Depth=3
	v_mov_b32_e32 v31, s27
	s_add_co_i32 s28, s28, -1
	s_add_co_i32 s27, s27, 4
	s_cmp_eq_u32 s28, 0
	ds_load_b32 v32, v30
	ds_load_b32 v31, v31
	s_wait_dscnt 0x0
	v_dual_fmac_f32 v29, v31, v32 :: v_dual_add_nc_u32 v30, 4, v30
	s_cbranch_scc0 .LBB14_79
.LBB14_80:                              ;   in Loop: Header=BB14_74 Depth=2
	s_wait_dscnt 0x0
	s_delay_alu instid0(VALU_DEP_1) | instskip(NEXT) | instid1(VALU_DEP_1)
	v_sub_f32_e32 v0, v0, v29
	v_div_scale_f32 v29, null, v28, v28, v0
	s_delay_alu instid0(VALU_DEP_1) | instskip(SKIP_1) | instid1(TRANS32_DEP_1)
	v_rcp_f32_e32 v30, v29
	v_nop
	v_fma_f32 v31, -v29, v30, 1.0
	s_delay_alu instid0(VALU_DEP_1) | instskip(SKIP_1) | instid1(VALU_DEP_1)
	v_fmac_f32_e32 v30, v31, v30
	v_div_scale_f32 v32, vcc_lo, v0, v28, v0
	v_mul_f32_e32 v31, v32, v30
	s_delay_alu instid0(VALU_DEP_1) | instskip(NEXT) | instid1(VALU_DEP_1)
	v_fma_f32 v33, -v29, v31, v32
	v_fmac_f32_e32 v31, v33, v30
	s_delay_alu instid0(VALU_DEP_1) | instskip(NEXT) | instid1(VALU_DEP_1)
	v_fma_f32 v29, -v29, v31, v32
	v_div_fmas_f32 v29, v29, v30, v31
	s_delay_alu instid0(VALU_DEP_1)
	v_div_fixup_f32 v0, v29, v28, v0
	ds_store_b32 v1, v0
	s_wait_storecnt_dscnt 0x0
	s_and_saveexec_b32 s27, s0
	s_cbranch_execz .LBB14_73
; %bb.81:                               ;   in Loop: Header=BB14_74 Depth=2
	v_dual_mov_b32 v1, v2 :: v_dual_mov_b32 v28, v11
	v_mov_b32_e32 v29, v18
	s_mov_b32 s29, -1
	s_and_saveexec_b32 s28, s3
	s_cbranch_execz .LBB14_87
; %bb.82:                               ;   in Loop: Header=BB14_74 Depth=2
	v_dual_mov_b32 v1, v0 :: v_dual_mov_b32 v28, v13
	v_dual_mov_b32 v29, v21 :: v_dual_mov_b32 v30, v27
	s_mov_b32 s29, 0
.LBB14_83:                              ;   Parent Loop BB14_14 Depth=1
                                        ;     Parent Loop BB14_74 Depth=2
                                        ; =>    This Inner Loop Header: Depth=3
	ds_load_2addr_b32 v[32:33], v30 offset1:68
	ds_load_2addr_b32 v[34:35], v30 offset0:136 offset1:204
	ds_load_2addr_b32 v[36:37], v29 offset1:4
	ds_load_2addr_b32 v[38:39], v29 offset0:8 offset1:12
	v_add_nc_u32_e32 v28, -4, v28
	v_add_nc_u32_e32 v30, 0x440, v30
	s_wait_dscnt 0x1
	v_pk_fma_f32 v[32:33], v[0:1], v[32:33], v[36:37]
	s_wait_dscnt 0x0
	v_pk_fma_f32 v[34:35], v[0:1], v[34:35], v[38:39]
	ds_store_2addr_b32 v29, v32, v33 offset1:4
	ds_store_2addr_b32 v29, v34, v35 offset0:8 offset1:12
	v_add_nc_u32_e32 v29, 64, v29
	v_cmp_eq_u32_e32 vcc_lo, 0, v28
	s_or_b32 s29, vcc_lo, s29
	s_delay_alu instid0(SALU_CYCLE_1)
	s_and_not1_b32 exec_lo, exec_lo, s29
	s_cbranch_execnz .LBB14_83
; %bb.84:                               ;   in Loop: Header=BB14_74 Depth=2
	s_or_b32 exec_lo, exec_lo, s29
	s_mov_b32 s29, 0
	s_and_saveexec_b32 s39, s4
; %bb.85:                               ;   in Loop: Header=BB14_74 Depth=2
	s_mov_b32 s29, exec_lo
; %bb.86:                               ;   in Loop: Header=BB14_74 Depth=2
	s_or_b32 exec_lo, exec_lo, s39
	v_dual_mov_b32 v1, v15 :: v_dual_mov_b32 v28, v26
	v_mov_b32_e32 v29, v22
	s_or_not1_b32 s29, s29, exec_lo
.LBB14_87:                              ;   in Loop: Header=BB14_74 Depth=2
	s_or_b32 exec_lo, exec_lo, s28
	s_delay_alu instid0(SALU_CYCLE_1)
	s_and_b32 exec_lo, exec_lo, s29
	s_cbranch_execz .LBB14_73
; %bb.88:                               ;   in Loop: Header=BB14_74 Depth=2
	v_dual_add_nc_u32 v28, v23, v28 :: v_dual_add_nc_u32 v29, s25, v29
	s_mov_b32 s28, 0
.LBB14_89:                              ;   Parent Loop BB14_14 Depth=1
                                        ;     Parent Loop BB14_74 Depth=2
                                        ; =>    This Inner Loop Header: Depth=3
	ds_load_b32 v30, v29
	ds_load_b32 v31, v28
	v_add_nc_u32_e32 v1, 4, v1
	v_add_nc_u32_e32 v29, 0x110, v29
	s_wait_dscnt 0x0
	v_fmac_f32_e32 v31, v0, v30
	s_delay_alu instid0(VALU_DEP_3) | instskip(SKIP_3) | instid1(SALU_CYCLE_1)
	v_cmp_le_i32_e32 vcc_lo, s5, v1
	ds_store_b32 v28, v31
	v_add_nc_u32_e32 v28, 16, v28
	s_or_b32 s28, vcc_lo, s28
	s_and_not1_b32 exec_lo, exec_lo, s28
	s_cbranch_execnz .LBB14_89
	s_branch .LBB14_73
.LBB14_90:                              ;   in Loop: Header=BB14_14 Depth=1
	s_and_saveexec_b32 s24, s0
	s_cbranch_execz .LBB14_13
; %bb.91:                               ;   in Loop: Header=BB14_14 Depth=1
	v_dual_mov_b32 v0, v24 :: v_dual_mov_b32 v1, v2
	s_mov_b32 s25, 0
	s_branch .LBB14_95
.LBB14_92:                              ;   in Loop: Header=BB14_95 Depth=2
	v_add_nc_u32_e32 v28, v20, v1
.LBB14_93:                              ;   in Loop: Header=BB14_95 Depth=2
	s_wait_dscnt 0x0
	global_store_b32 v28, v27, s[20:21] scale_offset
.LBB14_94:                              ;   in Loop: Header=BB14_95 Depth=2
	s_wait_xcnt 0x0
	s_or_b32 exec_lo, exec_lo, s26
	v_dual_add_nc_u32 v1, 4, v1 :: v_dual_add_nc_u32 v0, 16, v0
	s_delay_alu instid0(VALU_DEP_1) | instskip(SKIP_1) | instid1(SALU_CYCLE_1)
	v_cmp_le_i32_e32 vcc_lo, s5, v1
	s_or_b32 s25, vcc_lo, s25
	s_and_not1_b32 exec_lo, exec_lo, s25
	s_cbranch_execz .LBB14_13
.LBB14_95:                              ;   Parent Loop BB14_14 Depth=1
                                        ; =>  This Inner Loop Header: Depth=2
	s_and_saveexec_b32 s26, s1
	s_cbranch_execz .LBB14_94
; %bb.96:                               ;   in Loop: Header=BB14_95 Depth=2
	ds_load_b32 v27, v0
	s_and_b32 vcc_lo, exec_lo, s34
	s_cbranch_vccz .LBB14_98
; %bb.97:                               ;   in Loop: Header=BB14_95 Depth=2
	v_add_nc_u32_e32 v28, s23, v1
	s_delay_alu instid0(VALU_DEP_1)
	v_mad_u32 v28, v28, s5, v3
	s_cbranch_execnz .LBB14_93
	s_branch .LBB14_92
.LBB14_98:                              ;   in Loop: Header=BB14_95 Depth=2
                                        ; implicit-def: $vgpr28
	s_branch .LBB14_92
.LBB14_99:                              ;   in Loop: Header=BB14_14 Depth=1
                                        ; implicit-def: $sgpr22
                                        ; implicit-def: $vgpr20
	s_cbranch_execz .LBB14_14
.LBB14_100:
	v_cmp_gt_i32_e64 s0, s5, v2
	s_and_saveexec_b32 s2, s0
	s_cbranch_execz .LBB14_113
; %bb.101:
	s_mul_i32 s3, s30, s5
	v_cmp_gt_i32_e64 s1, s5, v3
	v_dual_add_nc_u32 v0, s3, v3 :: v_dual_lshlrev_b32 v1, 2, v2
	v_mov_b32_e32 v9, v2
	s_cmp_lg_u32 s31, 0
	s_mov_b32 s4, 0
	s_delay_alu instid0(VALU_DEP_2)
	v_mul_lo_u32 v0, v0, s5
	v_add3_u32 v1, v5, v1, 0x880
	s_cselect_b32 s8, -1, 0
	s_branch .LBB14_103
.LBB14_102:                             ;   in Loop: Header=BB14_103 Depth=1
	s_wait_xcnt 0x0
	s_or_b32 exec_lo, exec_lo, s16
	v_add_nc_u32_e32 v9, 4, v9
	s_wait_loadcnt 0x0
	ds_store_b32 v1, v11
	v_add_nc_u32_e32 v1, 16, v1
	v_cmp_le_i32_e32 vcc_lo, s5, v9
	s_or_b32 s4, vcc_lo, s4
	s_delay_alu instid0(SALU_CYCLE_1)
	s_and_not1_b32 exec_lo, exec_lo, s4
	s_cbranch_execz .LBB14_113
.LBB14_103:                             ; =>This Inner Loop Header: Depth=1
	s_and_b32 vcc_lo, exec_lo, s8
	s_cbranch_vccz .LBB14_110
; %bb.104:                              ;   in Loop: Header=BB14_103 Depth=1
	s_mov_b32 s16, 0
	s_mov_b32 s9, 0
                                        ; implicit-def: $vgpr10
	s_and_saveexec_b32 s17, s1
	s_delay_alu instid0(SALU_CYCLE_1)
	s_xor_b32 s17, exec_lo, s17
; %bb.105:                              ;   in Loop: Header=BB14_103 Depth=1
	v_add_nc_u32_e32 v10, s3, v9
	s_mov_b32 s9, exec_lo
	s_delay_alu instid0(VALU_DEP_1)
	v_mad_u32 v10, v10, s5, v3
; %bb.106:                              ;   in Loop: Header=BB14_103 Depth=1
	s_or_b32 exec_lo, exec_lo, s17
	s_delay_alu instid0(SALU_CYCLE_1)
	s_and_b32 vcc_lo, exec_lo, s16
	s_cbranch_vccz .LBB14_111
.LBB14_107:                             ;   in Loop: Header=BB14_103 Depth=1
                                        ; implicit-def: $vgpr10
	s_and_saveexec_b32 s16, s1
; %bb.108:                              ;   in Loop: Header=BB14_103 Depth=1
	s_delay_alu instid0(VALU_DEP_2)
	v_add_nc_u32_e32 v10, v0, v9
	s_or_b32 s9, s9, exec_lo
; %bb.109:                              ;   in Loop: Header=BB14_103 Depth=1
	s_or_b32 exec_lo, exec_lo, s16
	v_mov_b32_e32 v11, 0
	s_and_saveexec_b32 s16, s9
	s_cbranch_execz .LBB14_102
	s_branch .LBB14_112
.LBB14_110:                             ;   in Loop: Header=BB14_103 Depth=1
	s_mov_b32 s9, 0
                                        ; implicit-def: $vgpr10
	s_cbranch_execnz .LBB14_107
.LBB14_111:                             ;   in Loop: Header=BB14_103 Depth=1
	v_mov_b32_e32 v11, 0
	s_and_saveexec_b32 s16, s9
	s_cbranch_execz .LBB14_102
.LBB14_112:                             ;   in Loop: Header=BB14_103 Depth=1
	global_load_b32 v11, v10, s[20:21] scale_offset
	s_branch .LBB14_102
.LBB14_113:
	s_or_b32 exec_lo, exec_lo, s2
	s_cmp_lt_i32 s5, 1
	s_wait_loadcnt_dscnt 0x0
	s_cbranch_scc1 .LBB14_133
; %bb.114:
	v_dual_lshrrev_b32 v0, 2, v8 :: v_dual_bitop2_b32 v1, v2, v3 bitop3:0x54
	s_movk_i32 s4, 0x44
	s_movk_i32 s1, 0xcc0
	v_mad_u32_u24 v10, v3, s4, 0x880
	s_delay_alu instid0(VALU_DEP_2)
	v_add_nc_u32_e32 v0, 1, v0
	v_mad_u32_u24 v11, 0x44, v3, s1
	v_cmp_ne_u32_e64 s1, 0, v1
	v_cmp_lt_u32_e64 s2, 11, v8
	v_add_nc_u32_e32 v13, v10, v7
	v_and_b32_e32 v9, 0x7ffffffc, v0
	v_dual_mov_b32 v16, 0 :: v_dual_add_nc_u32 v7, v11, v7
	v_mad_u32_u24 v8, v2, s4, 0x880
	v_add3_u32 v15, v5, v4, 0xcc0
	s_delay_alu instid0(VALU_DEP_4)
	v_lshl_add_u32 v12, v9, 2, v2
	v_cmp_ne_u32_e64 s3, v0, v9
	s_movk_i32 s8, 0x880
	s_mov_b32 s9, 0
	s_add_co_i32 s16, s12, s13
	v_mul_lo_u32 v14, 0x44, v12
	v_lshlrev_b32_e32 v17, 2, v12
	s_branch .LBB14_116
.LBB14_115:                             ;   in Loop: Header=BB14_116 Depth=1
	s_or_b32 exec_lo, exec_lo, s4
	v_add_nc_u32_e32 v8, 4, v8
	s_add_co_i32 s9, s9, 1
	s_add_co_i32 s8, s8, 4
	s_cmp_eq_u32 s9, s5
	s_wait_storecnt_dscnt 0x0
	s_cbranch_scc1 .LBB14_133
.LBB14_116:                             ; =>This Loop Header: Depth=1
                                        ;     Child Loop BB14_126 Depth 2
                                        ;     Child Loop BB14_132 Depth 2
	s_mov_b32 s17, exec_lo
	v_cmpx_eq_u32_e64 s9, v3
	s_cbranch_execz .LBB14_118
; %bb.117:                              ;   in Loop: Header=BB14_116 Depth=1
	ds_load_b32 v0, v13
	ds_load_b32 v1, v7
	s_wait_dscnt 0x0
	v_sub_f32_e32 v0, v0, v1
	s_delay_alu instid0(VALU_DEP_1) | instskip(SKIP_1) | instid1(VALU_DEP_1)
	v_cmp_gt_f32_e32 vcc_lo, 0, v0
	v_cndmask_b32_e64 v0, v0, -v0, vcc_lo
	v_mul_f32_e32 v1, 0x4f800000, v0
	v_cmp_gt_f32_e32 vcc_lo, 0xf800000, v0
	s_delay_alu instid0(VALU_DEP_2) | instskip(NEXT) | instid1(VALU_DEP_1)
	v_cndmask_b32_e32 v0, v0, v1, vcc_lo
	v_sqrt_f32_e32 v1, v0
	v_nop
	s_delay_alu instid0(TRANS32_DEP_1) | instskip(NEXT) | instid1(VALU_DEP_1)
	v_dual_add_nc_u32 v18, -1, v1 :: v_dual_add_nc_u32 v19, 1, v1
	v_dual_fma_f32 v20, -v18, v1, v0 :: v_dual_fma_f32 v21, -v19, v1, v0
	s_delay_alu instid0(VALU_DEP_1) | instskip(NEXT) | instid1(VALU_DEP_1)
	v_cmp_ge_f32_e64 s4, 0, v20
	v_cndmask_b32_e64 v1, v1, v18, s4
	s_delay_alu instid0(VALU_DEP_3) | instskip(NEXT) | instid1(VALU_DEP_1)
	v_cmp_lt_f32_e64 s4, 0, v21
	v_cndmask_b32_e64 v1, v1, v19, s4
	s_delay_alu instid0(VALU_DEP_1) | instskip(NEXT) | instid1(VALU_DEP_1)
	v_mul_f32_e32 v18, 0x37800000, v1
	v_cndmask_b32_e32 v1, v1, v18, vcc_lo
	v_cmp_class_f32_e64 vcc_lo, v0, 0x260
	s_delay_alu instid0(VALU_DEP_2)
	v_cndmask_b32_e32 v0, v1, v0, vcc_lo
	ds_store_b32 v13, v0
.LBB14_118:                             ;   in Loop: Header=BB14_116 Depth=1
	s_or_b32 exec_lo, exec_lo, s17
	s_lshl_b32 s4, s9, 2
	s_mul_i32 s17, s9, 0x44
	s_wait_dscnt 0x0
	s_add_co_i32 s17, s17, s4
	s_delay_alu instid0(SALU_CYCLE_1)
	v_dual_mov_b32 v0, s17 :: v_dual_add_nc_u32 v1, s4, v10
	ds_load_b32 v18, v0 offset:2176
	ds_load_b32 v0, v1
	s_wait_dscnt 0x1
	v_readfirstlane_b32 s4, v18
	s_cmp_neq_f32 s4, 0
	s_cselect_b32 vcc_lo, -1, 0
	v_cndmask_b32_e32 v18, 1.0, v18, vcc_lo
	s_nor_b32 s17, vcc_lo, s1
	s_delay_alu instid0(SALU_CYCLE_1)
	s_and_saveexec_b32 s4, s17
	s_cbranch_execz .LBB14_122
; %bb.119:                              ;   in Loop: Header=BB14_116 Depth=1
	v_mbcnt_lo_u32_b32 v18, exec_lo, 0
	s_mov_b32 s17, exec_lo
	s_delay_alu instid0(VALU_DEP_1)
	v_cmpx_eq_u32_e32 0, v18
	s_cbranch_execz .LBB14_121
; %bb.120:                              ;   in Loop: Header=BB14_116 Depth=1
	v_mov_b32_e32 v18, s16
	global_atomic_min_i32 v16, v18, s[14:15] scope:SCOPE_DEV
.LBB14_121:                             ;   in Loop: Header=BB14_116 Depth=1
	s_wait_xcnt 0x0
	s_or_b32 exec_lo, exec_lo, s17
	v_mov_b32_e32 v18, 1.0
.LBB14_122:                             ;   in Loop: Header=BB14_116 Depth=1
	s_or_b32 exec_lo, exec_lo, s4
	s_delay_alu instid0(SALU_CYCLE_1)
	s_mov_b32 s4, exec_lo
	v_cmpx_lt_u32_e64 s9, v3
	s_cbranch_execz .LBB14_115
; %bb.123:                              ;   in Loop: Header=BB14_116 Depth=1
	v_lshl_add_u32 v19, s9, 2, v11
	ds_load_b32 v19, v19
	s_wait_dscnt 0x0
	v_sub_f32_e32 v0, v0, v19
	s_delay_alu instid0(VALU_DEP_1) | instskip(NEXT) | instid1(VALU_DEP_1)
	v_div_scale_f32 v19, null, v18, v18, v0
	v_rcp_f32_e32 v20, v19
	v_nop
	s_delay_alu instid0(TRANS32_DEP_1) | instskip(NEXT) | instid1(VALU_DEP_1)
	v_fma_f32 v21, -v19, v20, 1.0
	v_fmac_f32_e32 v20, v21, v20
	v_div_scale_f32 v22, vcc_lo, v0, v18, v0
	s_delay_alu instid0(VALU_DEP_1) | instskip(NEXT) | instid1(VALU_DEP_1)
	v_mul_f32_e32 v21, v22, v20
	v_fma_f32 v23, -v19, v21, v22
	s_delay_alu instid0(VALU_DEP_1) | instskip(NEXT) | instid1(VALU_DEP_1)
	v_fmac_f32_e32 v21, v23, v20
	v_fma_f32 v19, -v19, v21, v22
	s_delay_alu instid0(VALU_DEP_1) | instskip(NEXT) | instid1(VALU_DEP_1)
	v_div_fmas_f32 v19, v19, v20, v21
	v_div_fixup_f32 v0, v19, v18, v0
	ds_store_b32 v1, v0
	s_wait_storecnt_dscnt 0x0
	s_and_b32 exec_lo, exec_lo, s0
	s_cbranch_execz .LBB14_115
; %bb.124:                              ;   in Loop: Header=BB14_116 Depth=1
	v_dual_mov_b32 v1, v2 :: v_dual_mov_b32 v18, v4
	v_mov_b32_e32 v19, v6
	s_mov_b32 s18, -1
	s_and_saveexec_b32 s17, s2
	s_cbranch_execz .LBB14_130
; %bb.125:                              ;   in Loop: Header=BB14_116 Depth=1
	v_dual_mov_b32 v1, v0 :: v_dual_mov_b32 v18, v9
	v_dual_mov_b32 v19, v15 :: v_dual_mov_b32 v20, v8
	s_mov_b32 s18, 0
.LBB14_126:                             ;   Parent Loop BB14_116 Depth=1
                                        ; =>  This Inner Loop Header: Depth=2
	ds_load_2addr_b32 v[22:23], v20 offset1:68
	ds_load_2addr_b32 v[24:25], v20 offset0:136 offset1:204
	ds_load_2addr_b32 v[26:27], v19 offset1:4
	ds_load_2addr_b32 v[28:29], v19 offset0:8 offset1:12
	v_add_nc_u32_e32 v18, -4, v18
	v_add_nc_u32_e32 v20, 0x440, v20
	s_wait_dscnt 0x1
	v_pk_fma_f32 v[22:23], v[0:1], v[22:23], v[26:27]
	s_wait_dscnt 0x0
	v_pk_fma_f32 v[24:25], v[0:1], v[24:25], v[28:29]
	ds_store_2addr_b32 v19, v22, v23 offset1:4
	ds_store_2addr_b32 v19, v24, v25 offset0:8 offset1:12
	v_add_nc_u32_e32 v19, 64, v19
	v_cmp_eq_u32_e32 vcc_lo, 0, v18
	s_or_b32 s18, vcc_lo, s18
	s_delay_alu instid0(SALU_CYCLE_1)
	s_and_not1_b32 exec_lo, exec_lo, s18
	s_cbranch_execnz .LBB14_126
; %bb.127:                              ;   in Loop: Header=BB14_116 Depth=1
	s_or_b32 exec_lo, exec_lo, s18
	s_mov_b32 s18, 0
	s_and_saveexec_b32 s19, s3
; %bb.128:                              ;   in Loop: Header=BB14_116 Depth=1
	s_mov_b32 s18, exec_lo
; %bb.129:                              ;   in Loop: Header=BB14_116 Depth=1
	s_or_b32 exec_lo, exec_lo, s19
	v_dual_mov_b32 v1, v12 :: v_dual_mov_b32 v18, v17
	v_mov_b32_e32 v19, v14
	s_or_not1_b32 s18, s18, exec_lo
.LBB14_130:                             ;   in Loop: Header=BB14_116 Depth=1
	s_or_b32 exec_lo, exec_lo, s17
	s_delay_alu instid0(SALU_CYCLE_1)
	s_and_b32 exec_lo, exec_lo, s18
	s_cbranch_execz .LBB14_115
; %bb.131:                              ;   in Loop: Header=BB14_116 Depth=1
	v_dual_add_nc_u32 v18, v11, v18 :: v_dual_add_nc_u32 v19, s8, v19
	s_mov_b32 s17, 0
.LBB14_132:                             ;   Parent Loop BB14_116 Depth=1
                                        ; =>  This Inner Loop Header: Depth=2
	ds_load_b32 v20, v19
	ds_load_b32 v21, v18
	v_add_nc_u32_e32 v1, 4, v1
	v_add_nc_u32_e32 v19, 0x110, v19
	s_wait_dscnt 0x0
	v_fmac_f32_e32 v21, v0, v20
	s_delay_alu instid0(VALU_DEP_3) | instskip(SKIP_3) | instid1(SALU_CYCLE_1)
	v_cmp_le_i32_e32 vcc_lo, s5, v1
	ds_store_b32 v18, v21
	v_add_nc_u32_e32 v18, 16, v18
	s_or_b32 s17, vcc_lo, s17
	s_and_not1_b32 exec_lo, exec_lo, s17
	s_cbranch_execnz .LBB14_132
	s_branch .LBB14_115
.LBB14_133:
	s_and_saveexec_b32 s1, s0
	s_cbranch_execz .LBB14_142
; %bb.134:
	s_mul_i32 s30, s30, s5
	v_add3_u32 v1, v5, v4, 0x880
	v_dual_add_nc_u32 v0, s30, v3 :: v_dual_mov_b32 v4, v2
	v_cmp_gt_i32_e64 s0, s5, v3
	s_cmp_lg_u32 s31, 0
	s_mov_b32 s2, 0
	v_mul_lo_u32 v0, v0, s5
	s_cselect_b32 s3, -1, 0
	s_branch .LBB14_138
.LBB14_135:                             ;   in Loop: Header=BB14_138 Depth=1
	v_add_nc_u32_e32 v6, v0, v4
.LBB14_136:                             ;   in Loop: Header=BB14_138 Depth=1
	s_wait_dscnt 0x0
	global_store_b32 v6, v5, s[20:21] scale_offset
.LBB14_137:                             ;   in Loop: Header=BB14_138 Depth=1
	s_wait_xcnt 0x0
	s_or_b32 exec_lo, exec_lo, s4
	v_dual_add_nc_u32 v4, 4, v4 :: v_dual_add_nc_u32 v1, 16, v1
	s_delay_alu instid0(VALU_DEP_1) | instskip(SKIP_1) | instid1(SALU_CYCLE_1)
	v_cmp_le_i32_e32 vcc_lo, s5, v4
	s_or_b32 s2, vcc_lo, s2
	s_and_not1_b32 exec_lo, exec_lo, s2
	s_cbranch_execz .LBB14_142
.LBB14_138:                             ; =>This Inner Loop Header: Depth=1
	s_and_saveexec_b32 s4, s0
	s_cbranch_execz .LBB14_137
; %bb.139:                              ;   in Loop: Header=BB14_138 Depth=1
	ds_load_b32 v5, v1
	s_and_b32 vcc_lo, exec_lo, s3
	s_cbranch_vccz .LBB14_141
; %bb.140:                              ;   in Loop: Header=BB14_138 Depth=1
	v_add_nc_u32_e32 v6, s30, v4
	s_delay_alu instid0(VALU_DEP_1)
	v_mad_u32 v6, v6, s5, v3
	s_cbranch_execnz .LBB14_136
	s_branch .LBB14_135
.LBB14_141:                             ;   in Loop: Header=BB14_138 Depth=1
                                        ; implicit-def: $vgpr6
	s_branch .LBB14_135
.LBB14_142:
	s_or_b32 exec_lo, exec_lo, s1
	v_or_b32_e32 v0, v2, v3
	s_mov_b32 s0, 0
	s_mov_b32 s1, exec_lo
	s_delay_alu instid0(VALU_DEP_1)
	v_cmpx_eq_u32_e32 0, v0
	s_cbranch_execz .LBB14_144
; %bb.143:
	v_dual_mov_b32 v0, 0 :: v_dual_mov_b32 v1, 1
	s_add_nc_u64 s[2:3], s[10:11], s[6:7]
	global_wb scope:SCOPE_DEV
	s_wait_storecnt 0x0
	global_store_b32 v0, v1, s[2:3] scope:SCOPE_DEV
.LBB14_144:
	s_wait_xcnt 0x0
	s_or_b32 exec_lo, exec_lo, s1
	s_delay_alu instid0(SALU_CYCLE_1)
	s_and_b32 vcc_lo, exec_lo, s0
	s_cbranch_vccnz .LBB14_147
.LBB14_145:
	s_endpgm
.LBB14_146:
	s_cbranch_execz .LBB14_145
.LBB14_147:
	v_or_b32_e32 v0, v2, v3
	s_mov_b32 s0, exec_lo
	s_delay_alu instid0(VALU_DEP_1)
	v_cmpx_eq_u32_e32 0, v0
	s_cbranch_execz .LBB14_145
; %bb.148:
	v_mbcnt_lo_u32_b32 v0, exec_lo, 0
	s_mov_b32 s0, exec_lo
	s_delay_alu instid0(VALU_DEP_1)
	v_cmpx_eq_u32_e32 0, v0
	s_cbranch_execz .LBB14_150
; %bb.149:
	s_add_co_i32 s1, s12, s13
	s_delay_alu instid0(SALU_CYCLE_1)
	v_dual_mov_b32 v0, 0 :: v_dual_mov_b32 v1, s1
	global_atomic_min_i32 v0, v1, s[14:15] scope:SCOPE_DEV
.LBB14_150:
	s_wait_xcnt 0x0
	s_or_b32 exec_lo, exec_lo, s0
	v_dual_mov_b32 v0, 0 :: v_dual_mov_b32 v1, 1
	s_add_nc_u64 s[0:1], s[10:11], s[6:7]
	global_wb scope:SCOPE_DEV
	s_wait_storecnt 0x0
	global_store_b32 v0, v1, s[0:1] scope:SCOPE_DEV
	s_endpgm
	.section	.rodata,"a",@progbits
	.p2align	6, 0x0
	.amdhsa_kernel _ZN9rocsparseL18bsric0_9_16_kernelILi64ELi64ELi16EfEEv20rocsparse_direction_iiPKiS3_PT2_S3_PiS3_S6_21rocsparse_index_base_
		.amdhsa_group_segment_fixed_size 5120
		.amdhsa_private_segment_fixed_size 0
		.amdhsa_kernarg_size 76
		.amdhsa_user_sgpr_count 2
		.amdhsa_user_sgpr_dispatch_ptr 0
		.amdhsa_user_sgpr_queue_ptr 0
		.amdhsa_user_sgpr_kernarg_segment_ptr 1
		.amdhsa_user_sgpr_dispatch_id 0
		.amdhsa_user_sgpr_kernarg_preload_length 0
		.amdhsa_user_sgpr_kernarg_preload_offset 0
		.amdhsa_user_sgpr_private_segment_size 0
		.amdhsa_wavefront_size32 1
		.amdhsa_uses_dynamic_stack 0
		.amdhsa_enable_private_segment 0
		.amdhsa_system_sgpr_workgroup_id_x 1
		.amdhsa_system_sgpr_workgroup_id_y 0
		.amdhsa_system_sgpr_workgroup_id_z 0
		.amdhsa_system_sgpr_workgroup_info 0
		.amdhsa_system_vgpr_workitem_id 1
		.amdhsa_next_free_vgpr 40
		.amdhsa_next_free_sgpr 46
		.amdhsa_named_barrier_count 0
		.amdhsa_reserve_vcc 1
		.amdhsa_float_round_mode_32 0
		.amdhsa_float_round_mode_16_64 0
		.amdhsa_float_denorm_mode_32 3
		.amdhsa_float_denorm_mode_16_64 3
		.amdhsa_fp16_overflow 0
		.amdhsa_memory_ordered 1
		.amdhsa_forward_progress 1
		.amdhsa_inst_pref_size 37
		.amdhsa_round_robin_scheduling 0
		.amdhsa_exception_fp_ieee_invalid_op 0
		.amdhsa_exception_fp_denorm_src 0
		.amdhsa_exception_fp_ieee_div_zero 0
		.amdhsa_exception_fp_ieee_overflow 0
		.amdhsa_exception_fp_ieee_underflow 0
		.amdhsa_exception_fp_ieee_inexact 0
		.amdhsa_exception_int_div_zero 0
	.end_amdhsa_kernel
	.section	.text._ZN9rocsparseL18bsric0_9_16_kernelILi64ELi64ELi16EfEEv20rocsparse_direction_iiPKiS3_PT2_S3_PiS3_S6_21rocsparse_index_base_,"axG",@progbits,_ZN9rocsparseL18bsric0_9_16_kernelILi64ELi64ELi16EfEEv20rocsparse_direction_iiPKiS3_PT2_S3_PiS3_S6_21rocsparse_index_base_,comdat
.Lfunc_end14:
	.size	_ZN9rocsparseL18bsric0_9_16_kernelILi64ELi64ELi16EfEEv20rocsparse_direction_iiPKiS3_PT2_S3_PiS3_S6_21rocsparse_index_base_, .Lfunc_end14-_ZN9rocsparseL18bsric0_9_16_kernelILi64ELi64ELi16EfEEv20rocsparse_direction_iiPKiS3_PT2_S3_PiS3_S6_21rocsparse_index_base_
                                        ; -- End function
	.set _ZN9rocsparseL18bsric0_9_16_kernelILi64ELi64ELi16EfEEv20rocsparse_direction_iiPKiS3_PT2_S3_PiS3_S6_21rocsparse_index_base_.num_vgpr, 40
	.set _ZN9rocsparseL18bsric0_9_16_kernelILi64ELi64ELi16EfEEv20rocsparse_direction_iiPKiS3_PT2_S3_PiS3_S6_21rocsparse_index_base_.num_agpr, 0
	.set _ZN9rocsparseL18bsric0_9_16_kernelILi64ELi64ELi16EfEEv20rocsparse_direction_iiPKiS3_PT2_S3_PiS3_S6_21rocsparse_index_base_.numbered_sgpr, 46
	.set _ZN9rocsparseL18bsric0_9_16_kernelILi64ELi64ELi16EfEEv20rocsparse_direction_iiPKiS3_PT2_S3_PiS3_S6_21rocsparse_index_base_.num_named_barrier, 0
	.set _ZN9rocsparseL18bsric0_9_16_kernelILi64ELi64ELi16EfEEv20rocsparse_direction_iiPKiS3_PT2_S3_PiS3_S6_21rocsparse_index_base_.private_seg_size, 0
	.set _ZN9rocsparseL18bsric0_9_16_kernelILi64ELi64ELi16EfEEv20rocsparse_direction_iiPKiS3_PT2_S3_PiS3_S6_21rocsparse_index_base_.uses_vcc, 1
	.set _ZN9rocsparseL18bsric0_9_16_kernelILi64ELi64ELi16EfEEv20rocsparse_direction_iiPKiS3_PT2_S3_PiS3_S6_21rocsparse_index_base_.uses_flat_scratch, 0
	.set _ZN9rocsparseL18bsric0_9_16_kernelILi64ELi64ELi16EfEEv20rocsparse_direction_iiPKiS3_PT2_S3_PiS3_S6_21rocsparse_index_base_.has_dyn_sized_stack, 0
	.set _ZN9rocsparseL18bsric0_9_16_kernelILi64ELi64ELi16EfEEv20rocsparse_direction_iiPKiS3_PT2_S3_PiS3_S6_21rocsparse_index_base_.has_recursion, 0
	.set _ZN9rocsparseL18bsric0_9_16_kernelILi64ELi64ELi16EfEEv20rocsparse_direction_iiPKiS3_PT2_S3_PiS3_S6_21rocsparse_index_base_.has_indirect_call, 0
	.section	.AMDGPU.csdata,"",@progbits
; Kernel info:
; codeLenInByte = 4700
; TotalNumSgprs: 48
; NumVgprs: 40
; ScratchSize: 0
; MemoryBound: 0
; FloatMode: 240
; IeeeMode: 1
; LDSByteSize: 5120 bytes/workgroup (compile time only)
; SGPRBlocks: 0
; VGPRBlocks: 2
; NumSGPRsForWavesPerEU: 48
; NumVGPRsForWavesPerEU: 40
; NamedBarCnt: 0
; Occupancy: 16
; WaveLimiterHint : 1
; COMPUTE_PGM_RSRC2:SCRATCH_EN: 0
; COMPUTE_PGM_RSRC2:USER_SGPR: 2
; COMPUTE_PGM_RSRC2:TRAP_HANDLER: 0
; COMPUTE_PGM_RSRC2:TGID_X_EN: 1
; COMPUTE_PGM_RSRC2:TGID_Y_EN: 0
; COMPUTE_PGM_RSRC2:TGID_Z_EN: 0
; COMPUTE_PGM_RSRC2:TIDIG_COMP_CNT: 1
	.section	.text._ZN9rocsparseL19bsric0_17_32_kernelILi64ELi64ELi32EfEEv20rocsparse_direction_iiPKiS3_PT2_S3_PiS3_S6_21rocsparse_index_base_,"axG",@progbits,_ZN9rocsparseL19bsric0_17_32_kernelILi64ELi64ELi32EfEEv20rocsparse_direction_iiPKiS3_PT2_S3_PiS3_S6_21rocsparse_index_base_,comdat
	.globl	_ZN9rocsparseL19bsric0_17_32_kernelILi64ELi64ELi32EfEEv20rocsparse_direction_iiPKiS3_PT2_S3_PiS3_S6_21rocsparse_index_base_ ; -- Begin function _ZN9rocsparseL19bsric0_17_32_kernelILi64ELi64ELi32EfEEv20rocsparse_direction_iiPKiS3_PT2_S3_PiS3_S6_21rocsparse_index_base_
	.p2align	8
	.type	_ZN9rocsparseL19bsric0_17_32_kernelILi64ELi64ELi32EfEEv20rocsparse_direction_iiPKiS3_PT2_S3_PiS3_S6_21rocsparse_index_base_,@function
_ZN9rocsparseL19bsric0_17_32_kernelILi64ELi64ELi32EfEEv20rocsparse_direction_iiPKiS3_PT2_S3_PiS3_S6_21rocsparse_index_base_: ; @_ZN9rocsparseL19bsric0_17_32_kernelILi64ELi64ELi32EfEEv20rocsparse_direction_iiPKiS3_PT2_S3_PiS3_S6_21rocsparse_index_base_
; %bb.0:
	s_load_b256 s[8:15], s[0:1], 0x28
	s_bfe_u32 s2, ttmp6, 0x4000c
	s_and_b32 s3, ttmp6, 15
	s_add_co_i32 s2, s2, 1
	s_getreg_b32 s4, hwreg(HW_REG_IB_STS2, 6, 4)
	s_mul_i32 s2, ttmp9, s2
	v_and_b32_e32 v2, 0x3ff, v0
	s_add_co_i32 s3, s3, s2
	s_cmp_eq_u32 s4, 0
	v_bfe_u32 v3, v0, 10, 10
	s_cselect_b32 s2, ttmp9, s3
	s_wait_kmcnt 0x0
	s_load_b32 s12, s[12:13], s2 offset:0x0 scale_offset
	s_wait_kmcnt 0x0
	s_ashr_i32 s13, s12, 31
	s_delay_alu instid0(SALU_CYCLE_1) | instskip(NEXT) | instid1(SALU_CYCLE_1)
	s_lshl_b64 s[6:7], s[12:13], 2
	s_add_nc_u64 s[2:3], s[8:9], s[6:7]
	s_load_b32 s13, s[2:3], 0x0
	s_load_b32 s5, s[0:1], 0x48
	s_wait_kmcnt 0x0
	s_cmp_lg_u32 s13, -1
	s_cbranch_scc0 .LBB15_132
; %bb.1:
	s_clause 0x1
	s_load_b128 s[16:19], s[0:1], 0x10
	s_load_b64 s[20:21], s[0:1], 0x20
	v_dual_lshlrev_b32 v0, 1, v3 :: v_dual_lshlrev_b32 v4, 2, v2
	s_wait_kmcnt 0x0
	s_add_nc_u64 s[2:3], s[16:17], s[6:7]
	s_load_b32 s2, s[2:3], 0x0
	s_wait_kmcnt 0x0
	s_sub_co_i32 s33, s2, s5
	s_mov_b32 s2, exec_lo
	v_add3_u32 v0, v0, v2, s33
	s_delay_alu instid0(VALU_DEP_1)
	v_cmpx_ge_i32_e64 s13, v0
	s_cbranch_execz .LBB15_4
; %bb.2:
	v_dual_lshlrev_b32 v1, 3, v3 :: v_dual_lshlrev_b32 v5, 2, v2
	s_mov_b32 s3, 0
	s_delay_alu instid0(VALU_DEP_1)
	v_add3_u32 v1, v1, v5, 0x3380
.LBB15_3:                               ; =>This Inner Loop Header: Depth=1
	global_load_b32 v5, v0, s[18:19] scale_offset
	s_wait_xcnt 0x0
	v_add_nc_u32_e32 v0, 64, v0
	s_delay_alu instid0(VALU_DEP_1)
	v_cmp_lt_i32_e32 vcc_lo, s13, v0
	s_or_b32 s3, vcc_lo, s3
	s_wait_loadcnt 0x0
	v_subrev_nc_u32_e32 v5, s5, v5
	ds_store_b32 v1, v5
	v_add_nc_u32_e32 v1, 0x100, v1
	s_and_not1_b32 exec_lo, exec_lo, s3
	s_cbranch_execnz .LBB15_3
.LBB15_4:
	s_or_b32 exec_lo, exec_lo, s2
	v_mul_u32_u24_e32 v5, 0x84, v3
	s_mov_b32 s2, exec_lo
	v_cmpx_gt_u32_e32 32, v2
	s_cbranch_execz .LBB15_7
; %bb.5:
	v_dual_lshlrev_b32 v1, 2, v2 :: v_dual_add_nc_u32 v0, -2, v2
	v_mov_b32_e32 v6, 0
	s_mov_b32 s3, 0
	s_delay_alu instid0(VALU_DEP_2)
	v_add3_u32 v1, v5, v1, 0x2100
.LBB15_6:                               ; =>This Inner Loop Header: Depth=1
	s_delay_alu instid0(VALU_DEP_3) | instskip(SKIP_4) | instid1(SALU_CYCLE_1)
	v_add_nc_u32_e32 v0, 2, v0
	ds_store_b32 v1, v6
	v_add_nc_u32_e32 v1, 8, v1
	v_cmp_lt_u32_e32 vcc_lo, 29, v0
	s_or_b32 s3, vcc_lo, s3
	s_and_not1_b32 exec_lo, exec_lo, s3
	s_cbranch_execnz .LBB15_6
.LBB15_7:
	s_or_b32 exec_lo, exec_lo, s2
	s_clause 0x1
	s_load_b32 s30, s[0:1], 0x8
	s_load_b32 s31, s[0:1], 0x0
	v_mul_u32_u24_e32 v6, 0x84, v2
	s_cmp_ge_i32 s33, s13
	s_wait_dscnt 0x0
	s_wait_kmcnt 0x0
	v_cmp_gt_i32_e64 s0, s30, v2
	v_xad_u32 v7, v2, -1, s30
	s_cbranch_scc1 .LBB15_86
; %bb.8:
	s_delay_alu instid0(VALU_DEP_1) | instskip(SKIP_3) | instid1(VALU_DEP_4)
	v_dual_lshrrev_b32 v0, 1, v7 :: v_dual_lshlrev_b32 v11, 2, v2
	v_mad_u32 v1, s30, s33, v3
	v_mul_lo_u32 v9, s30, v3
	v_mul_lo_u32 v14, v2, s30
	v_dual_add_nc_u32 v0, 1, v0 :: v_dual_bitop2_b32 v12, v2, v3 bitop3:0x54
	v_mad_u32_u24 v13, 0x84, v3, v11
	s_movk_i32 s22, 0x1080
	s_cmp_eq_u32 s31, 0
	s_delay_alu instid0(VALU_DEP_2) | instskip(SKIP_3) | instid1(VALU_DEP_4)
	v_dual_mov_b32 v22, 0 :: v_dual_bitop2_b32 v10, -4, v0 bitop3:0x40
	v_cmp_ne_u32_e64 s2, 0, v12
	v_mul_lo_u32 v17, s30, v1
	v_mad_u32_u24 v8, 0x84, v3, s22
	v_lshl_add_u32 v12, v10, 1, v2
	v_mad_u32_u24 v16, 0x84, v2, s22
	s_movk_i32 s22, 0x2100
	s_cselect_b32 s34, -1, 0
	s_cmp_lg_u32 s31, 0
	v_mul_lo_u32 v20, 0x84, v12
	v_cmp_gt_i32_e64 s1, s30, v3
	v_cmp_lt_u32_e64 s3, 5, v7
	v_cmp_ne_u32_e64 s4, v0, v10
	v_mul_u32_u24_e32 v15, 0x84, v2
	v_add_nc_u32_e32 v18, 0x2100, v13
	v_mad_u32_u24 v19, 0x84, v3, s22
	v_add_nc_u32_e32 v21, 0x1080, v13
	v_lshlrev_b32_e32 v23, 2, v12
	s_cselect_b32 s35, -1, 0
	s_cmp_gt_i32 s30, 0
	s_mul_i32 s37, s30, s30
	s_cselect_b32 s36, -1, 0
	s_lshl_b32 s38, s30, 1
	s_mov_b32 s22, s33
	s_branch .LBB15_10
.LBB15_9:                               ;   in Loop: Header=BB15_10 Depth=1
	s_or_b32 exec_lo, exec_lo, s24
	s_add_co_i32 s22, s22, 1
	v_add_nc_u32_e32 v17, s37, v17
	s_cmp_ge_i32 s22, s13
	global_wb scope:SCOPE_DEV
	s_wait_storecnt 0x0
	global_inv scope:SCOPE_DEV
	s_cselect_b32 s23, -1, 0
	s_delay_alu instid0(SALU_CYCLE_1)
	s_and_b32 vcc_lo, exec_lo, s23
	s_cbranch_vccnz .LBB15_86
.LBB15_10:                              ; =>This Loop Header: Depth=1
                                        ;     Child Loop BB15_14 Depth 2
                                        ;     Child Loop BB15_26 Depth 2
	;; [unrolled: 1-line block ×4, first 2 shown]
                                        ;       Child Loop BB15_43 Depth 3
                                        ;         Child Loop BB15_48 Depth 4
                                        ;     Child Loop BB15_57 Depth 2
                                        ;       Child Loop BB15_64 Depth 3
                                        ;       Child Loop BB15_69 Depth 3
	;; [unrolled: 1-line block ×3, first 2 shown]
                                        ;     Child Loop BB15_80 Depth 2
	s_ashr_i32 s23, s22, 31
	s_delay_alu instid0(SALU_CYCLE_1) | instskip(NEXT) | instid1(SALU_CYCLE_1)
	s_lshl_b64 s[24:25], s[22:23], 2
	s_add_nc_u64 s[24:25], s[18:19], s[24:25]
	s_load_b32 s39, s[24:25], 0x0
	s_wait_kmcnt 0x0
	s_sub_co_i32 s26, s39, s5
	s_delay_alu instid0(SALU_CYCLE_1) | instskip(SKIP_2) | instid1(SALU_CYCLE_1)
	s_ashr_i32 s27, s26, 31
	s_wait_xcnt 0x0
	s_lshl_b64 s[24:25], s[26:27], 2
	s_add_nc_u64 s[28:29], s[8:9], s[24:25]
	s_load_b32 s27, s[28:29], 0x0
	s_wait_kmcnt 0x0
	s_cmp_eq_u32 s27, -1
	s_cbranch_scc1 .LBB15_85
; %bb.11:                               ;   in Loop: Header=BB15_10 Depth=1
	s_wait_xcnt 0x0
	s_add_nc_u64 s[28:29], s[16:17], s[24:25]
	s_mul_i32 s23, s22, s30
	s_load_b32 s28, s[28:29], 0x0
	s_wait_xcnt 0x0
	s_and_saveexec_b32 s29, s0
	s_cbranch_execz .LBB15_24
; %bb.12:                               ;   in Loop: Header=BB15_10 Depth=1
	v_dual_mov_b32 v0, v13 :: v_dual_mov_b32 v1, v2
	s_mov_b32 s40, 0
	s_branch .LBB15_14
.LBB15_13:                              ;   in Loop: Header=BB15_14 Depth=2
	s_wait_xcnt 0x0
	s_or_b32 exec_lo, exec_lo, s42
	v_add_nc_u32_e32 v1, 2, v1
	s_wait_loadcnt 0x0
	ds_store_b32 v0, v25 offset:4224
	ds_store_b32 v0, v22
	v_add_nc_u32_e32 v0, 8, v0
	v_cmp_le_i32_e32 vcc_lo, s30, v1
	s_or_b32 s40, vcc_lo, s40
	s_delay_alu instid0(SALU_CYCLE_1)
	s_and_not1_b32 exec_lo, exec_lo, s40
	s_cbranch_execz .LBB15_24
.LBB15_14:                              ;   Parent Loop BB15_10 Depth=1
                                        ; =>  This Inner Loop Header: Depth=2
	s_mov_b32 s42, -1
	s_and_b32 vcc_lo, exec_lo, s35
	s_mov_b32 s41, 0
                                        ; implicit-def: $vgpr24
	s_cbranch_vccz .LBB15_19
; %bb.15:                               ;   in Loop: Header=BB15_14 Depth=2
	s_mov_b32 s42, 0
                                        ; implicit-def: $vgpr24
	s_and_saveexec_b32 s43, s1
	s_delay_alu instid0(SALU_CYCLE_1)
	s_xor_b32 s43, exec_lo, s43
; %bb.16:                               ;   in Loop: Header=BB15_14 Depth=2
	v_add_nc_u32_e32 v24, s23, v1
	s_mov_b32 s41, exec_lo
	s_delay_alu instid0(VALU_DEP_1)
	v_mad_u32 v24, v24, s30, v3
; %bb.17:                               ;   in Loop: Header=BB15_14 Depth=2
	s_or_b32 exec_lo, exec_lo, s43
	s_delay_alu instid0(SALU_CYCLE_1)
	s_and_b32 vcc_lo, exec_lo, s42
	s_cbranch_vccnz .LBB15_20
.LBB15_18:                              ;   in Loop: Header=BB15_14 Depth=2
	v_mov_b32_e32 v25, 0
	s_and_saveexec_b32 s42, s41
	s_cbranch_execz .LBB15_13
	s_branch .LBB15_23
.LBB15_19:                              ;   in Loop: Header=BB15_14 Depth=2
	s_and_b32 vcc_lo, exec_lo, s42
	s_cbranch_vccz .LBB15_18
.LBB15_20:                              ;   in Loop: Header=BB15_14 Depth=2
                                        ; implicit-def: $vgpr24
	s_and_saveexec_b32 s42, s1
; %bb.21:                               ;   in Loop: Header=BB15_14 Depth=2
	v_add_nc_u32_e32 v24, v17, v1
	s_or_b32 s41, s41, exec_lo
; %bb.22:                               ;   in Loop: Header=BB15_14 Depth=2
	s_or_b32 exec_lo, exec_lo, s42
	v_mov_b32_e32 v25, 0
	s_and_saveexec_b32 s42, s41
	s_cbranch_execz .LBB15_13
.LBB15_23:                              ;   in Loop: Header=BB15_14 Depth=2
	global_load_b32 v25, v24, s[20:21] scale_offset
	s_branch .LBB15_13
.LBB15_24:                              ;   in Loop: Header=BB15_10 Depth=1
	s_or_b32 exec_lo, exec_lo, s29
	ds_load_b32 v0, v22 offset:13184
	s_wait_kmcnt 0x0
	s_sub_co_i32 s28, s28, s5
	s_delay_alu instid0(SALU_CYCLE_1) | instskip(SKIP_4) | instid1(SALU_CYCLE_1)
	s_cmp_le_i32 s28, s27
	s_cselect_b32 s29, -1, 0
	s_wait_dscnt 0x0
	v_cmp_ge_i32_e32 vcc_lo, s26, v0
	s_and_b32 s29, s29, vcc_lo
	s_and_not1_b32 vcc_lo, exec_lo, s29
	s_mov_b32 s29, 0
	s_cbranch_vccnz .LBB15_36
; %bb.25:                               ;   in Loop: Header=BB15_10 Depth=1
	s_mov_b32 s40, 0
	s_mov_b32 s41, 0
.LBB15_26:                              ;   Parent Loop BB15_10 Depth=1
                                        ; =>  This Inner Loop Header: Depth=2
	s_ashr_i32 s29, s28, 31
	s_lshl_b32 s44, s41, 2
	s_lshl_b64 s[42:43], s[28:29], 2
	v_mov_b32_e32 v0, s44
	s_add_nc_u64 s[42:43], s[18:19], s[42:43]
	s_mov_b32 s45, -1
	s_load_b32 s29, s[42:43], 0x0
                                        ; implicit-def: $sgpr44
                                        ; implicit-def: $sgpr43
	ds_load_b32 v0, v0 offset:13184
	s_wait_kmcnt 0x0
	s_sub_co_i32 s46, s29, s5
                                        ; implicit-def: $sgpr29
	s_wait_dscnt 0x0
	s_wait_xcnt 0x0
	v_readfirstlane_b32 s42, v0
	v_cmp_ge_i32_e32 vcc_lo, s46, v0
	s_cbranch_vccz .LBB15_32
; %bb.27:                               ;   in Loop: Header=BB15_26 Depth=2
	s_cmp_le_i32 s46, s42
                                        ; implicit-def: $sgpr29
                                        ; implicit-def: $sgpr44
                                        ; implicit-def: $sgpr43
	s_cbranch_scc0 .LBB15_29
; %bb.28:                               ;   in Loop: Header=BB15_26 Depth=2
	s_add_co_i32 s29, s41, s33
	s_lshl_b32 s43, s40, 2
	s_mul_i32 s29, s29, s37
	s_mul_i32 s44, s28, s37
	s_delay_alu instid0(SALU_CYCLE_1)
	v_dual_mov_b32 v0, s29 :: v_dual_mov_b32 v1, s44
	v_add_nc_u32_e64 v24, 0x80, s43
	s_add_co_i32 s43, s41, 1
	s_add_co_i32 s44, s28, 1
	;; [unrolled: 1-line block ×3, first 2 shown]
	s_mov_b32 s45, 0
	ds_store_2addr_stride64_b32 v24, v1, v0 offset0:49 offset1:50
.LBB15_29:                              ;   in Loop: Header=BB15_26 Depth=2
	s_and_not1_b32 vcc_lo, exec_lo, s45
	s_cbranch_vccnz .LBB15_31
; %bb.30:                               ;   in Loop: Header=BB15_26 Depth=2
	s_add_co_i32 s43, s41, 1
	s_mov_b32 s29, s40
	s_mov_b32 s44, s28
.LBB15_31:                              ;   in Loop: Header=BB15_26 Depth=2
	s_mov_b32 s45, 0
.LBB15_32:                              ;   in Loop: Header=BB15_26 Depth=2
	s_delay_alu instid0(SALU_CYCLE_1)
	s_and_not1_b32 vcc_lo, exec_lo, s45
	s_cbranch_vccnz .LBB15_34
; %bb.33:                               ;   in Loop: Header=BB15_26 Depth=2
	s_add_co_i32 s44, s28, 1
	s_mov_b32 s43, s41
	s_mov_b32 s29, s40
.LBB15_34:                              ;   in Loop: Header=BB15_26 Depth=2
	s_cmp_le_i32 s44, s27
	s_cselect_b32 s28, -1, 0
	s_cmp_le_i32 s42, s26
	s_cselect_b32 s40, -1, 0
	s_delay_alu instid0(SALU_CYCLE_1) | instskip(NEXT) | instid1(SALU_CYCLE_1)
	s_and_b32 s28, s28, s40
	s_and_b32 vcc_lo, exec_lo, s28
	s_cbranch_vccz .LBB15_36
; %bb.35:                               ;   in Loop: Header=BB15_26 Depth=2
	s_mov_b32 s40, s29
	s_mov_b32 s28, s44
	s_mov_b32 s41, s43
	s_branch .LBB15_26
.LBB15_36:                              ;   in Loop: Header=BB15_10 Depth=1
	s_add_nc_u64 s[24:25], s[10:11], s[24:25]
	s_wait_dscnt 0x0
.LBB15_37:                              ;   Parent Loop BB15_10 Depth=1
                                        ; =>  This Inner Loop Header: Depth=2
	global_load_b32 v0, v22, s[24:25] scope:SCOPE_DEV
	s_wait_loadcnt 0x0
	v_cmp_eq_u32_e32 vcc_lo, 0, v0
	s_cbranch_vccnz .LBB15_37
; %bb.38:                               ;   in Loop: Header=BB15_10 Depth=1
	s_cmp_lt_i32 s29, 2
	global_inv scope:SCOPE_DEV
	s_cbranch_scc1 .LBB15_54
; %bb.39:                               ;   in Loop: Header=BB15_10 Depth=1
	s_wait_xcnt 0x0
	s_add_co_i32 s24, s29, -2
	s_mov_b32 s25, 0
	s_branch .LBB15_41
.LBB15_40:                              ;   in Loop: Header=BB15_41 Depth=2
	s_or_b32 exec_lo, exec_lo, s26
	s_add_co_i32 s26, s25, 1
	s_cmp_eq_u32 s25, s24
	s_mov_b32 s25, s26
	s_cbranch_scc1 .LBB15_54
.LBB15_41:                              ;   Parent Loop BB15_10 Depth=1
                                        ; =>  This Loop Header: Depth=2
                                        ;       Child Loop BB15_43 Depth 3
                                        ;         Child Loop BB15_48 Depth 4
	s_and_saveexec_b32 s26, s0
	s_cbranch_execz .LBB15_40
; %bb.42:                               ;   in Loop: Header=BB15_41 Depth=2
	s_lshl_b32 s28, s25, 2
	s_delay_alu instid0(SALU_CYCLE_1)
	v_add_nc_u32_e64 v0, 0x80, s28
	s_mov_b32 s28, 0
	ds_load_2addr_stride64_b32 v[26:27], v0 offset0:49 offset1:50
	s_wait_dscnt 0x0
	v_dual_add_nc_u32 v0, v27, v9 :: v_dual_add_nc_u32 v24, v2, v26
	v_dual_add_nc_u32 v1, v3, v27 :: v_dual_add_nc_u32 v25, v14, v26
	v_mov_b32_e32 v26, v2
.LBB15_43:                              ;   Parent Loop BB15_10 Depth=1
                                        ;     Parent Loop BB15_41 Depth=2
                                        ; =>    This Loop Header: Depth=3
                                        ;         Child Loop BB15_48 Depth 4
	s_delay_alu instid0(VALU_DEP_3) | instskip(NEXT) | instid1(VALU_DEP_3)
	v_dual_mov_b32 v29, 0 :: v_dual_mov_b32 v27, v24
	v_mov_b32_e32 v28, v1
	s_mov_b32 s29, 0
	s_and_b32 vcc_lo, exec_lo, s35
	s_mov_b32 s40, -1
                                        ; implicit-def: $vgpr30
	s_cbranch_vccz .LBB15_48
	s_branch .LBB15_45
.LBB15_44:                              ;   in Loop: Header=BB15_48 Depth=4
	v_mov_b32_e32 v29, v30
	s_and_b32 vcc_lo, exec_lo, s35
	s_mov_b32 s40, -1
                                        ; implicit-def: $vgpr30
	s_cbranch_vccz .LBB15_48
.LBB15_45:                              ;   in Loop: Header=BB15_43 Depth=3
	global_load_b32 v30, v27, s[20:21] scale_offset
	v_mov_b32_e32 v31, 0
	s_wait_xcnt 0x0
	s_and_saveexec_b32 s40, s1
	s_cbranch_execz .LBB15_47
; %bb.46:                               ;   in Loop: Header=BB15_43 Depth=3
	global_load_b32 v31, v28, s[20:21] scale_offset
.LBB15_47:                              ;   in Loop: Header=BB15_43 Depth=3
	s_wait_xcnt 0x0
	s_or_b32 exec_lo, exec_lo, s40
	s_wait_loadcnt 0x0
	v_fma_f32 v30, v30, v31, v29
	s_mov_b32 s40, 0
.LBB15_48:                              ;   Parent Loop BB15_10 Depth=1
                                        ;     Parent Loop BB15_41 Depth=2
                                        ;       Parent Loop BB15_43 Depth=3
                                        ; =>      This Inner Loop Header: Depth=4
	s_delay_alu instid0(SALU_CYCLE_1)
	s_and_b32 vcc_lo, exec_lo, s40
	s_cbranch_vccz .LBB15_52
; %bb.49:                               ;   in Loop: Header=BB15_48 Depth=4
	v_dual_mov_b32 v31, 0 :: v_dual_add_nc_u32 v30, s29, v25
	global_load_b32 v30, v30, s[20:21] scale_offset
	s_wait_xcnt 0x0
	s_and_saveexec_b32 s40, s1
	s_cbranch_execz .LBB15_51
; %bb.50:                               ;   in Loop: Header=BB15_48 Depth=4
	v_add_nc_u32_e32 v31, s29, v0
	global_load_b32 v31, v31, s[20:21] scale_offset
.LBB15_51:                              ;   in Loop: Header=BB15_48 Depth=4
	s_wait_xcnt 0x0
	s_or_b32 exec_lo, exec_lo, s40
	s_wait_loadcnt 0x0
	v_fmac_f32_e32 v29, v30, v31
	s_delay_alu instid0(VALU_DEP_1)
	v_mov_b32_e32 v30, v29
.LBB15_52:                              ;   in Loop: Header=BB15_48 Depth=4
	v_dual_add_nc_u32 v28, s30, v28 :: v_dual_add_nc_u32 v27, s30, v27
	s_add_co_i32 s29, s29, 1
	s_delay_alu instid0(SALU_CYCLE_1)
	s_cmp_eq_u32 s30, s29
	s_cbranch_scc0 .LBB15_44
; %bb.53:                               ;   in Loop: Header=BB15_43 Depth=3
	v_lshl_add_u32 v27, v26, 2, v5
	v_dual_add_nc_u32 v24, 2, v24 :: v_dual_add_nc_u32 v25, s38, v25
	ds_load_b32 v28, v27
	s_wait_dscnt 0x0
	v_dual_add_nc_u32 v26, 2, v26 :: v_dual_add_f32 v28, v30, v28
	s_delay_alu instid0(VALU_DEP_1) | instskip(SKIP_2) | instid1(SALU_CYCLE_1)
	v_cmp_le_i32_e32 vcc_lo, s30, v26
	ds_store_b32 v27, v28
	s_or_b32 s28, vcc_lo, s28
	s_and_not1_b32 exec_lo, exec_lo, s28
	s_cbranch_execnz .LBB15_43
	s_branch .LBB15_40
.LBB15_54:                              ;   in Loop: Header=BB15_10 Depth=1
	s_and_not1_b32 vcc_lo, exec_lo, s36
	s_wait_loadcnt_dscnt 0x0
	s_cbranch_vccnz .LBB15_76
; %bb.55:                               ;   in Loop: Header=BB15_10 Depth=1
	v_mov_b32_e32 v24, v16
	s_wait_xcnt 0x0
	s_mul_i32 s24, s37, s27
	s_mov_b32 s25, 0
	s_movk_i32 s26, 0x1080
	s_mov_b32 s27, s24
	s_branch .LBB15_57
.LBB15_56:                              ;   in Loop: Header=BB15_57 Depth=2
	s_or_b32 exec_lo, exec_lo, s28
	v_add_nc_u32_e32 v24, 4, v24
	s_add_co_i32 s25, s25, 1
	s_add_co_i32 s27, s27, 1
	;; [unrolled: 1-line block ×3, first 2 shown]
	s_cmp_eq_u32 s25, s30
	s_wait_dscnt 0x0
	s_cbranch_scc1 .LBB15_76
.LBB15_57:                              ;   Parent Loop BB15_10 Depth=1
                                        ; =>  This Loop Header: Depth=2
                                        ;       Child Loop BB15_64 Depth 3
                                        ;       Child Loop BB15_69 Depth 3
	;; [unrolled: 1-line block ×3, first 2 shown]
	s_mul_i32 s28, s25, s30
	v_lshl_add_u32 v1, s25, 2, v8
	s_add_co_i32 s28, s28, s24
	s_delay_alu instid0(SALU_CYCLE_1) | instskip(NEXT) | instid1(SALU_CYCLE_1)
	s_add_co_i32 s29, s28, s25
	v_mov_b32_e32 v0, s29
	global_load_b32 v25, v0, s[20:21] scale_offset
	s_wait_xcnt 0x0
	ds_load_b32 v0, v1
	s_wait_loadcnt 0x0
	v_readfirstlane_b32 s29, v25
	s_cmp_neq_f32 s29, 0
	s_cselect_b32 vcc_lo, -1, 0
	v_cndmask_b32_e32 v25, 1.0, v25, vcc_lo
	s_nor_b32 s40, vcc_lo, s2
	s_delay_alu instid0(SALU_CYCLE_1)
	s_and_saveexec_b32 s29, s40
	s_cbranch_execz .LBB15_61
; %bb.58:                               ;   in Loop: Header=BB15_57 Depth=2
	v_mbcnt_lo_u32_b32 v25, exec_lo, 0
	s_mov_b32 s40, exec_lo
	s_delay_alu instid0(VALU_DEP_1)
	v_cmpx_eq_u32_e32 0, v25
	s_cbranch_execz .LBB15_60
; %bb.59:                               ;   in Loop: Header=BB15_57 Depth=2
	v_mov_b32_e32 v25, s39
	global_atomic_min_i32 v22, v25, s[14:15] scope:SCOPE_DEV
.LBB15_60:                              ;   in Loop: Header=BB15_57 Depth=2
	s_wait_xcnt 0x0
	s_or_b32 exec_lo, exec_lo, s40
	v_mov_b32_e32 v25, 1.0
.LBB15_61:                              ;   in Loop: Header=BB15_57 Depth=2
	s_or_b32 exec_lo, exec_lo, s29
	v_lshl_add_u32 v26, s25, 2, v5
	s_cmp_eq_u32 s25, 0
	ds_load_b32 v26, v26
	s_cbranch_scc1 .LBB15_66
; %bb.62:                               ;   in Loop: Header=BB15_57 Depth=2
	v_mov_b32_e32 v27, v8
	s_mov_b32 s29, 0
	s_mov_b32 s40, s25
	;; [unrolled: 1-line block ×3, first 2 shown]
	s_branch .LBB15_64
.LBB15_63:                              ;   in Loop: Header=BB15_64 Depth=3
	s_wait_xcnt 0x0
	v_mov_b32_e32 v28, s42
	ds_load_b32 v29, v27
	v_add_nc_u32_e32 v27, 4, v27
	s_add_co_i32 s40, s40, -1
	s_add_co_i32 s29, s29, 1
	global_load_b32 v28, v28, s[20:21] scale_offset
	s_add_co_i32 s41, s41, s30
	s_cmp_eq_u32 s40, 0
	s_wait_loadcnt_dscnt 0x0
	v_fmac_f32_e32 v26, v28, v29
	s_cbranch_scc1 .LBB15_66
.LBB15_64:                              ;   Parent Loop BB15_10 Depth=1
                                        ;     Parent Loop BB15_57 Depth=2
                                        ; =>    This Inner Loop Header: Depth=3
	s_and_not1_b32 vcc_lo, exec_lo, s34
	s_mov_b32 s42, s41
	s_cbranch_vccnz .LBB15_63
; %bb.65:                               ;   in Loop: Header=BB15_64 Depth=3
	s_add_co_i32 s42, s29, s28
	s_branch .LBB15_63
.LBB15_66:                              ;   in Loop: Header=BB15_57 Depth=2
	s_wait_dscnt 0x0
	s_delay_alu instid0(VALU_DEP_1) | instskip(NEXT) | instid1(VALU_DEP_1)
	v_sub_f32_e32 v0, v0, v26
	v_div_scale_f32 v26, null, v25, v25, v0
	v_div_scale_f32 v29, vcc_lo, v0, v25, v0
	s_delay_alu instid0(VALU_DEP_2) | instskip(SKIP_2) | instid1(TRANS32_DEP_1)
	v_rcp_f32_e32 v27, v26
	s_wait_xcnt 0x0
	v_nop
	v_fma_f32 v28, -v26, v27, 1.0
	s_delay_alu instid0(VALU_DEP_1) | instskip(NEXT) | instid1(VALU_DEP_1)
	v_fmac_f32_e32 v27, v28, v27
	v_mul_f32_e32 v28, v29, v27
	s_delay_alu instid0(VALU_DEP_1) | instskip(NEXT) | instid1(VALU_DEP_1)
	v_fma_f32 v30, -v26, v28, v29
	v_fmac_f32_e32 v28, v30, v27
	s_delay_alu instid0(VALU_DEP_1) | instskip(NEXT) | instid1(VALU_DEP_1)
	v_fma_f32 v26, -v26, v28, v29
	v_div_fmas_f32 v26, v26, v27, v28
	s_delay_alu instid0(VALU_DEP_1)
	v_div_fixup_f32 v0, v26, v25, v0
	ds_store_b32 v1, v0
	s_wait_storecnt_dscnt 0x0
	s_and_saveexec_b32 s28, s0
	s_cbranch_execz .LBB15_56
; %bb.67:                               ;   in Loop: Header=BB15_57 Depth=2
	v_dual_mov_b32 v1, v2 :: v_dual_mov_b32 v25, v11
	v_mov_b32_e32 v26, v15
	s_mov_b32 s40, -1
	s_and_saveexec_b32 s29, s3
	s_cbranch_execz .LBB15_73
; %bb.68:                               ;   in Loop: Header=BB15_57 Depth=2
	v_dual_mov_b32 v1, v0 :: v_dual_mov_b32 v25, v10
	v_dual_mov_b32 v26, v18 :: v_dual_mov_b32 v27, v24
	s_mov_b32 s40, 0
.LBB15_69:                              ;   Parent Loop BB15_10 Depth=1
                                        ;     Parent Loop BB15_57 Depth=2
                                        ; =>    This Inner Loop Header: Depth=3
	ds_load_2addr_b32 v[28:29], v27 offset1:66
	ds_load_2addr_b32 v[30:31], v27 offset0:132 offset1:198
	ds_load_2addr_b32 v[32:33], v26 offset1:2
	ds_load_2addr_b32 v[34:35], v26 offset0:4 offset1:6
	v_add_nc_u32_e32 v25, -4, v25
	v_add_nc_u32_e32 v27, 0x420, v27
	s_wait_dscnt 0x1
	v_pk_fma_f32 v[28:29], v[0:1], v[28:29], v[32:33]
	s_wait_dscnt 0x0
	v_pk_fma_f32 v[30:31], v[0:1], v[30:31], v[34:35]
	ds_store_2addr_b32 v26, v28, v29 offset1:2
	ds_store_2addr_b32 v26, v30, v31 offset0:4 offset1:6
	v_add_nc_u32_e32 v26, 32, v26
	v_cmp_eq_u32_e32 vcc_lo, 0, v25
	s_or_b32 s40, vcc_lo, s40
	s_delay_alu instid0(SALU_CYCLE_1)
	s_and_not1_b32 exec_lo, exec_lo, s40
	s_cbranch_execnz .LBB15_69
; %bb.70:                               ;   in Loop: Header=BB15_57 Depth=2
	s_or_b32 exec_lo, exec_lo, s40
	s_mov_b32 s40, 0
	s_and_saveexec_b32 s41, s4
; %bb.71:                               ;   in Loop: Header=BB15_57 Depth=2
	s_mov_b32 s40, exec_lo
; %bb.72:                               ;   in Loop: Header=BB15_57 Depth=2
	s_or_b32 exec_lo, exec_lo, s41
	v_dual_mov_b32 v1, v12 :: v_dual_mov_b32 v25, v23
	v_mov_b32_e32 v26, v20
	s_or_not1_b32 s40, s40, exec_lo
.LBB15_73:                              ;   in Loop: Header=BB15_57 Depth=2
	s_or_b32 exec_lo, exec_lo, s29
	s_delay_alu instid0(SALU_CYCLE_1)
	s_and_b32 exec_lo, exec_lo, s40
	s_cbranch_execz .LBB15_56
; %bb.74:                               ;   in Loop: Header=BB15_57 Depth=2
	v_dual_add_nc_u32 v25, v19, v25 :: v_dual_add_nc_u32 v26, s26, v26
	s_mov_b32 s29, 0
.LBB15_75:                              ;   Parent Loop BB15_10 Depth=1
                                        ;     Parent Loop BB15_57 Depth=2
                                        ; =>    This Inner Loop Header: Depth=3
	ds_load_b32 v27, v26
	ds_load_b32 v28, v25
	v_add_nc_u32_e32 v1, 2, v1
	v_add_nc_u32_e32 v26, 0x108, v26
	s_wait_dscnt 0x0
	v_fmac_f32_e32 v28, v0, v27
	s_delay_alu instid0(VALU_DEP_3) | instskip(SKIP_3) | instid1(SALU_CYCLE_1)
	v_cmp_le_i32_e32 vcc_lo, s30, v1
	ds_store_b32 v25, v28
	v_add_nc_u32_e32 v25, 8, v25
	s_or_b32 s29, vcc_lo, s29
	s_and_not1_b32 exec_lo, exec_lo, s29
	s_cbranch_execnz .LBB15_75
	s_branch .LBB15_56
.LBB15_76:                              ;   in Loop: Header=BB15_10 Depth=1
	s_wait_xcnt 0x0
	s_and_saveexec_b32 s24, s0
	s_cbranch_execz .LBB15_9
; %bb.77:                               ;   in Loop: Header=BB15_10 Depth=1
	v_dual_mov_b32 v0, v21 :: v_dual_mov_b32 v1, v2
	s_mov_b32 s25, 0
	s_branch .LBB15_80
.LBB15_78:                              ;   in Loop: Header=BB15_80 Depth=2
	s_wait_dscnt 0x0
	global_store_b32 v25, v24, s[20:21] scale_offset
.LBB15_79:                              ;   in Loop: Header=BB15_80 Depth=2
	s_wait_xcnt 0x0
	s_or_b32 exec_lo, exec_lo, s26
	v_dual_add_nc_u32 v1, 2, v1 :: v_dual_add_nc_u32 v0, 8, v0
	s_delay_alu instid0(VALU_DEP_1) | instskip(SKIP_1) | instid1(SALU_CYCLE_1)
	v_cmp_le_i32_e32 vcc_lo, s30, v1
	s_or_b32 s25, vcc_lo, s25
	s_and_not1_b32 exec_lo, exec_lo, s25
	s_cbranch_execz .LBB15_9
.LBB15_80:                              ;   Parent Loop BB15_10 Depth=1
                                        ; =>  This Inner Loop Header: Depth=2
	s_and_saveexec_b32 s26, s1
	s_cbranch_execz .LBB15_79
; %bb.81:                               ;   in Loop: Header=BB15_80 Depth=2
	ds_load_b32 v24, v0
	s_and_b32 vcc_lo, exec_lo, s35
	s_mov_b32 s27, -1
                                        ; implicit-def: $vgpr25
	s_cbranch_vccz .LBB15_83
; %bb.82:                               ;   in Loop: Header=BB15_80 Depth=2
	v_add_nc_u32_e32 v25, s23, v1
	s_mov_b32 s27, 0
	s_delay_alu instid0(VALU_DEP_1)
	v_mad_u32 v25, v25, s30, v3
.LBB15_83:                              ;   in Loop: Header=BB15_80 Depth=2
	s_and_not1_b32 vcc_lo, exec_lo, s27
	s_cbranch_vccnz .LBB15_78
; %bb.84:                               ;   in Loop: Header=BB15_80 Depth=2
	v_add_nc_u32_e32 v25, v17, v1
	s_branch .LBB15_78
.LBB15_85:                              ;   in Loop: Header=BB15_10 Depth=1
                                        ; implicit-def: $sgpr22
                                        ; implicit-def: $vgpr17
	s_cbranch_execz .LBB15_10
.LBB15_86:
	v_cmp_gt_i32_e64 s0, s30, v2
	s_and_saveexec_b32 s2, s0
	s_cbranch_execz .LBB15_99
; %bb.87:
	s_mul_i32 s3, s13, s30
	v_cmp_gt_i32_e64 s1, s30, v3
	v_dual_add_nc_u32 v0, s3, v3 :: v_dual_lshlrev_b32 v1, 2, v2
	v_mov_b32_e32 v8, v2
	s_cmp_lg_u32 s31, 0
	s_mov_b32 s4, 0
	s_delay_alu instid0(VALU_DEP_2)
	v_mul_lo_u32 v0, v0, s30
	v_add3_u32 v1, v5, v1, 0x1080
	s_cselect_b32 s8, -1, 0
	s_branch .LBB15_89
.LBB15_88:                              ;   in Loop: Header=BB15_89 Depth=1
	s_wait_xcnt 0x0
	s_or_b32 exec_lo, exec_lo, s16
	v_add_nc_u32_e32 v8, 2, v8
	s_wait_loadcnt 0x0
	ds_store_b32 v1, v10
	v_add_nc_u32_e32 v1, 8, v1
	v_cmp_le_i32_e32 vcc_lo, s30, v8
	s_or_b32 s4, vcc_lo, s4
	s_delay_alu instid0(SALU_CYCLE_1)
	s_and_not1_b32 exec_lo, exec_lo, s4
	s_cbranch_execz .LBB15_99
.LBB15_89:                              ; =>This Inner Loop Header: Depth=1
	s_and_b32 vcc_lo, exec_lo, s8
	s_cbranch_vccz .LBB15_96
; %bb.90:                               ;   in Loop: Header=BB15_89 Depth=1
	s_mov_b32 s16, 0
	s_mov_b32 s9, 0
                                        ; implicit-def: $vgpr9
	s_and_saveexec_b32 s17, s1
	s_delay_alu instid0(SALU_CYCLE_1)
	s_xor_b32 s17, exec_lo, s17
; %bb.91:                               ;   in Loop: Header=BB15_89 Depth=1
	v_add_nc_u32_e32 v9, s3, v8
	s_mov_b32 s9, exec_lo
	s_delay_alu instid0(VALU_DEP_1)
	v_mad_u32 v9, v9, s30, v3
; %bb.92:                               ;   in Loop: Header=BB15_89 Depth=1
	s_or_b32 exec_lo, exec_lo, s17
	s_delay_alu instid0(SALU_CYCLE_1)
	s_and_b32 vcc_lo, exec_lo, s16
	s_cbranch_vccz .LBB15_97
.LBB15_93:                              ;   in Loop: Header=BB15_89 Depth=1
                                        ; implicit-def: $vgpr9
	s_and_saveexec_b32 s16, s1
; %bb.94:                               ;   in Loop: Header=BB15_89 Depth=1
	s_delay_alu instid0(VALU_DEP_2)
	v_add_nc_u32_e32 v9, v0, v8
	s_or_b32 s9, s9, exec_lo
; %bb.95:                               ;   in Loop: Header=BB15_89 Depth=1
	s_or_b32 exec_lo, exec_lo, s16
	v_mov_b32_e32 v10, 0
	s_and_saveexec_b32 s16, s9
	s_cbranch_execz .LBB15_88
	s_branch .LBB15_98
.LBB15_96:                              ;   in Loop: Header=BB15_89 Depth=1
	s_mov_b32 s9, 0
                                        ; implicit-def: $vgpr9
	s_cbranch_execnz .LBB15_93
.LBB15_97:                              ;   in Loop: Header=BB15_89 Depth=1
	v_mov_b32_e32 v10, 0
	s_and_saveexec_b32 s16, s9
	s_cbranch_execz .LBB15_88
.LBB15_98:                              ;   in Loop: Header=BB15_89 Depth=1
	global_load_b32 v10, v9, s[20:21] scale_offset
	s_branch .LBB15_88
.LBB15_99:
	s_or_b32 exec_lo, exec_lo, s2
	s_cmp_lt_i32 s30, 1
	s_wait_loadcnt_dscnt 0x0
	s_cbranch_scc1 .LBB15_119
; %bb.100:
	s_movk_i32 s4, 0x84
	v_dual_mov_b32 v16, 0 :: v_dual_lshlrev_b32 v13, 2, v3
	v_mad_u32_u24 v8, v3, s4, 0x1080
	v_lshrrev_b32_e32 v0, 1, v7
	s_movk_i32 s1, 0x2100
	v_cmp_lt_u32_e64 s2, 5, v7
	s_delay_alu instid0(VALU_DEP_3) | instskip(NEXT) | instid1(VALU_DEP_3)
	v_dual_add_nc_u32 v12, v8, v13 :: v_dual_bitop2_b32 v1, v2, v3 bitop3:0x54
	v_add_nc_u32_e32 v0, 1, v0
	v_mad_u32_u24 v10, 0x84, v3, s1
	v_mad_u32_u24 v7, v2, s4, 0x1080
	s_delay_alu instid0(VALU_DEP_4) | instskip(SKIP_1) | instid1(VALU_DEP_4)
	v_cmp_ne_u32_e64 s1, 0, v1
	v_add3_u32 v15, v5, v4, 0x2100
	v_dual_add_nc_u32 v13, v10, v13 :: v_dual_bitop2_b32 v9, -4, v0 bitop3:0x40
	s_movk_i32 s8, 0x1080
	s_mov_b32 s9, 0
	s_add_co_i32 s16, s12, s5
	s_delay_alu instid0(VALU_DEP_1) | instskip(SKIP_1) | instid1(VALU_DEP_2)
	v_lshl_add_u32 v11, v9, 1, v2
	v_cmp_ne_u32_e64 s3, v0, v9
	v_mul_lo_u32 v14, 0x84, v11
	v_lshlrev_b32_e32 v17, 2, v11
	s_branch .LBB15_102
.LBB15_101:                             ;   in Loop: Header=BB15_102 Depth=1
	s_or_b32 exec_lo, exec_lo, s4
	v_add_nc_u32_e32 v7, 4, v7
	s_add_co_i32 s9, s9, 1
	s_add_co_i32 s8, s8, 4
	s_cmp_eq_u32 s9, s30
	s_wait_storecnt_dscnt 0x0
	s_cbranch_scc1 .LBB15_119
.LBB15_102:                             ; =>This Loop Header: Depth=1
                                        ;     Child Loop BB15_112 Depth 2
                                        ;     Child Loop BB15_118 Depth 2
	s_mov_b32 s17, exec_lo
	v_cmpx_eq_u32_e64 s9, v3
	s_cbranch_execz .LBB15_104
; %bb.103:                              ;   in Loop: Header=BB15_102 Depth=1
	ds_load_b32 v0, v12
	ds_load_b32 v1, v13
	s_wait_dscnt 0x0
	v_sub_f32_e32 v0, v0, v1
	s_delay_alu instid0(VALU_DEP_1) | instskip(SKIP_1) | instid1(VALU_DEP_1)
	v_cmp_gt_f32_e32 vcc_lo, 0, v0
	v_cndmask_b32_e64 v0, v0, -v0, vcc_lo
	v_mul_f32_e32 v1, 0x4f800000, v0
	v_cmp_gt_f32_e32 vcc_lo, 0xf800000, v0
	s_delay_alu instid0(VALU_DEP_2) | instskip(NEXT) | instid1(VALU_DEP_1)
	v_cndmask_b32_e32 v0, v0, v1, vcc_lo
	v_sqrt_f32_e32 v1, v0
	v_nop
	s_delay_alu instid0(TRANS32_DEP_1) | instskip(NEXT) | instid1(VALU_DEP_1)
	v_dual_add_nc_u32 v18, -1, v1 :: v_dual_add_nc_u32 v19, 1, v1
	v_dual_fma_f32 v20, -v18, v1, v0 :: v_dual_fma_f32 v21, -v19, v1, v0
	s_delay_alu instid0(VALU_DEP_1) | instskip(NEXT) | instid1(VALU_DEP_1)
	v_cmp_ge_f32_e64 s4, 0, v20
	v_cndmask_b32_e64 v1, v1, v18, s4
	s_delay_alu instid0(VALU_DEP_3) | instskip(NEXT) | instid1(VALU_DEP_1)
	v_cmp_lt_f32_e64 s4, 0, v21
	v_cndmask_b32_e64 v1, v1, v19, s4
	s_delay_alu instid0(VALU_DEP_1) | instskip(NEXT) | instid1(VALU_DEP_1)
	v_mul_f32_e32 v18, 0x37800000, v1
	v_cndmask_b32_e32 v1, v1, v18, vcc_lo
	v_cmp_class_f32_e64 vcc_lo, v0, 0x260
	s_delay_alu instid0(VALU_DEP_2)
	v_cndmask_b32_e32 v0, v1, v0, vcc_lo
	ds_store_b32 v12, v0
.LBB15_104:                             ;   in Loop: Header=BB15_102 Depth=1
	s_or_b32 exec_lo, exec_lo, s17
	s_lshl_b32 s4, s9, 2
	s_mul_i32 s17, s9, 0x84
	s_wait_dscnt 0x0
	s_add_co_i32 s17, s17, s4
	s_delay_alu instid0(SALU_CYCLE_1)
	v_dual_mov_b32 v0, s17 :: v_dual_add_nc_u32 v1, s4, v8
	ds_load_b32 v18, v0 offset:4224
	ds_load_b32 v0, v1
	s_wait_dscnt 0x1
	v_readfirstlane_b32 s4, v18
	s_cmp_neq_f32 s4, 0
	s_cselect_b32 vcc_lo, -1, 0
	v_cndmask_b32_e32 v18, 1.0, v18, vcc_lo
	s_nor_b32 s17, vcc_lo, s1
	s_delay_alu instid0(SALU_CYCLE_1)
	s_and_saveexec_b32 s4, s17
	s_cbranch_execz .LBB15_108
; %bb.105:                              ;   in Loop: Header=BB15_102 Depth=1
	v_mbcnt_lo_u32_b32 v18, exec_lo, 0
	s_mov_b32 s17, exec_lo
	s_delay_alu instid0(VALU_DEP_1)
	v_cmpx_eq_u32_e32 0, v18
	s_cbranch_execz .LBB15_107
; %bb.106:                              ;   in Loop: Header=BB15_102 Depth=1
	v_mov_b32_e32 v18, s16
	global_atomic_min_i32 v16, v18, s[14:15] scope:SCOPE_DEV
.LBB15_107:                             ;   in Loop: Header=BB15_102 Depth=1
	s_wait_xcnt 0x0
	s_or_b32 exec_lo, exec_lo, s17
	v_mov_b32_e32 v18, 1.0
.LBB15_108:                             ;   in Loop: Header=BB15_102 Depth=1
	s_or_b32 exec_lo, exec_lo, s4
	s_delay_alu instid0(SALU_CYCLE_1)
	s_mov_b32 s4, exec_lo
	v_cmpx_lt_u32_e64 s9, v3
	s_cbranch_execz .LBB15_101
; %bb.109:                              ;   in Loop: Header=BB15_102 Depth=1
	v_lshl_add_u32 v19, s9, 2, v10
	ds_load_b32 v19, v19
	s_wait_dscnt 0x0
	v_sub_f32_e32 v0, v0, v19
	s_delay_alu instid0(VALU_DEP_1) | instskip(NEXT) | instid1(VALU_DEP_1)
	v_div_scale_f32 v19, null, v18, v18, v0
	v_rcp_f32_e32 v20, v19
	v_nop
	s_delay_alu instid0(TRANS32_DEP_1) | instskip(NEXT) | instid1(VALU_DEP_1)
	v_fma_f32 v21, -v19, v20, 1.0
	v_fmac_f32_e32 v20, v21, v20
	v_div_scale_f32 v22, vcc_lo, v0, v18, v0
	s_delay_alu instid0(VALU_DEP_1) | instskip(NEXT) | instid1(VALU_DEP_1)
	v_mul_f32_e32 v21, v22, v20
	v_fma_f32 v23, -v19, v21, v22
	s_delay_alu instid0(VALU_DEP_1) | instskip(NEXT) | instid1(VALU_DEP_1)
	v_fmac_f32_e32 v21, v23, v20
	v_fma_f32 v19, -v19, v21, v22
	s_delay_alu instid0(VALU_DEP_1) | instskip(NEXT) | instid1(VALU_DEP_1)
	v_div_fmas_f32 v19, v19, v20, v21
	v_div_fixup_f32 v0, v19, v18, v0
	ds_store_b32 v1, v0
	s_wait_storecnt_dscnt 0x0
	s_and_b32 exec_lo, exec_lo, s0
	s_cbranch_execz .LBB15_101
; %bb.110:                              ;   in Loop: Header=BB15_102 Depth=1
	v_dual_mov_b32 v1, v2 :: v_dual_mov_b32 v18, v4
	v_mov_b32_e32 v19, v6
	s_mov_b32 s18, -1
	s_and_saveexec_b32 s17, s2
	s_cbranch_execz .LBB15_116
; %bb.111:                              ;   in Loop: Header=BB15_102 Depth=1
	v_dual_mov_b32 v1, v0 :: v_dual_mov_b32 v18, v9
	v_dual_mov_b32 v19, v15 :: v_dual_mov_b32 v20, v7
	s_mov_b32 s18, 0
.LBB15_112:                             ;   Parent Loop BB15_102 Depth=1
                                        ; =>  This Inner Loop Header: Depth=2
	ds_load_2addr_b32 v[22:23], v20 offset1:66
	ds_load_2addr_b32 v[24:25], v20 offset0:132 offset1:198
	ds_load_2addr_b32 v[26:27], v19 offset1:2
	ds_load_2addr_b32 v[28:29], v19 offset0:4 offset1:6
	v_add_nc_u32_e32 v18, -4, v18
	v_add_nc_u32_e32 v20, 0x420, v20
	s_wait_dscnt 0x1
	v_pk_fma_f32 v[22:23], v[0:1], v[22:23], v[26:27]
	s_wait_dscnt 0x0
	v_pk_fma_f32 v[24:25], v[0:1], v[24:25], v[28:29]
	ds_store_2addr_b32 v19, v22, v23 offset1:2
	ds_store_2addr_b32 v19, v24, v25 offset0:4 offset1:6
	v_add_nc_u32_e32 v19, 32, v19
	v_cmp_eq_u32_e32 vcc_lo, 0, v18
	s_or_b32 s18, vcc_lo, s18
	s_delay_alu instid0(SALU_CYCLE_1)
	s_and_not1_b32 exec_lo, exec_lo, s18
	s_cbranch_execnz .LBB15_112
; %bb.113:                              ;   in Loop: Header=BB15_102 Depth=1
	s_or_b32 exec_lo, exec_lo, s18
	s_mov_b32 s18, 0
	s_and_saveexec_b32 s19, s3
; %bb.114:                              ;   in Loop: Header=BB15_102 Depth=1
	s_mov_b32 s18, exec_lo
; %bb.115:                              ;   in Loop: Header=BB15_102 Depth=1
	s_or_b32 exec_lo, exec_lo, s19
	v_dual_mov_b32 v1, v11 :: v_dual_mov_b32 v18, v17
	v_mov_b32_e32 v19, v14
	s_or_not1_b32 s18, s18, exec_lo
.LBB15_116:                             ;   in Loop: Header=BB15_102 Depth=1
	s_or_b32 exec_lo, exec_lo, s17
	s_delay_alu instid0(SALU_CYCLE_1)
	s_and_b32 exec_lo, exec_lo, s18
	s_cbranch_execz .LBB15_101
; %bb.117:                              ;   in Loop: Header=BB15_102 Depth=1
	v_dual_add_nc_u32 v18, v10, v18 :: v_dual_add_nc_u32 v19, s8, v19
	s_mov_b32 s17, 0
.LBB15_118:                             ;   Parent Loop BB15_102 Depth=1
                                        ; =>  This Inner Loop Header: Depth=2
	ds_load_b32 v20, v19
	ds_load_b32 v21, v18
	v_add_nc_u32_e32 v1, 2, v1
	v_add_nc_u32_e32 v19, 0x108, v19
	s_wait_dscnt 0x0
	v_fmac_f32_e32 v21, v0, v20
	s_delay_alu instid0(VALU_DEP_3) | instskip(SKIP_3) | instid1(SALU_CYCLE_1)
	v_cmp_le_i32_e32 vcc_lo, s30, v1
	ds_store_b32 v18, v21
	v_add_nc_u32_e32 v18, 8, v18
	s_or_b32 s17, vcc_lo, s17
	s_and_not1_b32 exec_lo, exec_lo, s17
	s_cbranch_execnz .LBB15_118
	s_branch .LBB15_101
.LBB15_119:
	s_and_saveexec_b32 s1, s0
	s_cbranch_execz .LBB15_128
; %bb.120:
	s_mul_i32 s13, s13, s30
	v_add3_u32 v1, v5, v4, 0x1080
	v_dual_add_nc_u32 v0, s13, v3 :: v_dual_mov_b32 v4, v2
	v_cmp_gt_i32_e64 s0, s30, v3
	s_cmp_lg_u32 s31, 0
	s_mov_b32 s2, 0
	v_mul_lo_u32 v0, v0, s30
	s_cselect_b32 s3, -1, 0
	s_branch .LBB15_124
.LBB15_121:                             ;   in Loop: Header=BB15_124 Depth=1
	v_add_nc_u32_e32 v6, v0, v4
.LBB15_122:                             ;   in Loop: Header=BB15_124 Depth=1
	s_wait_dscnt 0x0
	global_store_b32 v6, v5, s[20:21] scale_offset
.LBB15_123:                             ;   in Loop: Header=BB15_124 Depth=1
	s_wait_xcnt 0x0
	s_or_b32 exec_lo, exec_lo, s4
	v_dual_add_nc_u32 v4, 2, v4 :: v_dual_add_nc_u32 v1, 8, v1
	s_delay_alu instid0(VALU_DEP_1) | instskip(SKIP_1) | instid1(SALU_CYCLE_1)
	v_cmp_le_i32_e32 vcc_lo, s30, v4
	s_or_b32 s2, vcc_lo, s2
	s_and_not1_b32 exec_lo, exec_lo, s2
	s_cbranch_execz .LBB15_128
.LBB15_124:                             ; =>This Inner Loop Header: Depth=1
	s_and_saveexec_b32 s4, s0
	s_cbranch_execz .LBB15_123
; %bb.125:                              ;   in Loop: Header=BB15_124 Depth=1
	ds_load_b32 v5, v1
	s_and_b32 vcc_lo, exec_lo, s3
	s_cbranch_vccz .LBB15_127
; %bb.126:                              ;   in Loop: Header=BB15_124 Depth=1
	v_add_nc_u32_e32 v6, s13, v4
	s_delay_alu instid0(VALU_DEP_1)
	v_mad_u32 v6, v6, s30, v3
	s_cbranch_execnz .LBB15_122
	s_branch .LBB15_121
.LBB15_127:                             ;   in Loop: Header=BB15_124 Depth=1
                                        ; implicit-def: $vgpr6
	s_branch .LBB15_121
.LBB15_128:
	s_or_b32 exec_lo, exec_lo, s1
	v_or_b32_e32 v0, v2, v3
	s_mov_b32 s0, 0
	s_mov_b32 s1, exec_lo
	s_delay_alu instid0(VALU_DEP_1)
	v_cmpx_eq_u32_e32 0, v0
	s_cbranch_execz .LBB15_130
; %bb.129:
	v_dual_mov_b32 v0, 0 :: v_dual_mov_b32 v1, 1
	s_add_nc_u64 s[2:3], s[10:11], s[6:7]
	global_wb scope:SCOPE_DEV
	s_wait_storecnt 0x0
	global_store_b32 v0, v1, s[2:3] scope:SCOPE_DEV
.LBB15_130:
	s_wait_xcnt 0x0
	s_or_b32 exec_lo, exec_lo, s1
	s_delay_alu instid0(SALU_CYCLE_1)
	s_and_b32 vcc_lo, exec_lo, s0
	s_cbranch_vccnz .LBB15_133
.LBB15_131:
	s_endpgm
.LBB15_132:
	s_cbranch_execz .LBB15_131
.LBB15_133:
	v_or_b32_e32 v0, v2, v3
	s_mov_b32 s0, exec_lo
	s_delay_alu instid0(VALU_DEP_1)
	v_cmpx_eq_u32_e32 0, v0
	s_cbranch_execz .LBB15_131
; %bb.134:
	v_mbcnt_lo_u32_b32 v0, exec_lo, 0
	s_mov_b32 s0, exec_lo
	s_delay_alu instid0(VALU_DEP_1)
	v_cmpx_eq_u32_e32 0, v0
	s_cbranch_execz .LBB15_136
; %bb.135:
	s_add_co_i32 s1, s12, s5
	s_delay_alu instid0(SALU_CYCLE_1)
	v_dual_mov_b32 v0, 0 :: v_dual_mov_b32 v1, s1
	global_atomic_min_i32 v0, v1, s[14:15] scope:SCOPE_DEV
.LBB15_136:
	s_wait_xcnt 0x0
	s_or_b32 exec_lo, exec_lo, s0
	v_dual_mov_b32 v0, 0 :: v_dual_mov_b32 v1, 1
	s_add_nc_u64 s[0:1], s[10:11], s[6:7]
	global_wb scope:SCOPE_DEV
	s_wait_storecnt 0x0
	global_store_b32 v0, v1, s[0:1] scope:SCOPE_DEV
	s_endpgm
	.section	.rodata,"a",@progbits
	.p2align	6, 0x0
	.amdhsa_kernel _ZN9rocsparseL19bsric0_17_32_kernelILi64ELi64ELi32EfEEv20rocsparse_direction_iiPKiS3_PT2_S3_PiS3_S6_21rocsparse_index_base_
		.amdhsa_group_segment_fixed_size 13440
		.amdhsa_private_segment_fixed_size 0
		.amdhsa_kernarg_size 76
		.amdhsa_user_sgpr_count 2
		.amdhsa_user_sgpr_dispatch_ptr 0
		.amdhsa_user_sgpr_queue_ptr 0
		.amdhsa_user_sgpr_kernarg_segment_ptr 1
		.amdhsa_user_sgpr_dispatch_id 0
		.amdhsa_user_sgpr_kernarg_preload_length 0
		.amdhsa_user_sgpr_kernarg_preload_offset 0
		.amdhsa_user_sgpr_private_segment_size 0
		.amdhsa_wavefront_size32 1
		.amdhsa_uses_dynamic_stack 0
		.amdhsa_enable_private_segment 0
		.amdhsa_system_sgpr_workgroup_id_x 1
		.amdhsa_system_sgpr_workgroup_id_y 0
		.amdhsa_system_sgpr_workgroup_id_z 0
		.amdhsa_system_sgpr_workgroup_info 0
		.amdhsa_system_vgpr_workitem_id 1
		.amdhsa_next_free_vgpr 113
		.amdhsa_next_free_sgpr 47
		.amdhsa_named_barrier_count 0
		.amdhsa_reserve_vcc 1
		.amdhsa_float_round_mode_32 0
		.amdhsa_float_round_mode_16_64 0
		.amdhsa_float_denorm_mode_32 3
		.amdhsa_float_denorm_mode_16_64 3
		.amdhsa_fp16_overflow 0
		.amdhsa_memory_ordered 1
		.amdhsa_forward_progress 1
		.amdhsa_inst_pref_size 35
		.amdhsa_round_robin_scheduling 0
		.amdhsa_exception_fp_ieee_invalid_op 0
		.amdhsa_exception_fp_denorm_src 0
		.amdhsa_exception_fp_ieee_div_zero 0
		.amdhsa_exception_fp_ieee_overflow 0
		.amdhsa_exception_fp_ieee_underflow 0
		.amdhsa_exception_fp_ieee_inexact 0
		.amdhsa_exception_int_div_zero 0
	.end_amdhsa_kernel
	.section	.text._ZN9rocsparseL19bsric0_17_32_kernelILi64ELi64ELi32EfEEv20rocsparse_direction_iiPKiS3_PT2_S3_PiS3_S6_21rocsparse_index_base_,"axG",@progbits,_ZN9rocsparseL19bsric0_17_32_kernelILi64ELi64ELi32EfEEv20rocsparse_direction_iiPKiS3_PT2_S3_PiS3_S6_21rocsparse_index_base_,comdat
.Lfunc_end15:
	.size	_ZN9rocsparseL19bsric0_17_32_kernelILi64ELi64ELi32EfEEv20rocsparse_direction_iiPKiS3_PT2_S3_PiS3_S6_21rocsparse_index_base_, .Lfunc_end15-_ZN9rocsparseL19bsric0_17_32_kernelILi64ELi64ELi32EfEEv20rocsparse_direction_iiPKiS3_PT2_S3_PiS3_S6_21rocsparse_index_base_
                                        ; -- End function
	.set _ZN9rocsparseL19bsric0_17_32_kernelILi64ELi64ELi32EfEEv20rocsparse_direction_iiPKiS3_PT2_S3_PiS3_S6_21rocsparse_index_base_.num_vgpr, 36
	.set _ZN9rocsparseL19bsric0_17_32_kernelILi64ELi64ELi32EfEEv20rocsparse_direction_iiPKiS3_PT2_S3_PiS3_S6_21rocsparse_index_base_.num_agpr, 0
	.set _ZN9rocsparseL19bsric0_17_32_kernelILi64ELi64ELi32EfEEv20rocsparse_direction_iiPKiS3_PT2_S3_PiS3_S6_21rocsparse_index_base_.numbered_sgpr, 47
	.set _ZN9rocsparseL19bsric0_17_32_kernelILi64ELi64ELi32EfEEv20rocsparse_direction_iiPKiS3_PT2_S3_PiS3_S6_21rocsparse_index_base_.num_named_barrier, 0
	.set _ZN9rocsparseL19bsric0_17_32_kernelILi64ELi64ELi32EfEEv20rocsparse_direction_iiPKiS3_PT2_S3_PiS3_S6_21rocsparse_index_base_.private_seg_size, 0
	.set _ZN9rocsparseL19bsric0_17_32_kernelILi64ELi64ELi32EfEEv20rocsparse_direction_iiPKiS3_PT2_S3_PiS3_S6_21rocsparse_index_base_.uses_vcc, 1
	.set _ZN9rocsparseL19bsric0_17_32_kernelILi64ELi64ELi32EfEEv20rocsparse_direction_iiPKiS3_PT2_S3_PiS3_S6_21rocsparse_index_base_.uses_flat_scratch, 0
	.set _ZN9rocsparseL19bsric0_17_32_kernelILi64ELi64ELi32EfEEv20rocsparse_direction_iiPKiS3_PT2_S3_PiS3_S6_21rocsparse_index_base_.has_dyn_sized_stack, 0
	.set _ZN9rocsparseL19bsric0_17_32_kernelILi64ELi64ELi32EfEEv20rocsparse_direction_iiPKiS3_PT2_S3_PiS3_S6_21rocsparse_index_base_.has_recursion, 0
	.set _ZN9rocsparseL19bsric0_17_32_kernelILi64ELi64ELi32EfEEv20rocsparse_direction_iiPKiS3_PT2_S3_PiS3_S6_21rocsparse_index_base_.has_indirect_call, 0
	.section	.AMDGPU.csdata,"",@progbits
; Kernel info:
; codeLenInByte = 4460
; TotalNumSgprs: 49
; NumVgprs: 36
; ScratchSize: 0
; MemoryBound: 0
; FloatMode: 240
; IeeeMode: 1
; LDSByteSize: 13440 bytes/workgroup (compile time only)
; SGPRBlocks: 0
; VGPRBlocks: 7
; NumSGPRsForWavesPerEU: 49
; NumVGPRsForWavesPerEU: 113
; NamedBarCnt: 0
; Occupancy: 8
; WaveLimiterHint : 1
; COMPUTE_PGM_RSRC2:SCRATCH_EN: 0
; COMPUTE_PGM_RSRC2:USER_SGPR: 2
; COMPUTE_PGM_RSRC2:TRAP_HANDLER: 0
; COMPUTE_PGM_RSRC2:TGID_X_EN: 1
; COMPUTE_PGM_RSRC2:TGID_Y_EN: 0
; COMPUTE_PGM_RSRC2:TGID_Z_EN: 0
; COMPUTE_PGM_RSRC2:TIDIG_COMP_CNT: 1
	.section	.text._ZN9rocsparseL17bsric0_2_8_kernelILi64ELi128ELi8EfEEv20rocsparse_direction_iiPKiS3_PT2_S3_PiS3_S6_21rocsparse_index_base_,"axG",@progbits,_ZN9rocsparseL17bsric0_2_8_kernelILi64ELi128ELi8EfEEv20rocsparse_direction_iiPKiS3_PT2_S3_PiS3_S6_21rocsparse_index_base_,comdat
	.globl	_ZN9rocsparseL17bsric0_2_8_kernelILi64ELi128ELi8EfEEv20rocsparse_direction_iiPKiS3_PT2_S3_PiS3_S6_21rocsparse_index_base_ ; -- Begin function _ZN9rocsparseL17bsric0_2_8_kernelILi64ELi128ELi8EfEEv20rocsparse_direction_iiPKiS3_PT2_S3_PiS3_S6_21rocsparse_index_base_
	.p2align	8
	.type	_ZN9rocsparseL17bsric0_2_8_kernelILi64ELi128ELi8EfEEv20rocsparse_direction_iiPKiS3_PT2_S3_PiS3_S6_21rocsparse_index_base_,@function
_ZN9rocsparseL17bsric0_2_8_kernelILi64ELi128ELi8EfEEv20rocsparse_direction_iiPKiS3_PT2_S3_PiS3_S6_21rocsparse_index_base_: ; @_ZN9rocsparseL17bsric0_2_8_kernelILi64ELi128ELi8EfEEv20rocsparse_direction_iiPKiS3_PT2_S3_PiS3_S6_21rocsparse_index_base_
; %bb.0:
	s_load_b256 s[4:11], s[0:1], 0x28
	s_bfe_u32 s2, ttmp6, 0x4000c
	s_and_b32 s3, ttmp6, 15
	s_add_co_i32 s2, s2, 1
	s_getreg_b32 s12, hwreg(HW_REG_IB_STS2, 6, 4)
	s_mul_i32 s2, ttmp9, s2
	v_and_b32_e32 v4, 0x3ff, v0
	s_add_co_i32 s3, s3, s2
	s_cmp_eq_u32 s12, 0
	v_bfe_u32 v5, v0, 10, 10
	s_cselect_b32 s2, ttmp9, s3
	s_wait_kmcnt 0x0
	s_load_b32 s16, s[8:9], s2 offset:0x0 scale_offset
	s_wait_kmcnt 0x0
	s_ashr_i32 s17, s16, 31
	s_delay_alu instid0(SALU_CYCLE_1) | instskip(NEXT) | instid1(SALU_CYCLE_1)
	s_lshl_b64 s[8:9], s[16:17], 2
	s_add_nc_u64 s[12:13], s[4:5], s[8:9]
	s_load_b32 s28, s[12:13], 0x0
	s_load_b32 s3, s[0:1], 0x48
	s_wait_kmcnt 0x0
	s_cmp_lg_u32 s28, -1
	s_cbranch_scc0 .LBB16_88
; %bb.1:
	s_clause 0x1
	s_load_b128 s[12:15], s[0:1], 0x10
	s_load_b64 s[18:19], s[0:1], 0x20
	s_mov_b32 s2, exec_lo
	s_wait_kmcnt 0x0
	s_add_nc_u64 s[20:21], s[12:13], s[8:9]
	s_load_b32 s17, s[20:21], 0x0
	s_wait_kmcnt 0x0
	s_sub_co_i32 s29, s17, s3
	v_lshlrev_b32_e32 v1, 3, v5
	s_delay_alu instid0(VALU_DEP_1) | instskip(NEXT) | instid1(VALU_DEP_1)
	v_add_nc_u32_e32 v2, v1, v4
	v_add_nc_u32_e32 v0, s29, v2
	s_delay_alu instid0(VALU_DEP_1)
	v_cmpx_ge_i32_e64 s28, v0
	s_cbranch_execz .LBB16_13
; %bb.2:
	v_dual_add_nc_u32 v2, s17, v2 :: v_dual_add_nc_u32 v1, s17, v1
	s_add_co_i32 s20, s28, 1
	v_not_b32_e32 v3, v4
	s_mov_b32 s21, -1
	s_delay_alu instid0(VALU_DEP_2) | instskip(NEXT) | instid1(VALU_DEP_1)
	v_subrev_nc_u32_e32 v2, s3, v2
	v_add_max_i32_e64 v2, v2, 64, s20
	s_mov_b32 s20, exec_lo
	s_delay_alu instid0(VALU_DEP_1) | instskip(NEXT) | instid1(VALU_DEP_1)
	v_add3_u32 v2, s3, v2, v3
	v_sub_nc_u32_e32 v1, v2, v1
	s_delay_alu instid0(VALU_DEP_1)
	v_cmpx_lt_u32_e32 63, v1
	s_cbranch_execz .LBB16_10
; %bb.3:
	v_dual_lshrrev_b32 v6, 6, v1 :: v_dual_add_nc_u32 v1, 64, v0
	s_delay_alu instid0(VALU_DEP_1) | instskip(NEXT) | instid1(VALU_DEP_1)
	v_add_nc_u32_e32 v2, -1, v6
	v_lshrrev_b32_e32 v3, 1, v2
	v_cmp_lt_u32_e32 vcc_lo, 13, v2
	s_delay_alu instid0(VALU_DEP_2)
	v_add_nc_u32_e32 v7, 1, v3
	v_mov_b64_e32 v[2:3], v[0:1]
	s_and_saveexec_b32 s21, vcc_lo
	s_cbranch_execz .LBB16_7
; %bb.4:
	v_mov_b64_e32 v[2:3], v[0:1]
	v_and_b32_e32 v8, -8, v7
	s_mov_b32 s22, 0
.LBB16_5:                               ; =>This Inner Loop Header: Depth=1
	s_clause 0x1
	global_load_b32 v1, v2, s[14:15] scale_offset
	global_load_b32 v9, v3, s[14:15] scale_offset
	v_add_nc_u32_e32 v16, 0x200, v3
	v_add_nc_u32_e32 v14, 0x180, v3
	;; [unrolled: 1-line block ×14, first 2 shown]
	s_clause 0xd
	global_load_b32 v24, v16, s[14:15] scale_offset
	global_load_b32 v25, v14, s[14:15] scale_offset
	;; [unrolled: 1-line block ×14, first 2 shown]
	v_subrev_nc_u32_e32 v38, s29, v2
	v_subrev_nc_u32_e32 v39, s29, v3
	v_add_nc_u32_e32 v8, -8, v8
	s_wait_xcnt 0xa
	v_subrev_nc_u32_e32 v10, s29, v10
	s_wait_xcnt 0x9
	v_subrev_nc_u32_e32 v11, s29, v11
	v_dual_lshlrev_b32 v38, 2, v38 :: v_dual_lshlrev_b32 v39, 2, v39
	s_wait_xcnt 0x8
	v_subrev_nc_u32_e32 v13, s29, v13
	v_subrev_nc_u32_e32 v12, s29, v12
	v_cmp_eq_u32_e32 vcc_lo, 0, v8
	s_wait_xcnt 0x7
	v_subrev_nc_u32_e32 v15, s29, v15
	v_add_nc_u32_e32 v3, 0x400, v3
	v_subrev_nc_u32_e32 v14, s29, v14
	v_subrev_nc_u32_e32 v16, s29, v16
	s_wait_xcnt 0x6
	v_subrev_nc_u32_e32 v17, s29, v17
	s_wait_xcnt 0x3
	;; [unrolled: 2-line block ×3, first 2 shown]
	v_subrev_nc_u32_e32 v19, s29, v19
	v_subrev_nc_u32_e32 v20, s29, v20
	s_wait_xcnt 0x1
	v_subrev_nc_u32_e32 v21, s29, v21
	v_subrev_nc_u32_e32 v22, s29, v22
	s_wait_xcnt 0x0
	v_subrev_nc_u32_e32 v23, s29, v23
	v_add_nc_u32_e32 v2, 0x400, v2
	v_dual_lshlrev_b32 v11, 2, v11 :: v_dual_lshlrev_b32 v13, 2, v13
	v_dual_lshlrev_b32 v10, 2, v10 :: v_dual_lshlrev_b32 v12, 2, v12
	v_lshlrev_b32_e32 v15, 2, v15
	s_or_b32 s22, vcc_lo, s22
	v_dual_lshlrev_b32 v14, 2, v14 :: v_dual_lshlrev_b32 v17, 2, v17
	v_dual_lshlrev_b32 v16, 2, v16 :: v_dual_lshlrev_b32 v19, 2, v19
	;; [unrolled: 1-line block ×4, first 2 shown]
	v_lshlrev_b32_e32 v22, 2, v22
	s_wait_loadcnt 0xf
	v_subrev_nc_u32_e32 v1, s3, v1
	s_wait_loadcnt 0xe
	v_subrev_nc_u32_e32 v9, s3, v9
	ds_store_b32 v38, v1 offset:1024
	ds_store_b32 v39, v9 offset:1024
	s_wait_loadcnt 0xa
	v_subrev_nc_u32_e32 v1, s3, v27
	s_wait_loadcnt 0x9
	v_subrev_nc_u32_e32 v9, s3, v28
	s_wait_loadcnt 0x8
	v_subrev_nc_u32_e32 v27, s3, v29
	v_subrev_nc_u32_e32 v26, s3, v26
	s_wait_loadcnt 0x7
	v_subrev_nc_u32_e32 v28, s3, v30
	v_subrev_nc_u32_e32 v25, s3, v25
	;; [unrolled: 1-line block ×3, first 2 shown]
	s_wait_loadcnt 0x6
	v_subrev_nc_u32_e32 v29, s3, v31
	s_wait_loadcnt 0x3
	v_subrev_nc_u32_e32 v30, s3, v34
	;; [unrolled: 2-line block ×3, first 2 shown]
	v_subrev_nc_u32_e32 v33, s3, v33
	s_wait_loadcnt 0x1
	v_subrev_nc_u32_e32 v34, s3, v36
	v_subrev_nc_u32_e32 v32, s3, v32
	s_wait_loadcnt 0x0
	v_subrev_nc_u32_e32 v35, s3, v37
	ds_store_b32 v11, v9 offset:1024
	ds_store_b32 v10, v1 offset:1024
	;; [unrolled: 1-line block ×14, first 2 shown]
	s_and_not1_b32 exec_lo, exec_lo, s22
	s_cbranch_execnz .LBB16_5
; %bb.6:
	s_or_b32 exec_lo, exec_lo, s22
.LBB16_7:
	s_delay_alu instid0(SALU_CYCLE_1) | instskip(SKIP_3) | instid1(VALU_DEP_1)
	s_or_b32 exec_lo, exec_lo, s21
	v_and_b32_e32 v1, 7, v7
	s_mov_b32 s22, 0
	s_mov_b32 s21, exec_lo
	v_cmpx_ne_u32_e32 0, v1
	s_cbranch_execz .LBB16_9
.LBB16_8:                               ; =>This Inner Loop Header: Depth=1
	s_clause 0x1
	global_load_b32 v7, v2, s[14:15] scale_offset
	global_load_b32 v8, v3, s[14:15] scale_offset
	v_subrev_nc_u32_e32 v10, s29, v3
	v_add_nc_u32_e32 v1, -1, v1
	v_subrev_nc_u32_e32 v9, s29, v2
	s_wait_xcnt 0x0
	v_add_nc_u32_e32 v3, 0x80, v3
	v_add_nc_u32_e32 v2, 0x80, v2
	v_lshlrev_b32_e32 v10, 2, v10
	v_cmp_eq_u32_e32 vcc_lo, 0, v1
	v_lshlrev_b32_e32 v9, 2, v9
	s_or_b32 s22, vcc_lo, s22
	s_wait_loadcnt 0x1
	v_subrev_nc_u32_e32 v7, s3, v7
	s_wait_loadcnt 0x0
	v_subrev_nc_u32_e32 v8, s3, v8
	ds_store_b32 v9, v7 offset:1024
	ds_store_b32 v10, v8 offset:1024
	s_and_not1_b32 exec_lo, exec_lo, s22
	s_cbranch_execnz .LBB16_8
.LBB16_9:
	s_or_b32 exec_lo, exec_lo, s21
	v_add_nc_u32_e32 v1, 1, v6
	s_delay_alu instid0(VALU_DEP_1) | instskip(NEXT) | instid1(VALU_DEP_1)
	v_and_b32_e32 v2, 0x7fffffe, v1
	v_cmp_ne_u32_e32 vcc_lo, v1, v2
	v_lshl_add_u32 v0, v2, 6, v0
	s_or_not1_b32 s21, vcc_lo, exec_lo
.LBB16_10:
	s_or_b32 exec_lo, exec_lo, s20
	s_delay_alu instid0(SALU_CYCLE_1)
	s_and_b32 exec_lo, exec_lo, s21
	s_cbranch_execz .LBB16_13
; %bb.11:
	v_add_nc_u32_e32 v1, s3, v0
	s_delay_alu instid0(VALU_DEP_1) | instskip(SKIP_2) | instid1(VALU_DEP_2)
	v_subrev_nc_u32_e32 v2, s17, v1
	v_ashrrev_i32_e32 v1, 31, v0
	s_mov_b32 s17, 0
	v_lshl_add_u32 v6, v2, 2, 0x400
	s_delay_alu instid0(VALU_DEP_2)
	v_lshl_add_u64 v[2:3], v[0:1], 2, s[14:15]
.LBB16_12:                              ; =>This Inner Loop Header: Depth=1
	global_load_b32 v1, v[2:3], off
	v_add_nc_u32_e32 v0, 64, v0
	s_wait_xcnt 0x0
	v_add_nc_u64_e32 v[2:3], 0x100, v[2:3]
	s_delay_alu instid0(VALU_DEP_2)
	v_cmp_lt_i32_e32 vcc_lo, s28, v0
	s_or_b32 s17, vcc_lo, s17
	s_wait_loadcnt 0x0
	v_subrev_nc_u32_e32 v1, s3, v1
	ds_store_b32 v6, v1
	v_add_nc_u32_e32 v6, 0x100, v6
	s_and_not1_b32 exec_lo, exec_lo, s17
	s_cbranch_execnz .LBB16_12
.LBB16_13:
	s_or_b32 exec_lo, exec_lo, s2
	s_clause 0x1
	s_load_b32 s30, s[0:1], 0x0
	s_load_b32 s17, s[0:1], 0x8
	v_mad_u32_u24 v1, v5, 36, 0x960
	v_mov_b32_e32 v3, 0
	v_mad_u32_u24 v2, v5, 36, 0x840
	s_cmp_ge_i32 s29, s28
	s_delay_alu instid0(VALU_DEP_3)
	v_lshl_add_u32 v0, v4, 2, v1
	ds_store_b32 v0, v3
	s_wait_dscnt 0x0
	s_cbranch_scc1 .LBB16_66
; %bb.14:
	s_wait_kmcnt 0x0
	s_cmp_lg_u32 s30, 0
	v_mul_lo_u32 v10, s17, v4
	v_mul_lo_u32 v11, s17, v5
	v_cmp_gt_i32_e64 s0, s17, v4
	v_cmp_gt_i32_e64 s1, s17, v5
	v_mad_u32_u24 v6, v5, 36, 0x840
	v_dual_lshlrev_b32 v12, 2, v4 :: v_dual_bitop2_b32 v13, v4, v5 bitop3:0x54
	v_mul_u32_u24_e32 v8, 36, v5
	v_mad_u32_u24 v9, v5, 36, 0x720
	s_cselect_b32 s31, -1, 0
	s_cmp_eq_u32 s30, 0
	v_add_nc_u32_e32 v7, v6, v12
	s_cselect_b32 vcc_lo, -1, 0
	s_and_b32 s33, s0, s1
	v_add3_u32 v8, v8, v12, 0x600
	v_add_nc_u32_e32 v12, v9, v12
	v_cmp_ne_u32_e64 s2, 0, v13
	v_mad_u32_u24 v13, v4, 36, 0x840
	v_dual_cndmask_b32 v14, v5, v4 :: v_dual_cndmask_b32 v15, v4, v5
	v_mov_b32_e32 v16, 0
	s_cmp_gt_i32 s17, 0
	s_mul_i32 s35, s17, s17
	s_cselect_b32 s34, -1, 0
	s_mov_b32 s20, s29
	s_branch .LBB16_17
.LBB16_15:                              ;   in Loop: Header=BB16_17 Depth=1
	s_wait_xcnt 0x0
	s_or_b32 exec_lo, exec_lo, s21
	s_add_co_i32 s20, s20, 1
	global_wb scope:SCOPE_DEV
	s_wait_storecnt 0x0
	global_inv scope:SCOPE_DEV
	s_cmp_ge_i32 s20, s28
	s_cselect_b32 s26, -1, 0
.LBB16_16:                              ;   in Loop: Header=BB16_17 Depth=1
	s_delay_alu instid0(SALU_CYCLE_1)
	s_and_b32 vcc_lo, exec_lo, s26
	s_cbranch_vccnz .LBB16_66
.LBB16_17:                              ; =>This Loop Header: Depth=1
                                        ;     Child Loop BB16_22 Depth 2
                                        ;     Child Loop BB16_33 Depth 2
	;; [unrolled: 1-line block ×4, first 2 shown]
                                        ;       Child Loop BB16_63 Depth 3
	s_ashr_i32 s21, s20, 31
	s_delay_alu instid0(SALU_CYCLE_1) | instskip(NEXT) | instid1(SALU_CYCLE_1)
	s_lshl_b64 s[22:23], s[20:21], 2
	s_add_nc_u64 s[22:23], s[14:15], s[22:23]
	s_load_b32 s21, s[22:23], 0x0
	s_wait_kmcnt 0x0
	s_sub_co_i32 s24, s21, s3
	s_delay_alu instid0(SALU_CYCLE_1) | instskip(SKIP_2) | instid1(SALU_CYCLE_1)
	s_ashr_i32 s25, s24, 31
	s_wait_xcnt 0x0
	s_lshl_b64 s[22:23], s[24:25], 2
	s_add_nc_u64 s[26:27], s[4:5], s[22:23]
	s_load_b32 s25, s[26:27], 0x0
	s_wait_xcnt 0x0
	s_mov_b32 s26, -1
	s_wait_kmcnt 0x0
	s_cmp_eq_u32 s25, -1
	s_cbranch_scc1 .LBB16_16
; %bb.18:                               ;   in Loop: Header=BB16_17 Depth=1
	v_mad_u32 v17, s20, s17, v15
	v_mov_b32_e32 v18, 0
	s_delay_alu instid0(VALU_DEP_2)
	v_mad_u32 v17, v17, s17, v14
	s_and_saveexec_b32 s26, s33
	s_cbranch_execz .LBB16_20
; %bb.19:                               ;   in Loop: Header=BB16_17 Depth=1
	global_load_b32 v18, v17, s[18:19] scale_offset
.LBB16_20:                              ;   in Loop: Header=BB16_17 Depth=1
	s_wait_xcnt 0x0
	s_or_b32 exec_lo, exec_lo, s26
	s_add_nc_u64 s[26:27], s[12:13], s[22:23]
	ds_load_b32 v19, v16 offset:1024
	s_load_b32 s26, s[26:27], 0x0
	s_wait_loadcnt 0x0
	ds_store_b32 v7, v18
	s_wait_dscnt 0x1
	v_cmp_ge_i32_e32 vcc_lo, s24, v19
	s_wait_kmcnt 0x0
	s_sub_co_i32 s26, s26, s3
	s_delay_alu instid0(SALU_CYCLE_1) | instskip(SKIP_1) | instid1(SALU_CYCLE_1)
	s_cmp_le_i32 s26, s25
	s_cselect_b32 s27, -1, 0
	s_and_b32 s27, s27, vcc_lo
	s_delay_alu instid0(SALU_CYCLE_1)
	s_and_not1_b32 vcc_lo, exec_lo, s27
	s_mov_b32 s27, 0
	s_cbranch_vccnz .LBB16_32
; %bb.21:                               ;   in Loop: Header=BB16_17 Depth=1
	s_mov_b32 s36, 0
	s_mov_b32 s37, 0
.LBB16_22:                              ;   Parent Loop BB16_17 Depth=1
                                        ; =>  This Inner Loop Header: Depth=2
	s_ashr_i32 s27, s26, 31
	s_lshl_b32 s40, s37, 2
	s_lshl_b64 s[38:39], s[26:27], 2
	v_mov_b32_e32 v18, s40
	s_add_nc_u64 s[38:39], s[14:15], s[38:39]
	s_mov_b32 s41, -1
	s_load_b32 s27, s[38:39], 0x0
                                        ; implicit-def: $sgpr40
                                        ; implicit-def: $sgpr39
	ds_load_b32 v18, v18 offset:1024
	s_wait_kmcnt 0x0
	s_sub_co_i32 s42, s27, s3
                                        ; implicit-def: $sgpr27
	s_wait_dscnt 0x0
	v_readfirstlane_b32 s38, v18
	v_cmp_ge_i32_e32 vcc_lo, s42, v18
	s_cbranch_vccz .LBB16_28
; %bb.23:                               ;   in Loop: Header=BB16_22 Depth=2
	s_cmp_le_i32 s42, s38
                                        ; implicit-def: $sgpr27
                                        ; implicit-def: $sgpr40
                                        ; implicit-def: $sgpr39
	s_cbranch_scc0 .LBB16_25
; %bb.24:                               ;   in Loop: Header=BB16_22 Depth=2
	s_add_co_i32 s27, s37, s29
	s_lshl_b32 s39, s36, 2
	s_mul_i32 s27, s27, s35
	s_delay_alu instid0(SALU_CYCLE_1)
	v_dual_mov_b32 v18, s39 :: v_dual_mov_b32 v19, s27
	s_mul_i32 s39, s26, s35
	s_add_co_i32 s40, s26, 1
	v_mov_b32_e32 v20, s39
	s_add_co_i32 s39, s37, 1
	s_add_co_i32 s27, s36, 1
	s_mov_b32 s41, 0
	ds_store_2addr_stride64_b32 v18, v20, v19 offset1:2
.LBB16_25:                              ;   in Loop: Header=BB16_22 Depth=2
	s_and_not1_b32 vcc_lo, exec_lo, s41
	s_cbranch_vccnz .LBB16_27
; %bb.26:                               ;   in Loop: Header=BB16_22 Depth=2
	s_add_co_i32 s39, s37, 1
	s_mov_b32 s27, s36
	s_mov_b32 s40, s26
.LBB16_27:                              ;   in Loop: Header=BB16_22 Depth=2
	s_mov_b32 s41, 0
.LBB16_28:                              ;   in Loop: Header=BB16_22 Depth=2
	s_delay_alu instid0(SALU_CYCLE_1)
	s_and_not1_b32 vcc_lo, exec_lo, s41
	s_cbranch_vccnz .LBB16_30
; %bb.29:                               ;   in Loop: Header=BB16_22 Depth=2
	s_add_co_i32 s40, s26, 1
	s_mov_b32 s39, s37
	s_mov_b32 s27, s36
.LBB16_30:                              ;   in Loop: Header=BB16_22 Depth=2
	s_cmp_le_i32 s40, s25
	s_cselect_b32 s26, -1, 0
	s_cmp_le_i32 s38, s24
	s_cselect_b32 s36, -1, 0
	s_delay_alu instid0(SALU_CYCLE_1) | instskip(NEXT) | instid1(SALU_CYCLE_1)
	s_and_b32 s26, s26, s36
	s_and_b32 vcc_lo, exec_lo, s26
	s_cbranch_vccz .LBB16_32
; %bb.31:                               ;   in Loop: Header=BB16_22 Depth=2
	s_mov_b32 s36, s27
	s_mov_b32 s26, s40
	;; [unrolled: 1-line block ×3, first 2 shown]
	s_branch .LBB16_22
.LBB16_32:                              ;   in Loop: Header=BB16_17 Depth=1
	s_add_nc_u64 s[22:23], s[6:7], s[22:23]
	s_wait_dscnt 0x0
.LBB16_33:                              ;   Parent Loop BB16_17 Depth=1
                                        ; =>  This Inner Loop Header: Depth=2
	global_load_b32 v18, v16, s[22:23] scope:SCOPE_DEV
	s_wait_loadcnt 0x0
	v_cmp_eq_u32_e32 vcc_lo, 0, v18
	s_cbranch_vccnz .LBB16_33
; %bb.34:                               ;   in Loop: Header=BB16_17 Depth=1
	v_dual_mov_b32 v23, 0 :: v_dual_mov_b32 v18, 0
	global_inv scope:SCOPE_DEV
	s_and_saveexec_b32 s22, s33
	s_cbranch_execz .LBB16_36
; %bb.35:                               ;   in Loop: Header=BB16_17 Depth=1
	v_mad_u32 v18, s25, s17, v15
	s_delay_alu instid0(VALU_DEP_1)
	v_mad_u32 v18, v18, s17, v14
	global_load_b32 v18, v18, s[18:19] scale_offset
.LBB16_36:                              ;   in Loop: Header=BB16_17 Depth=1
	s_wait_xcnt 0x0
	s_or_b32 exec_lo, exec_lo, s22
	s_cmp_lt_i32 s27, 2
	s_wait_loadcnt 0x0
	ds_store_b32 v8, v18
	s_wait_dscnt 0x0
	s_cbranch_scc1 .LBB16_55
; %bb.37:                               ;   in Loop: Header=BB16_17 Depth=1
	v_mov_b32_e32 v18, 0
	s_add_co_i32 s22, s27, -2
	s_mov_b32 s23, 0
	s_and_not1_b32 vcc_lo, exec_lo, s34
	s_cbranch_vccz .LBB16_40
	s_branch .LBB16_39
.LBB16_38:                              ;   in Loop: Header=BB16_17 Depth=1
	v_mov_b32_e32 v18, v23
	s_mov_b32 s23, s24
	s_and_not1_b32 vcc_lo, exec_lo, s34
	s_cbranch_vccz .LBB16_40
.LBB16_39:                              ;   in Loop: Header=BB16_17 Depth=1
	s_delay_alu instid0(VALU_DEP_1)
	v_mov_b32_e32 v23, v18
	s_branch .LBB16_54
.LBB16_40:                              ;   in Loop: Header=BB16_17 Depth=1
	s_lshl_b32 s24, s23, 2
	s_delay_alu instid0(SALU_CYCLE_1)
	v_mov_b32_e32 v19, s24
	s_mov_b32 s24, 0
	ds_load_2addr_stride64_b32 v[22:23], v19 offset1:2
	s_wait_dscnt 0x0
	v_dual_add_nc_u32 v19, v22, v10 :: v_dual_add_nc_u32 v21, v5, v23
	v_dual_add_nc_u32 v20, v23, v11 :: v_dual_add_nc_u32 v22, v4, v22
	s_and_b32 vcc_lo, exec_lo, s31
	s_mov_b32 s25, -1
                                        ; implicit-def: $vgpr23
	s_cbranch_vccz .LBB16_47
	s_branch .LBB16_42
.LBB16_41:                              ;   in Loop: Header=BB16_47 Depth=2
	v_mov_b32_e32 v18, v23
	s_and_b32 vcc_lo, exec_lo, s31
	s_mov_b32 s25, -1
                                        ; implicit-def: $vgpr23
	s_cbranch_vccz .LBB16_47
.LBB16_42:                              ;   in Loop: Header=BB16_17 Depth=1
	v_dual_mov_b32 v23, 0 :: v_dual_mov_b32 v24, 0
	s_and_saveexec_b32 s25, s0
	s_cbranch_execz .LBB16_44
; %bb.43:                               ;   in Loop: Header=BB16_17 Depth=1
	global_load_b32 v24, v22, s[18:19] scale_offset
.LBB16_44:                              ;   in Loop: Header=BB16_17 Depth=1
	s_wait_xcnt 0x0
	s_or_b32 exec_lo, exec_lo, s25
	s_and_saveexec_b32 s25, s1
	s_cbranch_execz .LBB16_46
; %bb.45:                               ;   in Loop: Header=BB16_17 Depth=1
	global_load_b32 v23, v21, s[18:19] scale_offset
.LBB16_46:                              ;   in Loop: Header=BB16_17 Depth=1
	s_wait_xcnt 0x0
	s_or_b32 exec_lo, exec_lo, s25
	s_wait_loadcnt 0x0
	v_fma_f32 v23, v24, v23, v18
	s_mov_b32 s25, 0
.LBB16_47:                              ;   Parent Loop BB16_17 Depth=1
                                        ; =>  This Inner Loop Header: Depth=2
	s_delay_alu instid0(SALU_CYCLE_1)
	s_and_b32 vcc_lo, exec_lo, s25
	s_cbranch_vccz .LBB16_53
; %bb.48:                               ;   in Loop: Header=BB16_47 Depth=2
	v_dual_mov_b32 v23, 0 :: v_dual_mov_b32 v24, 0
	s_and_saveexec_b32 s25, s0
	s_cbranch_execz .LBB16_50
; %bb.49:                               ;   in Loop: Header=BB16_47 Depth=2
	v_add_nc_u32_e32 v24, s24, v19
	global_load_b32 v24, v24, s[18:19] scale_offset
.LBB16_50:                              ;   in Loop: Header=BB16_47 Depth=2
	s_wait_xcnt 0x0
	s_or_b32 exec_lo, exec_lo, s25
	s_and_saveexec_b32 s25, s1
	s_cbranch_execz .LBB16_52
; %bb.51:                               ;   in Loop: Header=BB16_47 Depth=2
	v_add_nc_u32_e32 v23, s24, v20
	global_load_b32 v23, v23, s[18:19] scale_offset
.LBB16_52:                              ;   in Loop: Header=BB16_47 Depth=2
	s_wait_xcnt 0x0
	s_or_b32 exec_lo, exec_lo, s25
	s_wait_loadcnt 0x0
	v_fmac_f32_e32 v18, v24, v23
	s_delay_alu instid0(VALU_DEP_1)
	v_mov_b32_e32 v23, v18
.LBB16_53:                              ;   in Loop: Header=BB16_47 Depth=2
	v_dual_add_nc_u32 v21, s17, v21 :: v_dual_add_nc_u32 v22, s17, v22
	s_add_co_i32 s24, s24, 1
	s_delay_alu instid0(SALU_CYCLE_1)
	s_cmp_eq_u32 s17, s24
	s_cbranch_scc0 .LBB16_41
.LBB16_54:                              ;   in Loop: Header=BB16_17 Depth=1
	s_add_co_i32 s24, s23, 1
	s_cmp_eq_u32 s23, s22
	s_cbranch_scc0 .LBB16_38
.LBB16_55:                              ;   in Loop: Header=BB16_17 Depth=1
	s_and_not1_b32 vcc_lo, exec_lo, s34
	ds_store_b32 v12, v23
	s_wait_dscnt 0x0
	s_cbranch_vccnz .LBB16_64
; %bb.56:                               ;   in Loop: Header=BB16_17 Depth=1
	s_mov_b32 s22, 0
	s_movk_i32 s23, 0x600
	s_branch .LBB16_58
.LBB16_57:                              ;   in Loop: Header=BB16_58 Depth=2
	s_wait_dscnt 0x0
	s_delay_alu instid0(VALU_DEP_1) | instskip(SKIP_1) | instid1(VALU_DEP_1)
	v_sub_f32_e32 v19, v19, v21
	s_add_co_i32 s23, s23, 36
	v_div_scale_f32 v21, null, v20, v20, v19
	v_div_scale_f32 v24, vcc_lo, v19, v20, v19
	s_delay_alu instid0(VALU_DEP_2) | instskip(SKIP_1) | instid1(TRANS32_DEP_1)
	v_rcp_f32_e32 v22, v21
	v_nop
	v_fma_f32 v23, -v21, v22, 1.0
	s_delay_alu instid0(VALU_DEP_1) | instskip(NEXT) | instid1(VALU_DEP_1)
	v_fmac_f32_e32 v22, v23, v22
	v_mul_f32_e32 v23, v24, v22
	s_delay_alu instid0(VALU_DEP_1) | instskip(NEXT) | instid1(VALU_DEP_1)
	v_fma_f32 v25, -v21, v23, v24
	v_fmac_f32_e32 v23, v25, v22
	s_delay_alu instid0(VALU_DEP_1) | instskip(NEXT) | instid1(VALU_DEP_1)
	v_fma_f32 v21, -v21, v23, v24
	v_div_fmas_f32 v21, v21, v22, v23
	s_delay_alu instid0(VALU_DEP_1) | instskip(SKIP_2) | instid1(SALU_CYCLE_1)
	v_div_fixup_f32 v19, v21, v20, v19
	v_lshl_add_u32 v20, s22, 2, v13
	s_add_co_i32 s22, s22, 1
	s_cmp_eq_u32 s22, s17
	ds_store_b32 v18, v19
	s_wait_storecnt_dscnt 0x0
	ds_load_b32 v18, v20
	ds_load_b32 v20, v0
	s_wait_dscnt 0x0
	v_fmac_f32_e32 v20, v19, v18
	ds_store_b32 v0, v20
	s_wait_dscnt 0x0
	s_cbranch_scc1 .LBB16_64
.LBB16_58:                              ;   Parent Loop BB16_17 Depth=1
                                        ; =>  This Loop Header: Depth=2
                                        ;       Child Loop BB16_63 Depth 3
	s_lshl_b32 s24, s22, 2
	s_mul_i32 s25, s22, 36
	s_delay_alu instid0(SALU_CYCLE_1) | instskip(NEXT) | instid1(SALU_CYCLE_1)
	s_add_co_i32 s25, s25, s24
	v_mov_b32_e32 v18, s25
	ds_load_b32 v20, v18 offset:1536
	v_add_nc_u32_e32 v18, s24, v6
	ds_load_b32 v19, v18
	s_wait_dscnt 0x1
	v_readfirstlane_b32 s24, v20
	s_cmp_neq_f32 s24, 0
	s_cselect_b32 vcc_lo, -1, 0
	v_cndmask_b32_e32 v20, 1.0, v20, vcc_lo
	s_nor_b32 s25, vcc_lo, s2
	s_delay_alu instid0(SALU_CYCLE_1)
	s_and_saveexec_b32 s24, s25
	s_cbranch_execz .LBB16_62
; %bb.59:                               ;   in Loop: Header=BB16_58 Depth=2
	v_mbcnt_lo_u32_b32 v20, exec_lo, 0
	s_mov_b32 s25, exec_lo
	s_delay_alu instid0(VALU_DEP_1)
	v_cmpx_eq_u32_e32 0, v20
	s_cbranch_execz .LBB16_61
; %bb.60:                               ;   in Loop: Header=BB16_58 Depth=2
	v_mov_b32_e32 v20, s21
	global_atomic_min_i32 v16, v20, s[10:11] scope:SCOPE_DEV
.LBB16_61:                              ;   in Loop: Header=BB16_58 Depth=2
	s_wait_xcnt 0x0
	s_or_b32 exec_lo, exec_lo, s25
	v_mov_b32_e32 v20, 1.0
.LBB16_62:                              ;   in Loop: Header=BB16_58 Depth=2
	s_or_b32 exec_lo, exec_lo, s24
	v_lshl_add_u32 v21, s22, 2, v9
	v_mov_b32_e32 v22, v6
	s_cmp_eq_u32 s22, 0
	s_mov_b32 s24, s23
	s_mov_b32 s25, s22
	ds_load_b32 v21, v21
	s_cbranch_scc1 .LBB16_57
.LBB16_63:                              ;   Parent Loop BB16_17 Depth=1
                                        ;     Parent Loop BB16_58 Depth=2
                                        ; =>    This Inner Loop Header: Depth=3
	v_mov_b32_e32 v23, s24
	s_add_co_i32 s25, s25, -1
	s_add_co_i32 s24, s24, 4
	s_cmp_eq_u32 s25, 0
	ds_load_b32 v24, v22
	ds_load_b32 v23, v23
	s_wait_dscnt 0x0
	v_dual_fmac_f32 v21, v23, v24 :: v_dual_add_nc_u32 v22, 4, v22
	s_cbranch_scc0 .LBB16_63
	s_branch .LBB16_57
.LBB16_64:                              ;   in Loop: Header=BB16_17 Depth=1
	s_and_saveexec_b32 s21, s33
	s_cbranch_execz .LBB16_15
; %bb.65:                               ;   in Loop: Header=BB16_17 Depth=1
	ds_load_b32 v18, v7
	s_wait_dscnt 0x0
	global_store_b32 v17, v18, s[18:19] scale_offset
	s_branch .LBB16_15
.LBB16_66:
	s_wait_kmcnt 0x0
	s_cmp_eq_u32 s30, 0
	v_max_i32_e32 v8, v4, v5
	s_cselect_b32 vcc_lo, -1, 0
	v_dual_cndmask_b32 v6, v5, v4 :: v_dual_cndmask_b32 v7, v4, v5
	s_delay_alu instid0(VALU_DEP_2) | instskip(NEXT) | instid1(VALU_DEP_2)
	v_cmp_gt_i32_e64 s0, s17, v8
	v_mad_u32 v7, s28, s17, v7
	s_and_saveexec_b32 s1, s0
	s_cbranch_execz .LBB16_68
; %bb.67:
	s_delay_alu instid0(VALU_DEP_1)
	v_mad_u32 v3, v7, s17, v6
	global_load_b32 v3, v3, s[18:19] scale_offset
.LBB16_68:
	s_wait_xcnt 0x0
	s_or_b32 exec_lo, exec_lo, s1
	v_lshl_add_u32 v8, v4, 2, v2
	s_cmp_lt_i32 s17, 1
	s_wait_loadcnt 0x0
	ds_store_b32 v8, v3
	s_wait_dscnt 0x0
	s_cbranch_scc1 .LBB16_101
; %bb.69:
	v_dual_lshlrev_b32 v9, 2, v5 :: v_dual_bitop2_b32 v3, v4, v5 bitop3:0x54
	s_add_co_i32 s4, s16, s3
	s_cmp_eq_u32 s17, 1
	s_mov_b32 s5, 0
	s_delay_alu instid0(VALU_DEP_1)
	v_cmp_ne_u32_e64 s1, 0, v3
	v_dual_add_nc_u32 v3, v2, v9 :: v_dual_add_nc_u32 v9, v1, v9
	s_cbranch_scc1 .LBB16_91
; %bb.70:
	v_mad_u32_u24 v10, v4, 36, 0x840
	v_dual_mov_b32 v11, 0 :: v_dual_mov_b32 v12, v2
	s_and_b32 s5, s17, 0x7ffffffe
	s_movk_i32 s12, 0x840
	s_mov_b32 s2, 0
	s_branch .LBB16_72
.LBB16_71:                              ;   in Loop: Header=BB16_72 Depth=1
	s_or_b32 exec_lo, exec_lo, s2
	v_dual_add_nc_u32 v10, 8, v10 :: v_dual_add_nc_u32 v12, 8, v12
	s_add_co_i32 s2, s14, 1
	s_addk_co_i32 s12, 0x50
	s_cmp_eq_u32 s2, s5
	s_wait_storecnt_dscnt 0x0
	s_cbranch_scc1 .LBB16_90
.LBB16_72:                              ; =>This Inner Loop Header: Depth=1
	s_mov_b32 s13, s2
	s_mov_b32 s14, exec_lo
	v_cmpx_eq_u32_e64 s13, v5
	s_cbranch_execz .LBB16_74
; %bb.73:                               ;   in Loop: Header=BB16_72 Depth=1
	ds_load_b32 v13, v3
	ds_load_b32 v14, v9
	s_wait_dscnt 0x0
	v_sub_f32_e32 v13, v13, v14
	s_delay_alu instid0(VALU_DEP_1) | instskip(SKIP_1) | instid1(VALU_DEP_1)
	v_cmp_gt_f32_e32 vcc_lo, 0, v13
	v_cndmask_b32_e64 v13, v13, -v13, vcc_lo
	v_mul_f32_e32 v14, 0x4f800000, v13
	v_cmp_gt_f32_e32 vcc_lo, 0xf800000, v13
	s_delay_alu instid0(VALU_DEP_2) | instskip(NEXT) | instid1(VALU_DEP_1)
	v_cndmask_b32_e32 v13, v13, v14, vcc_lo
	v_sqrt_f32_e32 v14, v13
	v_nop
	s_delay_alu instid0(TRANS32_DEP_1) | instskip(NEXT) | instid1(VALU_DEP_1)
	v_dual_add_nc_u32 v15, -1, v14 :: v_dual_add_nc_u32 v16, 1, v14
	v_dual_fma_f32 v17, -v15, v14, v13 :: v_dual_fma_f32 v18, -v16, v14, v13
	s_delay_alu instid0(VALU_DEP_1) | instskip(NEXT) | instid1(VALU_DEP_1)
	v_cmp_ge_f32_e64 s2, 0, v17
	v_cndmask_b32_e64 v14, v14, v15, s2
	s_delay_alu instid0(VALU_DEP_3) | instskip(NEXT) | instid1(VALU_DEP_1)
	v_cmp_lt_f32_e64 s2, 0, v18
	v_cndmask_b32_e64 v14, v14, v16, s2
	s_delay_alu instid0(VALU_DEP_1) | instskip(NEXT) | instid1(VALU_DEP_1)
	v_mul_f32_e32 v15, 0x37800000, v14
	v_cndmask_b32_e32 v14, v14, v15, vcc_lo
	v_cmp_class_f32_e64 vcc_lo, v13, 0x260
	s_delay_alu instid0(VALU_DEP_2)
	v_cndmask_b32_e32 v13, v14, v13, vcc_lo
	ds_store_b32 v3, v13
.LBB16_74:                              ;   in Loop: Header=BB16_72 Depth=1
	s_or_b32 exec_lo, exec_lo, s14
	v_mov_b32_e32 v13, s12
	s_wait_dscnt 0x0
	ds_load_b32 v13, v13
	s_wait_dscnt 0x0
	v_readfirstlane_b32 s2, v13
	s_cmp_neq_f32 s2, 0
	s_cselect_b32 vcc_lo, -1, 0
	v_cndmask_b32_e32 v13, 1.0, v13, vcc_lo
	s_nor_b32 s14, vcc_lo, s1
	s_delay_alu instid0(SALU_CYCLE_1)
	s_and_saveexec_b32 s2, s14
	s_cbranch_execz .LBB16_78
; %bb.75:                               ;   in Loop: Header=BB16_72 Depth=1
	v_mbcnt_lo_u32_b32 v13, exec_lo, 0
	s_mov_b32 s14, exec_lo
	s_delay_alu instid0(VALU_DEP_1)
	v_cmpx_eq_u32_e32 0, v13
	s_cbranch_execz .LBB16_77
; %bb.76:                               ;   in Loop: Header=BB16_72 Depth=1
	v_mov_b32_e32 v13, s4
	global_atomic_min_i32 v11, v13, s[10:11] scope:SCOPE_DEV
.LBB16_77:                              ;   in Loop: Header=BB16_72 Depth=1
	s_wait_xcnt 0x0
	s_or_b32 exec_lo, exec_lo, s14
	v_mov_b32_e32 v13, 1.0
.LBB16_78:                              ;   in Loop: Header=BB16_72 Depth=1
	s_or_b32 exec_lo, exec_lo, s2
	s_delay_alu instid0(SALU_CYCLE_1)
	s_mov_b32 s2, exec_lo
	v_cmpx_lt_u32_e64 s13, v5
	s_cbranch_execz .LBB16_80
; %bb.79:                               ;   in Loop: Header=BB16_72 Depth=1
	ds_load_2addr_b32 v[14:15], v12 offset1:72
	s_wait_dscnt 0x0
	v_sub_f32_e32 v14, v14, v15
	s_delay_alu instid0(VALU_DEP_1) | instskip(NEXT) | instid1(VALU_DEP_1)
	v_div_scale_f32 v15, null, v13, v13, v14
	v_rcp_f32_e32 v16, v15
	v_nop
	s_delay_alu instid0(TRANS32_DEP_1) | instskip(NEXT) | instid1(VALU_DEP_1)
	v_fma_f32 v17, -v15, v16, 1.0
	v_fmac_f32_e32 v16, v17, v16
	v_div_scale_f32 v18, vcc_lo, v14, v13, v14
	s_delay_alu instid0(VALU_DEP_1) | instskip(NEXT) | instid1(VALU_DEP_1)
	v_mul_f32_e32 v17, v18, v16
	v_fma_f32 v19, -v15, v17, v18
	s_delay_alu instid0(VALU_DEP_1) | instskip(NEXT) | instid1(VALU_DEP_1)
	v_fmac_f32_e32 v17, v19, v16
	v_fma_f32 v15, -v15, v17, v18
	s_delay_alu instid0(VALU_DEP_1) | instskip(NEXT) | instid1(VALU_DEP_1)
	v_div_fmas_f32 v15, v15, v16, v17
	v_div_fixup_f32 v13, v15, v13, v14
	ds_store_b32 v12, v13
	s_wait_storecnt_dscnt 0x0
	ds_load_b32 v14, v10
	ds_load_b32 v15, v0
	s_wait_dscnt 0x0
	v_fmac_f32_e32 v15, v13, v14
	ds_store_b32 v0, v15
.LBB16_80:                              ;   in Loop: Header=BB16_72 Depth=1
	s_or_b32 exec_lo, exec_lo, s2
	s_add_co_i32 s14, s13, 1
	s_mov_b32 s15, exec_lo
	s_wait_storecnt_dscnt 0x0
	v_cmpx_eq_u32_e64 s14, v5
	s_cbranch_execz .LBB16_82
; %bb.81:                               ;   in Loop: Header=BB16_72 Depth=1
	ds_load_b32 v13, v3
	ds_load_b32 v14, v9
	s_wait_dscnt 0x0
	v_sub_f32_e32 v13, v13, v14
	s_delay_alu instid0(VALU_DEP_1) | instskip(SKIP_1) | instid1(VALU_DEP_1)
	v_cmp_gt_f32_e32 vcc_lo, 0, v13
	v_cndmask_b32_e64 v13, v13, -v13, vcc_lo
	v_mul_f32_e32 v14, 0x4f800000, v13
	v_cmp_gt_f32_e32 vcc_lo, 0xf800000, v13
	s_delay_alu instid0(VALU_DEP_2) | instskip(NEXT) | instid1(VALU_DEP_1)
	v_cndmask_b32_e32 v13, v13, v14, vcc_lo
	v_sqrt_f32_e32 v14, v13
	v_nop
	s_delay_alu instid0(TRANS32_DEP_1) | instskip(NEXT) | instid1(VALU_DEP_1)
	v_dual_add_nc_u32 v15, -1, v14 :: v_dual_add_nc_u32 v16, 1, v14
	v_dual_fma_f32 v17, -v15, v14, v13 :: v_dual_fma_f32 v18, -v16, v14, v13
	s_delay_alu instid0(VALU_DEP_1) | instskip(NEXT) | instid1(VALU_DEP_1)
	v_cmp_ge_f32_e64 s2, 0, v17
	v_cndmask_b32_e64 v14, v14, v15, s2
	s_delay_alu instid0(VALU_DEP_3) | instskip(NEXT) | instid1(VALU_DEP_1)
	v_cmp_lt_f32_e64 s2, 0, v18
	v_cndmask_b32_e64 v14, v14, v16, s2
	s_delay_alu instid0(VALU_DEP_1) | instskip(NEXT) | instid1(VALU_DEP_1)
	v_mul_f32_e32 v15, 0x37800000, v14
	v_cndmask_b32_e32 v14, v14, v15, vcc_lo
	v_cmp_class_f32_e64 vcc_lo, v13, 0x260
	s_delay_alu instid0(VALU_DEP_2)
	v_cndmask_b32_e32 v13, v14, v13, vcc_lo
	ds_store_b32 v3, v13
.LBB16_82:                              ;   in Loop: Header=BB16_72 Depth=1
	s_or_b32 exec_lo, exec_lo, s15
	v_mov_b32_e32 v13, s12
	s_wait_dscnt 0x0
	ds_load_b32 v13, v13 offset:40
	s_wait_dscnt 0x0
	v_readfirstlane_b32 s2, v13
	s_cmp_neq_f32 s2, 0
	s_cselect_b32 vcc_lo, -1, 0
	v_cndmask_b32_e32 v13, 1.0, v13, vcc_lo
	s_nor_b32 s15, vcc_lo, s1
	s_delay_alu instid0(SALU_CYCLE_1)
	s_and_saveexec_b32 s2, s15
	s_cbranch_execz .LBB16_86
; %bb.83:                               ;   in Loop: Header=BB16_72 Depth=1
	v_mbcnt_lo_u32_b32 v13, exec_lo, 0
	s_mov_b32 s15, exec_lo
	s_delay_alu instid0(VALU_DEP_1)
	v_cmpx_eq_u32_e32 0, v13
	s_cbranch_execz .LBB16_85
; %bb.84:                               ;   in Loop: Header=BB16_72 Depth=1
	v_mov_b32_e32 v13, s4
	global_atomic_min_i32 v11, v13, s[10:11] scope:SCOPE_DEV
.LBB16_85:                              ;   in Loop: Header=BB16_72 Depth=1
	s_wait_xcnt 0x0
	s_or_b32 exec_lo, exec_lo, s15
	v_mov_b32_e32 v13, 1.0
.LBB16_86:                              ;   in Loop: Header=BB16_72 Depth=1
	s_or_b32 exec_lo, exec_lo, s2
	s_delay_alu instid0(SALU_CYCLE_1)
	s_mov_b32 s2, exec_lo
	v_cmpx_lt_u32_e64 s14, v5
	s_cbranch_execz .LBB16_71
; %bb.87:                               ;   in Loop: Header=BB16_72 Depth=1
	ds_load_2addr_b32 v[14:15], v12 offset0:1 offset1:73
	s_wait_dscnt 0x0
	v_sub_f32_e32 v14, v14, v15
	s_delay_alu instid0(VALU_DEP_1) | instskip(NEXT) | instid1(VALU_DEP_1)
	v_div_scale_f32 v15, null, v13, v13, v14
	v_rcp_f32_e32 v16, v15
	v_nop
	s_delay_alu instid0(TRANS32_DEP_1) | instskip(NEXT) | instid1(VALU_DEP_1)
	v_fma_f32 v17, -v15, v16, 1.0
	v_fmac_f32_e32 v16, v17, v16
	v_div_scale_f32 v18, vcc_lo, v14, v13, v14
	s_delay_alu instid0(VALU_DEP_1) | instskip(NEXT) | instid1(VALU_DEP_1)
	v_mul_f32_e32 v17, v18, v16
	v_fma_f32 v19, -v15, v17, v18
	s_delay_alu instid0(VALU_DEP_1) | instskip(NEXT) | instid1(VALU_DEP_1)
	v_fmac_f32_e32 v17, v19, v16
	v_fma_f32 v15, -v15, v17, v18
	s_delay_alu instid0(VALU_DEP_1) | instskip(NEXT) | instid1(VALU_DEP_1)
	v_div_fmas_f32 v15, v15, v16, v17
	v_div_fixup_f32 v13, v15, v13, v14
	ds_store_b32 v12, v13 offset:4
	s_wait_storecnt_dscnt 0x0
	ds_load_b32 v14, v10 offset:4
	ds_load_b32 v15, v0
	s_wait_dscnt 0x0
	v_fmac_f32_e32 v15, v13, v14
	ds_store_b32 v0, v15
	s_branch .LBB16_71
.LBB16_88:
	s_cbranch_execnz .LBB16_106
.LBB16_89:
	s_endpgm
.LBB16_90:
	s_add_co_i32 s5, s13, 2
.LBB16_91:
	s_bitcmp0_b32 s17, 0
	s_cbranch_scc1 .LBB16_101
; %bb.92:
	s_mov_b32 s12, exec_lo
	v_cmpx_eq_u32_e64 s5, v5
	s_cbranch_execz .LBB16_94
; %bb.93:
	ds_load_b32 v10, v3
	ds_load_b32 v9, v9
	s_wait_dscnt 0x0
	v_sub_f32_e32 v9, v10, v9
	s_delay_alu instid0(VALU_DEP_1) | instskip(SKIP_1) | instid1(VALU_DEP_1)
	v_cmp_gt_f32_e32 vcc_lo, 0, v9
	v_cndmask_b32_e64 v9, v9, -v9, vcc_lo
	v_mul_f32_e32 v10, 0x4f800000, v9
	v_cmp_gt_f32_e32 vcc_lo, 0xf800000, v9
	s_delay_alu instid0(VALU_DEP_2) | instskip(NEXT) | instid1(VALU_DEP_1)
	v_cndmask_b32_e32 v9, v9, v10, vcc_lo
	v_sqrt_f32_e32 v10, v9
	v_nop
	s_delay_alu instid0(TRANS32_DEP_1) | instskip(NEXT) | instid1(VALU_DEP_1)
	v_dual_add_nc_u32 v11, -1, v10 :: v_dual_add_nc_u32 v12, 1, v10
	v_dual_fma_f32 v13, -v11, v10, v9 :: v_dual_fma_f32 v14, -v12, v10, v9
	s_delay_alu instid0(VALU_DEP_1) | instskip(NEXT) | instid1(VALU_DEP_1)
	v_cmp_ge_f32_e64 s2, 0, v13
	v_cndmask_b32_e64 v10, v10, v11, s2
	s_delay_alu instid0(VALU_DEP_3) | instskip(NEXT) | instid1(VALU_DEP_1)
	v_cmp_lt_f32_e64 s2, 0, v14
	v_cndmask_b32_e64 v10, v10, v12, s2
	s_delay_alu instid0(VALU_DEP_1) | instskip(NEXT) | instid1(VALU_DEP_1)
	v_mul_f32_e32 v11, 0x37800000, v10
	v_cndmask_b32_e32 v10, v10, v11, vcc_lo
	v_cmp_class_f32_e64 vcc_lo, v9, 0x260
	s_delay_alu instid0(VALU_DEP_2)
	v_cndmask_b32_e32 v9, v10, v9, vcc_lo
	ds_store_b32 v3, v9
.LBB16_94:
	s_or_b32 exec_lo, exec_lo, s12
	s_mul_i32 s12, s5, 36
	s_lshl_b32 s2, s5, 2
	s_wait_dscnt 0x0
	s_add_co_i32 s12, s12, s2
	s_delay_alu instid0(SALU_CYCLE_1)
	v_mov_b32_e32 v3, s12
	ds_load_b32 v3, v3 offset:2112
	s_wait_dscnt 0x0
	v_readfirstlane_b32 s12, v3
	s_cmp_neq_f32 s12, 0
	s_cselect_b32 vcc_lo, -1, 0
	v_cndmask_b32_e32 v3, 1.0, v3, vcc_lo
	s_nor_b32 s12, vcc_lo, s1
	s_delay_alu instid0(SALU_CYCLE_1)
	s_and_saveexec_b32 s1, s12
	s_cbranch_execz .LBB16_98
; %bb.95:
	v_mbcnt_lo_u32_b32 v3, exec_lo, 0
	s_mov_b32 s12, exec_lo
	s_delay_alu instid0(VALU_DEP_1)
	v_cmpx_eq_u32_e32 0, v3
	s_cbranch_execz .LBB16_97
; %bb.96:
	v_dual_mov_b32 v3, 0 :: v_dual_mov_b32 v9, s4
	global_atomic_min_i32 v3, v9, s[10:11] scope:SCOPE_DEV
.LBB16_97:
	s_wait_xcnt 0x0
	s_or_b32 exec_lo, exec_lo, s12
	v_mov_b32_e32 v3, 1.0
.LBB16_98:
	s_or_b32 exec_lo, exec_lo, s1
	s_delay_alu instid0(SALU_CYCLE_1)
	s_mov_b32 s1, exec_lo
	v_cmpx_lt_u32_e64 s5, v5
	s_cbranch_execz .LBB16_100
; %bb.99:
	v_dual_add_nc_u32 v2, s2, v2 :: v_dual_add_nc_u32 v1, s2, v1
	ds_load_b32 v9, v2
	ds_load_b32 v1, v1
	s_wait_dscnt 0x0
	v_sub_f32_e32 v1, v9, v1
	s_delay_alu instid0(VALU_DEP_1) | instskip(NEXT) | instid1(VALU_DEP_1)
	v_div_scale_f32 v9, null, v3, v3, v1
	v_rcp_f32_e32 v10, v9
	v_nop
	s_delay_alu instid0(TRANS32_DEP_1) | instskip(NEXT) | instid1(VALU_DEP_1)
	v_fma_f32 v11, -v9, v10, 1.0
	v_fmac_f32_e32 v10, v11, v10
	v_div_scale_f32 v12, vcc_lo, v1, v3, v1
	s_delay_alu instid0(VALU_DEP_1) | instskip(NEXT) | instid1(VALU_DEP_1)
	v_mul_f32_e32 v11, v12, v10
	v_fma_f32 v13, -v9, v11, v12
	s_delay_alu instid0(VALU_DEP_1) | instskip(NEXT) | instid1(VALU_DEP_1)
	v_fmac_f32_e32 v11, v13, v10
	v_fma_f32 v9, -v9, v11, v12
	s_delay_alu instid0(VALU_DEP_1) | instskip(NEXT) | instid1(VALU_DEP_1)
	v_div_fmas_f32 v9, v9, v10, v11
	v_div_fixup_f32 v1, v9, v3, v1
	v_mad_u32_u24 v3, v4, 36, s2
	ds_store_b32 v2, v1
	s_wait_storecnt_dscnt 0x0
	ds_load_b32 v2, v3 offset:2112
	ds_load_b32 v3, v0
	s_wait_dscnt 0x0
	v_fmac_f32_e32 v3, v1, v2
	ds_store_b32 v0, v3
.LBB16_100:
	s_or_b32 exec_lo, exec_lo, s1
	s_wait_storecnt_dscnt 0x0
.LBB16_101:
	s_and_saveexec_b32 s1, s0
	s_cbranch_execz .LBB16_103
; %bb.102:
	ds_load_b32 v0, v8
	v_mad_u32 v1, v7, s17, v6
	s_wait_dscnt 0x0
	global_store_b32 v1, v0, s[18:19] scale_offset
.LBB16_103:
	s_wait_xcnt 0x0
	s_or_b32 exec_lo, exec_lo, s1
	v_or_b32_e32 v0, v4, v5
	s_mov_b32 s0, 0
	s_mov_b32 s1, exec_lo
	s_delay_alu instid0(VALU_DEP_1)
	v_cmpx_eq_u32_e32 0, v0
	s_cbranch_execz .LBB16_105
; %bb.104:
	v_dual_mov_b32 v0, 0 :: v_dual_mov_b32 v1, 1
	s_add_nc_u64 s[4:5], s[6:7], s[8:9]
	global_wb scope:SCOPE_DEV
	s_wait_storecnt 0x0
	global_store_b32 v0, v1, s[4:5] scope:SCOPE_DEV
.LBB16_105:
	s_wait_xcnt 0x0
	s_or_b32 exec_lo, exec_lo, s1
	s_delay_alu instid0(SALU_CYCLE_1)
	s_and_b32 vcc_lo, exec_lo, s0
	s_cbranch_vccz .LBB16_89
.LBB16_106:
	v_or_b32_e32 v0, v4, v5
	s_mov_b32 s0, exec_lo
	s_delay_alu instid0(VALU_DEP_1)
	v_cmpx_eq_u32_e32 0, v0
	s_cbranch_execz .LBB16_89
; %bb.107:
	v_mbcnt_lo_u32_b32 v0, exec_lo, 0
	s_mov_b32 s0, exec_lo
	s_delay_alu instid0(VALU_DEP_1)
	v_cmpx_eq_u32_e32 0, v0
	s_cbranch_execz .LBB16_109
; %bb.108:
	s_add_co_i32 s1, s16, s3
	s_delay_alu instid0(SALU_CYCLE_1)
	v_dual_mov_b32 v0, 0 :: v_dual_mov_b32 v1, s1
	global_atomic_min_i32 v0, v1, s[10:11] scope:SCOPE_DEV
.LBB16_109:
	s_wait_xcnt 0x0
	s_or_b32 exec_lo, exec_lo, s0
	v_dual_mov_b32 v0, 0 :: v_dual_mov_b32 v1, 1
	s_add_nc_u64 s[0:1], s[6:7], s[8:9]
	global_wb scope:SCOPE_DEV
	s_wait_storecnt 0x0
	global_store_b32 v0, v1, s[0:1] scope:SCOPE_DEV
	s_endpgm
	.section	.rodata,"a",@progbits
	.p2align	6, 0x0
	.amdhsa_kernel _ZN9rocsparseL17bsric0_2_8_kernelILi64ELi128ELi8EfEEv20rocsparse_direction_iiPKiS3_PT2_S3_PiS3_S6_21rocsparse_index_base_
		.amdhsa_group_segment_fixed_size 2688
		.amdhsa_private_segment_fixed_size 0
		.amdhsa_kernarg_size 76
		.amdhsa_user_sgpr_count 2
		.amdhsa_user_sgpr_dispatch_ptr 0
		.amdhsa_user_sgpr_queue_ptr 0
		.amdhsa_user_sgpr_kernarg_segment_ptr 1
		.amdhsa_user_sgpr_dispatch_id 0
		.amdhsa_user_sgpr_kernarg_preload_length 0
		.amdhsa_user_sgpr_kernarg_preload_offset 0
		.amdhsa_user_sgpr_private_segment_size 0
		.amdhsa_wavefront_size32 1
		.amdhsa_uses_dynamic_stack 0
		.amdhsa_enable_private_segment 0
		.amdhsa_system_sgpr_workgroup_id_x 1
		.amdhsa_system_sgpr_workgroup_id_y 0
		.amdhsa_system_sgpr_workgroup_id_z 0
		.amdhsa_system_sgpr_workgroup_info 0
		.amdhsa_system_vgpr_workitem_id 1
		.amdhsa_next_free_vgpr 40
		.amdhsa_next_free_sgpr 43
		.amdhsa_named_barrier_count 0
		.amdhsa_reserve_vcc 1
		.amdhsa_float_round_mode_32 0
		.amdhsa_float_round_mode_16_64 0
		.amdhsa_float_denorm_mode_32 3
		.amdhsa_float_denorm_mode_16_64 3
		.amdhsa_fp16_overflow 0
		.amdhsa_memory_ordered 1
		.amdhsa_forward_progress 1
		.amdhsa_inst_pref_size 41
		.amdhsa_round_robin_scheduling 0
		.amdhsa_exception_fp_ieee_invalid_op 0
		.amdhsa_exception_fp_denorm_src 0
		.amdhsa_exception_fp_ieee_div_zero 0
		.amdhsa_exception_fp_ieee_overflow 0
		.amdhsa_exception_fp_ieee_underflow 0
		.amdhsa_exception_fp_ieee_inexact 0
		.amdhsa_exception_int_div_zero 0
	.end_amdhsa_kernel
	.section	.text._ZN9rocsparseL17bsric0_2_8_kernelILi64ELi128ELi8EfEEv20rocsparse_direction_iiPKiS3_PT2_S3_PiS3_S6_21rocsparse_index_base_,"axG",@progbits,_ZN9rocsparseL17bsric0_2_8_kernelILi64ELi128ELi8EfEEv20rocsparse_direction_iiPKiS3_PT2_S3_PiS3_S6_21rocsparse_index_base_,comdat
.Lfunc_end16:
	.size	_ZN9rocsparseL17bsric0_2_8_kernelILi64ELi128ELi8EfEEv20rocsparse_direction_iiPKiS3_PT2_S3_PiS3_S6_21rocsparse_index_base_, .Lfunc_end16-_ZN9rocsparseL17bsric0_2_8_kernelILi64ELi128ELi8EfEEv20rocsparse_direction_iiPKiS3_PT2_S3_PiS3_S6_21rocsparse_index_base_
                                        ; -- End function
	.set _ZN9rocsparseL17bsric0_2_8_kernelILi64ELi128ELi8EfEEv20rocsparse_direction_iiPKiS3_PT2_S3_PiS3_S6_21rocsparse_index_base_.num_vgpr, 40
	.set _ZN9rocsparseL17bsric0_2_8_kernelILi64ELi128ELi8EfEEv20rocsparse_direction_iiPKiS3_PT2_S3_PiS3_S6_21rocsparse_index_base_.num_agpr, 0
	.set _ZN9rocsparseL17bsric0_2_8_kernelILi64ELi128ELi8EfEEv20rocsparse_direction_iiPKiS3_PT2_S3_PiS3_S6_21rocsparse_index_base_.numbered_sgpr, 43
	.set _ZN9rocsparseL17bsric0_2_8_kernelILi64ELi128ELi8EfEEv20rocsparse_direction_iiPKiS3_PT2_S3_PiS3_S6_21rocsparse_index_base_.num_named_barrier, 0
	.set _ZN9rocsparseL17bsric0_2_8_kernelILi64ELi128ELi8EfEEv20rocsparse_direction_iiPKiS3_PT2_S3_PiS3_S6_21rocsparse_index_base_.private_seg_size, 0
	.set _ZN9rocsparseL17bsric0_2_8_kernelILi64ELi128ELi8EfEEv20rocsparse_direction_iiPKiS3_PT2_S3_PiS3_S6_21rocsparse_index_base_.uses_vcc, 1
	.set _ZN9rocsparseL17bsric0_2_8_kernelILi64ELi128ELi8EfEEv20rocsparse_direction_iiPKiS3_PT2_S3_PiS3_S6_21rocsparse_index_base_.uses_flat_scratch, 0
	.set _ZN9rocsparseL17bsric0_2_8_kernelILi64ELi128ELi8EfEEv20rocsparse_direction_iiPKiS3_PT2_S3_PiS3_S6_21rocsparse_index_base_.has_dyn_sized_stack, 0
	.set _ZN9rocsparseL17bsric0_2_8_kernelILi64ELi128ELi8EfEEv20rocsparse_direction_iiPKiS3_PT2_S3_PiS3_S6_21rocsparse_index_base_.has_recursion, 0
	.set _ZN9rocsparseL17bsric0_2_8_kernelILi64ELi128ELi8EfEEv20rocsparse_direction_iiPKiS3_PT2_S3_PiS3_S6_21rocsparse_index_base_.has_indirect_call, 0
	.section	.AMDGPU.csdata,"",@progbits
; Kernel info:
; codeLenInByte = 5192
; TotalNumSgprs: 45
; NumVgprs: 40
; ScratchSize: 0
; MemoryBound: 0
; FloatMode: 240
; IeeeMode: 1
; LDSByteSize: 2688 bytes/workgroup (compile time only)
; SGPRBlocks: 0
; VGPRBlocks: 2
; NumSGPRsForWavesPerEU: 45
; NumVGPRsForWavesPerEU: 40
; NamedBarCnt: 0
; Occupancy: 16
; WaveLimiterHint : 1
; COMPUTE_PGM_RSRC2:SCRATCH_EN: 0
; COMPUTE_PGM_RSRC2:USER_SGPR: 2
; COMPUTE_PGM_RSRC2:TRAP_HANDLER: 0
; COMPUTE_PGM_RSRC2:TGID_X_EN: 1
; COMPUTE_PGM_RSRC2:TGID_Y_EN: 0
; COMPUTE_PGM_RSRC2:TGID_Z_EN: 0
; COMPUTE_PGM_RSRC2:TIDIG_COMP_CNT: 1
	.section	.text._ZN9rocsparseL18bsric0_9_16_kernelILi64ELi128ELi16EfEEv20rocsparse_direction_iiPKiS3_PT2_S3_PiS3_S6_21rocsparse_index_base_,"axG",@progbits,_ZN9rocsparseL18bsric0_9_16_kernelILi64ELi128ELi16EfEEv20rocsparse_direction_iiPKiS3_PT2_S3_PiS3_S6_21rocsparse_index_base_,comdat
	.globl	_ZN9rocsparseL18bsric0_9_16_kernelILi64ELi128ELi16EfEEv20rocsparse_direction_iiPKiS3_PT2_S3_PiS3_S6_21rocsparse_index_base_ ; -- Begin function _ZN9rocsparseL18bsric0_9_16_kernelILi64ELi128ELi16EfEEv20rocsparse_direction_iiPKiS3_PT2_S3_PiS3_S6_21rocsparse_index_base_
	.p2align	8
	.type	_ZN9rocsparseL18bsric0_9_16_kernelILi64ELi128ELi16EfEEv20rocsparse_direction_iiPKiS3_PT2_S3_PiS3_S6_21rocsparse_index_base_,@function
_ZN9rocsparseL18bsric0_9_16_kernelILi64ELi128ELi16EfEEv20rocsparse_direction_iiPKiS3_PT2_S3_PiS3_S6_21rocsparse_index_base_: ; @_ZN9rocsparseL18bsric0_9_16_kernelILi64ELi128ELi16EfEEv20rocsparse_direction_iiPKiS3_PT2_S3_PiS3_S6_21rocsparse_index_base_
; %bb.0:
	s_load_b256 s[8:15], s[0:1], 0x28
	s_bfe_u32 s2, ttmp6, 0x4000c
	s_and_b32 s3, ttmp6, 15
	s_add_co_i32 s2, s2, 1
	s_getreg_b32 s4, hwreg(HW_REG_IB_STS2, 6, 4)
	s_mul_i32 s2, ttmp9, s2
	v_and_b32_e32 v2, 0x3ff, v0
	s_add_co_i32 s3, s3, s2
	s_cmp_eq_u32 s4, 0
	v_bfe_u32 v3, v0, 10, 10
	s_cselect_b32 s2, ttmp9, s3
	s_wait_kmcnt 0x0
	s_load_b32 s12, s[12:13], s2 offset:0x0 scale_offset
	s_wait_kmcnt 0x0
	s_ashr_i32 s13, s12, 31
	s_delay_alu instid0(SALU_CYCLE_1) | instskip(NEXT) | instid1(SALU_CYCLE_1)
	s_lshl_b64 s[6:7], s[12:13], 2
	s_add_nc_u64 s[2:3], s[8:9], s[6:7]
	s_load_b32 s30, s[2:3], 0x0
	s_load_b32 s13, s[0:1], 0x48
	s_wait_kmcnt 0x0
	s_cmp_lg_u32 s30, -1
	s_cbranch_scc0 .LBB17_146
; %bb.1:
	s_clause 0x1
	s_load_b128 s[16:19], s[0:1], 0x10
	s_load_b64 s[20:21], s[0:1], 0x20
	v_dual_lshlrev_b32 v7, 2, v3 :: v_dual_lshlrev_b32 v4, 2, v2
	s_wait_kmcnt 0x0
	s_add_nc_u64 s[2:3], s[16:17], s[6:7]
	s_load_b32 s2, s[2:3], 0x0
	s_wait_kmcnt 0x0
	s_sub_co_i32 s33, s2, s13
	s_mov_b32 s2, exec_lo
	v_add3_u32 v0, v7, v2, s33
	s_delay_alu instid0(VALU_DEP_1)
	v_cmpx_ge_i32_e64 s30, v0
	s_cbranch_execz .LBB17_4
; %bb.2:
	v_dual_lshlrev_b32 v1, 4, v3 :: v_dual_lshlrev_b32 v5, 2, v2
	s_mov_b32 s3, 0
	s_delay_alu instid0(VALU_DEP_1)
	v_add3_u32 v1, v1, v5, 0x1500
.LBB17_3:                               ; =>This Inner Loop Header: Depth=1
	global_load_b32 v5, v0, s[18:19] scale_offset
	s_wait_xcnt 0x0
	v_add_nc_u32_e32 v0, 64, v0
	s_delay_alu instid0(VALU_DEP_1)
	v_cmp_lt_i32_e32 vcc_lo, s30, v0
	s_or_b32 s3, vcc_lo, s3
	s_wait_loadcnt 0x0
	v_subrev_nc_u32_e32 v5, s13, v5
	ds_store_b32 v1, v5
	v_add_nc_u32_e32 v1, 0x100, v1
	s_and_not1_b32 exec_lo, exec_lo, s3
	s_cbranch_execnz .LBB17_3
.LBB17_4:
	s_or_b32 exec_lo, exec_lo, s2
	v_mul_u32_u24_e32 v5, 0x44, v3
	s_mov_b32 s3, exec_lo
	v_cmpx_gt_u32_e32 16, v2
	s_cbranch_execz .LBB17_11
; %bb.5:
	v_sub_nc_u32_e64 v0, 12, v2 clamp
	s_mov_b32 s22, 0
	s_mov_b32 s4, 0
	v_dual_lshlrev_b32 v1, 2, v2 :: v_dual_mov_b32 v9, 0
	s_delay_alu instid0(VALU_DEP_2) | instskip(NEXT) | instid1(VALU_DEP_2)
	v_add_nc_u32_e32 v0, 3, v0
	v_add3_u32 v6, v5, v1, 0xcc0
	s_delay_alu instid0(VALU_DEP_2) | instskip(NEXT) | instid1(VALU_DEP_1)
	v_lshrrev_b32_e32 v0, 2, v0
	v_dual_mov_b32 v1, v0 :: v_dual_add_nc_u32 v8, 2, v0
	s_delay_alu instid0(VALU_DEP_1)
	v_and_b32_e32 v8, 14, v8
	s_branch .LBB17_7
.LBB17_6:                               ;   in Loop: Header=BB17_7 Depth=1
	s_or_b32 exec_lo, exec_lo, s2
	s_add_co_i32 s4, s4, 2
	v_add_nc_u32_e32 v6, 32, v6
	v_cmp_eq_u32_e32 vcc_lo, s4, v8
	s_or_b32 s22, vcc_lo, s22
	s_delay_alu instid0(SALU_CYCLE_1)
	s_and_not1_b32 exec_lo, exec_lo, s22
	s_cbranch_execz .LBB17_11
.LBB17_7:                               ; =>This Inner Loop Header: Depth=1
	s_mov_b32 s5, s4
	s_delay_alu instid0(SALU_CYCLE_1)
	s_or_b64 s[24:25], s[4:5], 0x100000000
	s_mov_b32 s5, exec_lo
	v_cmp_le_u32_e32 vcc_lo, s25, v1
	v_cmpx_le_u32_e64 s24, v0
; %bb.8:                                ;   in Loop: Header=BB17_7 Depth=1
	ds_store_b32 v6, v9
; %bb.9:                                ;   in Loop: Header=BB17_7 Depth=1
	s_or_b32 exec_lo, exec_lo, s5
	s_and_saveexec_b32 s2, vcc_lo
	s_cbranch_execz .LBB17_6
; %bb.10:                               ;   in Loop: Header=BB17_7 Depth=1
	ds_store_b32 v6, v9 offset:16
	s_branch .LBB17_6
.LBB17_11:
	s_or_b32 exec_lo, exec_lo, s3
	s_clause 0x1
	s_load_b32 s5, s[0:1], 0x8
	s_load_b32 s31, s[0:1], 0x0
	v_mul_u32_u24_e32 v6, 0x44, v2
	s_cmp_ge_i32 s33, s30
	s_wait_dscnt 0x0
	s_wait_kmcnt 0x0
	v_cmp_gt_i32_e64 s0, s5, v2
	v_xad_u32 v8, v2, -1, s5
	s_cbranch_scc1 .LBB17_100
; %bb.12:
	s_delay_alu instid0(VALU_DEP_1) | instskip(SKIP_3) | instid1(VALU_DEP_3)
	v_dual_lshrrev_b32 v0, 2, v8 :: v_dual_lshlrev_b32 v11, 2, v2
	v_mad_u32 v1, s5, s33, v3
	s_movk_i32 s2, 0x440
	v_mul_lo_u32 v12, s5, v3
	v_dual_add_nc_u32 v0, 1, v0 :: v_dual_bitop2_b32 v15, v2, v3 bitop3:0x54
	v_mad_u32_u24 v10, 0x44, v3, s2
	v_mul_lo_u32 v17, v2, s5
	v_mad_u32_u24 v14, 0x44, v3, v11
	s_delay_alu instid0(VALU_DEP_4)
	v_and_b32_e32 v13, 0x7ffffffc, v0
	v_cmp_ne_u32_e64 s2, 0, v15
	s_movk_i32 s22, 0x44
	v_mul_lo_u32 v20, s5, v1
	v_mad_u32_u24 v9, v3, s22, 0x880
	v_lshl_add_u32 v15, v13, 2, v2
	v_mad_u32_u24 v19, v2, s22, 0x880
	s_movk_i32 s22, 0xcc0
	s_cmp_lg_u32 s31, 0
	v_cmp_gt_i32_e64 s1, s5, v3
	v_mul_lo_u32 v22, 0x44, v15
	v_cmp_lt_u32_e64 s3, 11, v8
	v_cmp_ne_u32_e64 s4, v0, v13
	v_dual_mov_b32 v25, 0 :: v_dual_add_nc_u32 v16, 0x440, v14
	v_mul_u32_u24_e32 v18, 0x44, v2
	v_add_nc_u32_e32 v21, 0xcc0, v14
	v_mad_u32_u24 v23, 0x44, v3, s22
	v_add_nc_u32_e32 v24, 0x880, v14
	v_lshlrev_b32_e32 v26, 2, v15
	s_cselect_b32 s34, -1, 0
	s_cmp_gt_i32 s5, 0
	s_mul_i32 s36, s5, s5
	s_cselect_b32 s35, -1, 0
	s_lshl_b32 s37, s5, 2
	s_mov_b32 s22, s33
	s_branch .LBB17_14
.LBB17_13:                              ;   in Loop: Header=BB17_14 Depth=1
	s_or_b32 exec_lo, exec_lo, s24
	s_add_co_i32 s22, s22, 1
	v_add_nc_u32_e32 v20, s36, v20
	s_cmp_ge_i32 s22, s30
	global_wb scope:SCOPE_DEV
	s_wait_storecnt 0x0
	global_inv scope:SCOPE_DEV
	s_cselect_b32 s23, -1, 0
	s_delay_alu instid0(SALU_CYCLE_1)
	s_and_b32 vcc_lo, exec_lo, s23
	s_cbranch_vccnz .LBB17_100
.LBB17_14:                              ; =>This Loop Header: Depth=1
                                        ;     Child Loop BB17_18 Depth 2
                                        ;     Child Loop BB17_30 Depth 2
	;; [unrolled: 1-line block ×5, first 2 shown]
                                        ;       Child Loop BB17_60 Depth 3
                                        ;     Child Loop BB17_74 Depth 2
                                        ;       Child Loop BB17_79 Depth 3
                                        ;       Child Loop BB17_83 Depth 3
	;; [unrolled: 1-line block ×3, first 2 shown]
                                        ;     Child Loop BB17_95 Depth 2
	s_ashr_i32 s23, s22, 31
	s_delay_alu instid0(SALU_CYCLE_1) | instskip(NEXT) | instid1(SALU_CYCLE_1)
	s_lshl_b64 s[24:25], s[22:23], 2
	s_add_nc_u64 s[24:25], s[18:19], s[24:25]
	s_load_b32 s38, s[24:25], 0x0
	s_wait_kmcnt 0x0
	s_sub_co_i32 s26, s38, s13
	s_delay_alu instid0(SALU_CYCLE_1) | instskip(SKIP_2) | instid1(SALU_CYCLE_1)
	s_ashr_i32 s27, s26, 31
	s_wait_xcnt 0x0
	s_lshl_b64 s[24:25], s[26:27], 2
	s_add_nc_u64 s[28:29], s[8:9], s[24:25]
	s_load_b32 s27, s[28:29], 0x0
	s_wait_kmcnt 0x0
	s_cmp_eq_u32 s27, -1
	s_cbranch_scc1 .LBB17_99
; %bb.15:                               ;   in Loop: Header=BB17_14 Depth=1
	s_wait_xcnt 0x0
	s_add_nc_u64 s[28:29], s[16:17], s[24:25]
	s_mul_i32 s23, s22, s5
	s_load_b32 s28, s[28:29], 0x0
	s_wait_xcnt 0x0
	s_and_saveexec_b32 s29, s0
	s_cbranch_execz .LBB17_28
; %bb.16:                               ;   in Loop: Header=BB17_14 Depth=1
	v_dual_mov_b32 v0, v16 :: v_dual_mov_b32 v1, v2
	s_mov_b32 s39, 0
	s_branch .LBB17_18
.LBB17_17:                              ;   in Loop: Header=BB17_18 Depth=2
	s_wait_xcnt 0x0
	s_or_b32 exec_lo, exec_lo, s41
	v_add_nc_u32_e32 v1, 4, v1
	s_wait_loadcnt 0x0
	ds_store_b32 v0, v28 offset:1088
	ds_store_b32 v0, v25
	v_add_nc_u32_e32 v0, 16, v0
	v_cmp_le_i32_e32 vcc_lo, s5, v1
	s_or_b32 s39, vcc_lo, s39
	s_delay_alu instid0(SALU_CYCLE_1)
	s_and_not1_b32 exec_lo, exec_lo, s39
	s_cbranch_execz .LBB17_28
.LBB17_18:                              ;   Parent Loop BB17_14 Depth=1
                                        ; =>  This Inner Loop Header: Depth=2
	s_and_b32 vcc_lo, exec_lo, s34
	s_cbranch_vccz .LBB17_25
; %bb.19:                               ;   in Loop: Header=BB17_18 Depth=2
	s_mov_b32 s41, 0
	s_mov_b32 s40, 0
                                        ; implicit-def: $vgpr27
	s_and_saveexec_b32 s42, s1
	s_delay_alu instid0(SALU_CYCLE_1)
	s_xor_b32 s42, exec_lo, s42
; %bb.20:                               ;   in Loop: Header=BB17_18 Depth=2
	v_add_nc_u32_e32 v27, s23, v1
	s_mov_b32 s40, exec_lo
	s_delay_alu instid0(VALU_DEP_1)
	v_mad_u32 v27, v27, s5, v3
; %bb.21:                               ;   in Loop: Header=BB17_18 Depth=2
	s_or_b32 exec_lo, exec_lo, s42
	s_delay_alu instid0(SALU_CYCLE_1)
	s_and_b32 vcc_lo, exec_lo, s41
	s_cbranch_vccz .LBB17_26
.LBB17_22:                              ;   in Loop: Header=BB17_18 Depth=2
                                        ; implicit-def: $vgpr27
	s_and_saveexec_b32 s41, s1
; %bb.23:                               ;   in Loop: Header=BB17_18 Depth=2
	v_add_nc_u32_e32 v27, v20, v1
	s_or_b32 s40, s40, exec_lo
; %bb.24:                               ;   in Loop: Header=BB17_18 Depth=2
	s_or_b32 exec_lo, exec_lo, s41
	v_mov_b32_e32 v28, 0
	s_and_saveexec_b32 s41, s40
	s_cbranch_execz .LBB17_17
	s_branch .LBB17_27
.LBB17_25:                              ;   in Loop: Header=BB17_18 Depth=2
	s_mov_b32 s40, 0
                                        ; implicit-def: $vgpr27
	s_cbranch_execnz .LBB17_22
.LBB17_26:                              ;   in Loop: Header=BB17_18 Depth=2
	v_mov_b32_e32 v28, 0
	s_and_saveexec_b32 s41, s40
	s_cbranch_execz .LBB17_17
.LBB17_27:                              ;   in Loop: Header=BB17_18 Depth=2
	global_load_b32 v28, v27, s[20:21] scale_offset
	s_branch .LBB17_17
.LBB17_28:                              ;   in Loop: Header=BB17_14 Depth=1
	s_or_b32 exec_lo, exec_lo, s29
	ds_load_b32 v0, v25 offset:5376
	s_wait_kmcnt 0x0
	s_sub_co_i32 s28, s28, s13
	s_delay_alu instid0(SALU_CYCLE_1) | instskip(SKIP_4) | instid1(SALU_CYCLE_1)
	s_cmp_le_i32 s28, s27
	s_cselect_b32 s29, -1, 0
	s_wait_dscnt 0x0
	v_cmp_ge_i32_e32 vcc_lo, s26, v0
	s_and_b32 s29, s29, vcc_lo
	s_and_not1_b32 vcc_lo, exec_lo, s29
	s_mov_b32 s29, 0
	s_cbranch_vccnz .LBB17_40
; %bb.29:                               ;   in Loop: Header=BB17_14 Depth=1
	s_mov_b32 s39, 0
	s_mov_b32 s40, 0
.LBB17_30:                              ;   Parent Loop BB17_14 Depth=1
                                        ; =>  This Inner Loop Header: Depth=2
	s_ashr_i32 s29, s28, 31
	s_lshl_b32 s41, s40, 2
	s_wait_xcnt 0x0
	s_lshl_b64 s[42:43], s[28:29], 2
	v_mov_b32_e32 v0, s41
	s_add_nc_u64 s[42:43], s[18:19], s[42:43]
	s_mov_b32 s44, -1
	s_load_b32 s29, s[42:43], 0x0
                                        ; implicit-def: $sgpr43
                                        ; implicit-def: $sgpr42
	ds_load_b32 v0, v0 offset:5376
	s_wait_kmcnt 0x0
	s_sub_co_i32 s45, s29, s13
                                        ; implicit-def: $sgpr29
	s_wait_dscnt 0x0
	v_readfirstlane_b32 s41, v0
	v_cmp_ge_i32_e32 vcc_lo, s45, v0
	s_cbranch_vccz .LBB17_36
; %bb.31:                               ;   in Loop: Header=BB17_30 Depth=2
	s_cmp_le_i32 s45, s41
                                        ; implicit-def: $sgpr29
                                        ; implicit-def: $sgpr43
                                        ; implicit-def: $sgpr42
	s_cbranch_scc0 .LBB17_33
; %bb.32:                               ;   in Loop: Header=BB17_30 Depth=2
	s_add_co_i32 s29, s40, s33
	s_wait_xcnt 0x0
	s_lshl_b32 s42, s39, 2
	s_mul_i32 s29, s29, s36
	s_delay_alu instid0(SALU_CYCLE_1)
	v_dual_mov_b32 v0, s42 :: v_dual_mov_b32 v1, s29
	s_mul_i32 s42, s28, s36
	s_add_co_i32 s43, s28, 1
	v_mov_b32_e32 v27, s42
	s_add_co_i32 s42, s40, 1
	s_add_co_i32 s29, s39, 1
	s_mov_b32 s44, 0
	ds_store_2addr_stride64_b32 v0, v27, v1 offset0:17 offset1:19
.LBB17_33:                              ;   in Loop: Header=BB17_30 Depth=2
	s_and_not1_b32 vcc_lo, exec_lo, s44
	s_cbranch_vccnz .LBB17_35
; %bb.34:                               ;   in Loop: Header=BB17_30 Depth=2
	s_wait_xcnt 0x0
	s_add_co_i32 s42, s40, 1
	s_mov_b32 s29, s39
	s_mov_b32 s43, s28
.LBB17_35:                              ;   in Loop: Header=BB17_30 Depth=2
	s_mov_b32 s44, 0
.LBB17_36:                              ;   in Loop: Header=BB17_30 Depth=2
	s_delay_alu instid0(SALU_CYCLE_1)
	s_and_not1_b32 vcc_lo, exec_lo, s44
	s_cbranch_vccnz .LBB17_38
; %bb.37:                               ;   in Loop: Header=BB17_30 Depth=2
	s_wait_xcnt 0x0
	s_add_co_i32 s43, s28, 1
	s_mov_b32 s42, s40
	s_mov_b32 s29, s39
.LBB17_38:                              ;   in Loop: Header=BB17_30 Depth=2
	s_cmp_le_i32 s43, s27
	s_cselect_b32 s28, -1, 0
	s_cmp_le_i32 s41, s26
	s_cselect_b32 s39, -1, 0
	s_delay_alu instid0(SALU_CYCLE_1) | instskip(NEXT) | instid1(SALU_CYCLE_1)
	s_and_b32 s28, s28, s39
	s_and_b32 vcc_lo, exec_lo, s28
	s_cbranch_vccz .LBB17_40
; %bb.39:                               ;   in Loop: Header=BB17_30 Depth=2
	s_mov_b32 s39, s29
	s_mov_b32 s28, s43
	;; [unrolled: 1-line block ×3, first 2 shown]
	s_branch .LBB17_30
.LBB17_40:                              ;   in Loop: Header=BB17_14 Depth=1
	s_add_nc_u64 s[24:25], s[10:11], s[24:25]
	s_wait_dscnt 0x0
.LBB17_41:                              ;   Parent Loop BB17_14 Depth=1
                                        ; =>  This Inner Loop Header: Depth=2
	global_load_b32 v0, v25, s[24:25] scope:SCOPE_DEV
	s_wait_loadcnt 0x0
	v_cmp_eq_u32_e32 vcc_lo, 0, v0
	s_cbranch_vccnz .LBB17_41
; %bb.42:                               ;   in Loop: Header=BB17_14 Depth=1
	global_inv scope:SCOPE_DEV
	s_wait_xcnt 0x0
	s_and_saveexec_b32 s24, s0
	s_cbranch_execz .LBB17_55
; %bb.43:                               ;   in Loop: Header=BB17_14 Depth=1
	s_mul_i32 s27, s27, s5
	s_delay_alu instid0(SALU_CYCLE_1) | instskip(SKIP_2) | instid1(VALU_DEP_2)
	v_dual_mov_b32 v27, v2 :: v_dual_add_nc_u32 v0, s27, v3
	v_mov_b32_e32 v1, v14
	s_mov_b32 s25, 0
	v_mul_lo_u32 v0, v0, s5
	s_branch .LBB17_45
.LBB17_44:                              ;   in Loop: Header=BB17_45 Depth=2
	s_wait_xcnt 0x0
	s_or_b32 exec_lo, exec_lo, s28
	v_add_nc_u32_e32 v27, 4, v27
	s_wait_loadcnt 0x0
	ds_store_b32 v1, v29
	v_add_nc_u32_e32 v1, 16, v1
	v_cmp_le_i32_e32 vcc_lo, s5, v27
	s_or_b32 s25, vcc_lo, s25
	s_delay_alu instid0(SALU_CYCLE_1)
	s_and_not1_b32 exec_lo, exec_lo, s25
	s_cbranch_execz .LBB17_55
.LBB17_45:                              ;   Parent Loop BB17_14 Depth=1
                                        ; =>  This Inner Loop Header: Depth=2
	s_and_b32 vcc_lo, exec_lo, s34
	s_cbranch_vccz .LBB17_52
; %bb.46:                               ;   in Loop: Header=BB17_45 Depth=2
	s_mov_b32 s28, 0
	s_mov_b32 s26, 0
                                        ; implicit-def: $vgpr28
	s_and_saveexec_b32 s39, s1
	s_delay_alu instid0(SALU_CYCLE_1)
	s_xor_b32 s39, exec_lo, s39
; %bb.47:                               ;   in Loop: Header=BB17_45 Depth=2
	v_add_nc_u32_e32 v28, s27, v27
	s_mov_b32 s26, exec_lo
	s_delay_alu instid0(VALU_DEP_1)
	v_mad_u32 v28, v28, s5, v3
; %bb.48:                               ;   in Loop: Header=BB17_45 Depth=2
	s_or_b32 exec_lo, exec_lo, s39
	s_delay_alu instid0(SALU_CYCLE_1)
	s_and_b32 vcc_lo, exec_lo, s28
	s_cbranch_vccz .LBB17_53
.LBB17_49:                              ;   in Loop: Header=BB17_45 Depth=2
                                        ; implicit-def: $vgpr28
	s_and_saveexec_b32 s28, s1
; %bb.50:                               ;   in Loop: Header=BB17_45 Depth=2
	s_delay_alu instid0(VALU_DEP_1)
	v_add_nc_u32_e32 v28, v0, v27
	s_or_b32 s26, s26, exec_lo
; %bb.51:                               ;   in Loop: Header=BB17_45 Depth=2
	s_or_b32 exec_lo, exec_lo, s28
	v_mov_b32_e32 v29, 0
	s_and_saveexec_b32 s28, s26
	s_cbranch_execz .LBB17_44
	s_branch .LBB17_54
.LBB17_52:                              ;   in Loop: Header=BB17_45 Depth=2
	s_mov_b32 s26, 0
                                        ; implicit-def: $vgpr28
	s_cbranch_execnz .LBB17_49
.LBB17_53:                              ;   in Loop: Header=BB17_45 Depth=2
	v_mov_b32_e32 v29, 0
	s_and_saveexec_b32 s28, s26
	s_cbranch_execz .LBB17_44
.LBB17_54:                              ;   in Loop: Header=BB17_45 Depth=2
	global_load_b32 v29, v28, s[20:21] scale_offset
	s_branch .LBB17_44
.LBB17_55:                              ;   in Loop: Header=BB17_14 Depth=1
	s_or_b32 exec_lo, exec_lo, s24
	s_cmp_lt_i32 s29, 2
	s_cbranch_scc1 .LBB17_71
; %bb.56:                               ;   in Loop: Header=BB17_14 Depth=1
	s_add_co_i32 s24, s29, -2
	s_mov_b32 s25, 0
	s_branch .LBB17_58
.LBB17_57:                              ;   in Loop: Header=BB17_58 Depth=2
	s_or_b32 exec_lo, exec_lo, s26
	s_add_co_i32 s26, s25, 1
	s_cmp_eq_u32 s25, s24
	s_mov_b32 s25, s26
	s_cbranch_scc1 .LBB17_71
.LBB17_58:                              ;   Parent Loop BB17_14 Depth=1
                                        ; =>  This Loop Header: Depth=2
                                        ;       Child Loop BB17_60 Depth 3
	s_and_saveexec_b32 s26, s0
	s_cbranch_execz .LBB17_57
; %bb.59:                               ;   in Loop: Header=BB17_58 Depth=2
	s_lshl_b32 s27, s25, 2
	s_delay_alu instid0(SALU_CYCLE_1)
	v_mov_b32_e32 v0, s27
	s_mov_b32 s27, 0
	ds_load_2addr_stride64_b32 v[28:29], v0 offset0:17 offset1:19
	s_wait_dscnt 0x0
	v_dual_add_nc_u32 v0, v29, v12 :: v_dual_add_nc_u32 v1, v3, v29
	v_dual_add_nc_u32 v27, v2, v28 :: v_dual_add_nc_u32 v28, v17, v28
	v_mov_b32_e32 v29, v2
.LBB17_60:                              ;   Parent Loop BB17_14 Depth=1
                                        ;     Parent Loop BB17_58 Depth=2
                                        ; =>    This Inner Loop Header: Depth=3
	s_delay_alu instid0(VALU_DEP_2) | instskip(NEXT) | instid1(VALU_DEP_4)
	v_dual_mov_b32 v32, 0 :: v_dual_mov_b32 v30, v27
	v_mov_b32_e32 v31, v1
	s_mov_b32 s28, 0
	s_and_b32 vcc_lo, exec_lo, s34
	s_cbranch_vccnz .LBB17_63
	s_branch .LBB17_62
.LBB17_61:                              ;   in Loop: Header=BB17_60 Depth=3
	v_mov_b32_e32 v32, v33
	s_and_b32 vcc_lo, exec_lo, s34
	s_cbranch_vccnz .LBB17_63
.LBB17_62:                              ;   in Loop: Header=BB17_60 Depth=3
                                        ; implicit-def: $vgpr33
	s_cbranch_execz .LBB17_69
	s_branch .LBB17_66
.LBB17_63:                              ;   in Loop: Header=BB17_60 Depth=3
	global_load_b32 v33, v30, s[20:21] scale_offset
	v_mov_b32_e32 v34, 0
	s_wait_xcnt 0x0
	s_and_saveexec_b32 s29, s1
	s_cbranch_execz .LBB17_65
; %bb.64:                               ;   in Loop: Header=BB17_60 Depth=3
	global_load_b32 v34, v31, s[20:21] scale_offset
.LBB17_65:                              ;   in Loop: Header=BB17_60 Depth=3
	s_wait_xcnt 0x0
	s_or_b32 exec_lo, exec_lo, s29
	s_wait_loadcnt 0x0
	v_fma_f32 v33, v33, v34, v32
	s_branch .LBB17_69
.LBB17_66:                              ;   in Loop: Header=BB17_60 Depth=3
	v_dual_mov_b32 v34, 0 :: v_dual_add_nc_u32 v33, s28, v28
	global_load_b32 v33, v33, s[20:21] scale_offset
	s_wait_xcnt 0x0
	s_and_saveexec_b32 s29, s1
	s_cbranch_execz .LBB17_68
; %bb.67:                               ;   in Loop: Header=BB17_60 Depth=3
	v_add_nc_u32_e32 v34, s28, v0
	global_load_b32 v34, v34, s[20:21] scale_offset
.LBB17_68:                              ;   in Loop: Header=BB17_60 Depth=3
	s_wait_xcnt 0x0
	s_or_b32 exec_lo, exec_lo, s29
	s_wait_loadcnt 0x0
	v_fmac_f32_e32 v32, v33, v34
	s_delay_alu instid0(VALU_DEP_1)
	v_mov_b32_e32 v33, v32
.LBB17_69:                              ;   in Loop: Header=BB17_60 Depth=3
	v_dual_add_nc_u32 v31, s5, v31 :: v_dual_add_nc_u32 v30, s5, v30
	s_add_co_i32 s28, s28, 1
	s_delay_alu instid0(SALU_CYCLE_1)
	s_cmp_eq_u32 s5, s28
	s_cbranch_scc0 .LBB17_61
; %bb.70:                               ;   in Loop: Header=BB17_60 Depth=3
	v_lshl_add_u32 v30, v29, 2, v10
	v_dual_add_nc_u32 v27, 4, v27 :: v_dual_add_nc_u32 v28, s37, v28
	ds_load_b32 v31, v30
	s_wait_dscnt 0x0
	v_dual_add_nc_u32 v29, 4, v29 :: v_dual_add_f32 v31, v33, v31
	s_delay_alu instid0(VALU_DEP_1) | instskip(SKIP_2) | instid1(SALU_CYCLE_1)
	v_cmp_le_i32_e32 vcc_lo, s5, v29
	ds_store_b32 v30, v31
	s_or_b32 s27, vcc_lo, s27
	s_and_not1_b32 exec_lo, exec_lo, s27
	s_cbranch_execnz .LBB17_60
	s_branch .LBB17_57
.LBB17_71:                              ;   in Loop: Header=BB17_14 Depth=1
	s_and_not1_b32 vcc_lo, exec_lo, s35
	s_wait_loadcnt_dscnt 0x0
	s_cbranch_vccnz .LBB17_90
; %bb.72:                               ;   in Loop: Header=BB17_14 Depth=1
	v_mov_b32_e32 v27, v19
	s_mov_b32 s24, 0
	s_movk_i32 s25, 0x880
	s_mov_b32 s26, 0
	s_branch .LBB17_74
.LBB17_73:                              ;   in Loop: Header=BB17_74 Depth=2
	s_or_b32 exec_lo, exec_lo, s27
	v_add_nc_u32_e32 v27, 4, v27
	s_add_co_i32 s26, s26, 1
	s_addk_co_i32 s24, 0x44
	s_add_co_i32 s25, s25, 4
	s_cmp_eq_u32 s26, s5
	s_wait_dscnt 0x0
	s_cbranch_scc1 .LBB17_90
.LBB17_74:                              ;   Parent Loop BB17_14 Depth=1
                                        ; =>  This Loop Header: Depth=2
                                        ;       Child Loop BB17_79 Depth 3
                                        ;       Child Loop BB17_83 Depth 3
	;; [unrolled: 1-line block ×3, first 2 shown]
	s_lshl_b32 s27, s26, 2
	s_mul_i32 s28, s26, 0x44
	v_add_nc_u32_e32 v1, s27, v9
	s_add_co_i32 s28, s28, s27
	s_delay_alu instid0(SALU_CYCLE_1)
	v_mov_b32_e32 v0, s28
	ds_load_b32 v28, v0
	ds_load_b32 v0, v1
	s_wait_dscnt 0x1
	v_readfirstlane_b32 s27, v28
	s_cmp_neq_f32 s27, 0
	s_cselect_b32 vcc_lo, -1, 0
	v_cndmask_b32_e32 v28, 1.0, v28, vcc_lo
	s_nor_b32 s28, vcc_lo, s2
	s_delay_alu instid0(SALU_CYCLE_1)
	s_and_saveexec_b32 s27, s28
	s_cbranch_execz .LBB17_78
; %bb.75:                               ;   in Loop: Header=BB17_74 Depth=2
	v_mbcnt_lo_u32_b32 v28, exec_lo, 0
	s_mov_b32 s28, exec_lo
	s_delay_alu instid0(VALU_DEP_1)
	v_cmpx_eq_u32_e32 0, v28
	s_cbranch_execz .LBB17_77
; %bb.76:                               ;   in Loop: Header=BB17_74 Depth=2
	v_mov_b32_e32 v28, s38
	global_atomic_min_i32 v25, v28, s[14:15] scope:SCOPE_DEV
.LBB17_77:                              ;   in Loop: Header=BB17_74 Depth=2
	s_wait_xcnt 0x0
	s_or_b32 exec_lo, exec_lo, s28
	v_mov_b32_e32 v28, 1.0
.LBB17_78:                              ;   in Loop: Header=BB17_74 Depth=2
	s_or_b32 exec_lo, exec_lo, s27
	v_lshl_add_u32 v29, s26, 2, v10
	v_mov_b32_e32 v30, v9
	s_cmp_eq_u32 s26, 0
	s_mov_b32 s27, s24
	s_mov_b32 s28, s26
	ds_load_b32 v29, v29
	s_cbranch_scc1 .LBB17_80
.LBB17_79:                              ;   Parent Loop BB17_14 Depth=1
                                        ;     Parent Loop BB17_74 Depth=2
                                        ; =>    This Inner Loop Header: Depth=3
	v_mov_b32_e32 v31, s27
	s_add_co_i32 s28, s28, -1
	s_add_co_i32 s27, s27, 4
	s_cmp_eq_u32 s28, 0
	ds_load_b32 v32, v30
	ds_load_b32 v31, v31
	s_wait_dscnt 0x0
	v_dual_fmac_f32 v29, v31, v32 :: v_dual_add_nc_u32 v30, 4, v30
	s_cbranch_scc0 .LBB17_79
.LBB17_80:                              ;   in Loop: Header=BB17_74 Depth=2
	s_wait_dscnt 0x0
	s_delay_alu instid0(VALU_DEP_1) | instskip(NEXT) | instid1(VALU_DEP_1)
	v_sub_f32_e32 v0, v0, v29
	v_div_scale_f32 v29, null, v28, v28, v0
	s_delay_alu instid0(VALU_DEP_1) | instskip(SKIP_1) | instid1(TRANS32_DEP_1)
	v_rcp_f32_e32 v30, v29
	v_nop
	v_fma_f32 v31, -v29, v30, 1.0
	s_delay_alu instid0(VALU_DEP_1) | instskip(SKIP_1) | instid1(VALU_DEP_1)
	v_fmac_f32_e32 v30, v31, v30
	v_div_scale_f32 v32, vcc_lo, v0, v28, v0
	v_mul_f32_e32 v31, v32, v30
	s_delay_alu instid0(VALU_DEP_1) | instskip(NEXT) | instid1(VALU_DEP_1)
	v_fma_f32 v33, -v29, v31, v32
	v_fmac_f32_e32 v31, v33, v30
	s_delay_alu instid0(VALU_DEP_1) | instskip(NEXT) | instid1(VALU_DEP_1)
	v_fma_f32 v29, -v29, v31, v32
	v_div_fmas_f32 v29, v29, v30, v31
	s_delay_alu instid0(VALU_DEP_1)
	v_div_fixup_f32 v0, v29, v28, v0
	ds_store_b32 v1, v0
	s_wait_storecnt_dscnt 0x0
	s_and_saveexec_b32 s27, s0
	s_cbranch_execz .LBB17_73
; %bb.81:                               ;   in Loop: Header=BB17_74 Depth=2
	v_dual_mov_b32 v1, v2 :: v_dual_mov_b32 v28, v11
	v_mov_b32_e32 v29, v18
	s_mov_b32 s29, -1
	s_and_saveexec_b32 s28, s3
	s_cbranch_execz .LBB17_87
; %bb.82:                               ;   in Loop: Header=BB17_74 Depth=2
	v_dual_mov_b32 v1, v0 :: v_dual_mov_b32 v28, v13
	v_dual_mov_b32 v29, v21 :: v_dual_mov_b32 v30, v27
	s_mov_b32 s29, 0
.LBB17_83:                              ;   Parent Loop BB17_14 Depth=1
                                        ;     Parent Loop BB17_74 Depth=2
                                        ; =>    This Inner Loop Header: Depth=3
	ds_load_2addr_b32 v[32:33], v30 offset1:68
	ds_load_2addr_b32 v[34:35], v30 offset0:136 offset1:204
	ds_load_2addr_b32 v[36:37], v29 offset1:4
	ds_load_2addr_b32 v[38:39], v29 offset0:8 offset1:12
	v_add_nc_u32_e32 v28, -4, v28
	v_add_nc_u32_e32 v30, 0x440, v30
	s_wait_dscnt 0x1
	v_pk_fma_f32 v[32:33], v[0:1], v[32:33], v[36:37]
	s_wait_dscnt 0x0
	v_pk_fma_f32 v[34:35], v[0:1], v[34:35], v[38:39]
	ds_store_2addr_b32 v29, v32, v33 offset1:4
	ds_store_2addr_b32 v29, v34, v35 offset0:8 offset1:12
	v_add_nc_u32_e32 v29, 64, v29
	v_cmp_eq_u32_e32 vcc_lo, 0, v28
	s_or_b32 s29, vcc_lo, s29
	s_delay_alu instid0(SALU_CYCLE_1)
	s_and_not1_b32 exec_lo, exec_lo, s29
	s_cbranch_execnz .LBB17_83
; %bb.84:                               ;   in Loop: Header=BB17_74 Depth=2
	s_or_b32 exec_lo, exec_lo, s29
	s_mov_b32 s29, 0
	s_and_saveexec_b32 s39, s4
; %bb.85:                               ;   in Loop: Header=BB17_74 Depth=2
	s_mov_b32 s29, exec_lo
; %bb.86:                               ;   in Loop: Header=BB17_74 Depth=2
	s_or_b32 exec_lo, exec_lo, s39
	v_dual_mov_b32 v1, v15 :: v_dual_mov_b32 v28, v26
	v_mov_b32_e32 v29, v22
	s_or_not1_b32 s29, s29, exec_lo
.LBB17_87:                              ;   in Loop: Header=BB17_74 Depth=2
	s_or_b32 exec_lo, exec_lo, s28
	s_delay_alu instid0(SALU_CYCLE_1)
	s_and_b32 exec_lo, exec_lo, s29
	s_cbranch_execz .LBB17_73
; %bb.88:                               ;   in Loop: Header=BB17_74 Depth=2
	v_dual_add_nc_u32 v28, v23, v28 :: v_dual_add_nc_u32 v29, s25, v29
	s_mov_b32 s28, 0
.LBB17_89:                              ;   Parent Loop BB17_14 Depth=1
                                        ;     Parent Loop BB17_74 Depth=2
                                        ; =>    This Inner Loop Header: Depth=3
	ds_load_b32 v30, v29
	ds_load_b32 v31, v28
	v_add_nc_u32_e32 v1, 4, v1
	v_add_nc_u32_e32 v29, 0x110, v29
	s_wait_dscnt 0x0
	v_fmac_f32_e32 v31, v0, v30
	s_delay_alu instid0(VALU_DEP_3) | instskip(SKIP_3) | instid1(SALU_CYCLE_1)
	v_cmp_le_i32_e32 vcc_lo, s5, v1
	ds_store_b32 v28, v31
	v_add_nc_u32_e32 v28, 16, v28
	s_or_b32 s28, vcc_lo, s28
	s_and_not1_b32 exec_lo, exec_lo, s28
	s_cbranch_execnz .LBB17_89
	s_branch .LBB17_73
.LBB17_90:                              ;   in Loop: Header=BB17_14 Depth=1
	s_and_saveexec_b32 s24, s0
	s_cbranch_execz .LBB17_13
; %bb.91:                               ;   in Loop: Header=BB17_14 Depth=1
	v_dual_mov_b32 v0, v24 :: v_dual_mov_b32 v1, v2
	s_mov_b32 s25, 0
	s_branch .LBB17_95
.LBB17_92:                              ;   in Loop: Header=BB17_95 Depth=2
	v_add_nc_u32_e32 v28, v20, v1
.LBB17_93:                              ;   in Loop: Header=BB17_95 Depth=2
	s_wait_dscnt 0x0
	global_store_b32 v28, v27, s[20:21] scale_offset
.LBB17_94:                              ;   in Loop: Header=BB17_95 Depth=2
	s_wait_xcnt 0x0
	s_or_b32 exec_lo, exec_lo, s26
	v_dual_add_nc_u32 v1, 4, v1 :: v_dual_add_nc_u32 v0, 16, v0
	s_delay_alu instid0(VALU_DEP_1) | instskip(SKIP_1) | instid1(SALU_CYCLE_1)
	v_cmp_le_i32_e32 vcc_lo, s5, v1
	s_or_b32 s25, vcc_lo, s25
	s_and_not1_b32 exec_lo, exec_lo, s25
	s_cbranch_execz .LBB17_13
.LBB17_95:                              ;   Parent Loop BB17_14 Depth=1
                                        ; =>  This Inner Loop Header: Depth=2
	s_and_saveexec_b32 s26, s1
	s_cbranch_execz .LBB17_94
; %bb.96:                               ;   in Loop: Header=BB17_95 Depth=2
	ds_load_b32 v27, v0
	s_and_b32 vcc_lo, exec_lo, s34
	s_cbranch_vccz .LBB17_98
; %bb.97:                               ;   in Loop: Header=BB17_95 Depth=2
	v_add_nc_u32_e32 v28, s23, v1
	s_delay_alu instid0(VALU_DEP_1)
	v_mad_u32 v28, v28, s5, v3
	s_cbranch_execnz .LBB17_93
	s_branch .LBB17_92
.LBB17_98:                              ;   in Loop: Header=BB17_95 Depth=2
                                        ; implicit-def: $vgpr28
	s_branch .LBB17_92
.LBB17_99:                              ;   in Loop: Header=BB17_14 Depth=1
                                        ; implicit-def: $sgpr22
                                        ; implicit-def: $vgpr20
	s_cbranch_execz .LBB17_14
.LBB17_100:
	v_cmp_gt_i32_e64 s0, s5, v2
	s_and_saveexec_b32 s2, s0
	s_cbranch_execz .LBB17_113
; %bb.101:
	s_mul_i32 s3, s30, s5
	v_cmp_gt_i32_e64 s1, s5, v3
	v_dual_add_nc_u32 v0, s3, v3 :: v_dual_lshlrev_b32 v1, 2, v2
	v_mov_b32_e32 v9, v2
	s_cmp_lg_u32 s31, 0
	s_mov_b32 s4, 0
	s_delay_alu instid0(VALU_DEP_2)
	v_mul_lo_u32 v0, v0, s5
	v_add3_u32 v1, v5, v1, 0x880
	s_cselect_b32 s8, -1, 0
	s_branch .LBB17_103
.LBB17_102:                             ;   in Loop: Header=BB17_103 Depth=1
	s_wait_xcnt 0x0
	s_or_b32 exec_lo, exec_lo, s16
	v_add_nc_u32_e32 v9, 4, v9
	s_wait_loadcnt 0x0
	ds_store_b32 v1, v11
	v_add_nc_u32_e32 v1, 16, v1
	v_cmp_le_i32_e32 vcc_lo, s5, v9
	s_or_b32 s4, vcc_lo, s4
	s_delay_alu instid0(SALU_CYCLE_1)
	s_and_not1_b32 exec_lo, exec_lo, s4
	s_cbranch_execz .LBB17_113
.LBB17_103:                             ; =>This Inner Loop Header: Depth=1
	s_and_b32 vcc_lo, exec_lo, s8
	s_cbranch_vccz .LBB17_110
; %bb.104:                              ;   in Loop: Header=BB17_103 Depth=1
	s_mov_b32 s16, 0
	s_mov_b32 s9, 0
                                        ; implicit-def: $vgpr10
	s_and_saveexec_b32 s17, s1
	s_delay_alu instid0(SALU_CYCLE_1)
	s_xor_b32 s17, exec_lo, s17
; %bb.105:                              ;   in Loop: Header=BB17_103 Depth=1
	v_add_nc_u32_e32 v10, s3, v9
	s_mov_b32 s9, exec_lo
	s_delay_alu instid0(VALU_DEP_1)
	v_mad_u32 v10, v10, s5, v3
; %bb.106:                              ;   in Loop: Header=BB17_103 Depth=1
	s_or_b32 exec_lo, exec_lo, s17
	s_delay_alu instid0(SALU_CYCLE_1)
	s_and_b32 vcc_lo, exec_lo, s16
	s_cbranch_vccz .LBB17_111
.LBB17_107:                             ;   in Loop: Header=BB17_103 Depth=1
                                        ; implicit-def: $vgpr10
	s_and_saveexec_b32 s16, s1
; %bb.108:                              ;   in Loop: Header=BB17_103 Depth=1
	s_delay_alu instid0(VALU_DEP_2)
	v_add_nc_u32_e32 v10, v0, v9
	s_or_b32 s9, s9, exec_lo
; %bb.109:                              ;   in Loop: Header=BB17_103 Depth=1
	s_or_b32 exec_lo, exec_lo, s16
	v_mov_b32_e32 v11, 0
	s_and_saveexec_b32 s16, s9
	s_cbranch_execz .LBB17_102
	s_branch .LBB17_112
.LBB17_110:                             ;   in Loop: Header=BB17_103 Depth=1
	s_mov_b32 s9, 0
                                        ; implicit-def: $vgpr10
	s_cbranch_execnz .LBB17_107
.LBB17_111:                             ;   in Loop: Header=BB17_103 Depth=1
	v_mov_b32_e32 v11, 0
	s_and_saveexec_b32 s16, s9
	s_cbranch_execz .LBB17_102
.LBB17_112:                             ;   in Loop: Header=BB17_103 Depth=1
	global_load_b32 v11, v10, s[20:21] scale_offset
	s_branch .LBB17_102
.LBB17_113:
	s_or_b32 exec_lo, exec_lo, s2
	s_cmp_lt_i32 s5, 1
	s_wait_loadcnt_dscnt 0x0
	s_cbranch_scc1 .LBB17_133
; %bb.114:
	v_dual_lshrrev_b32 v0, 2, v8 :: v_dual_bitop2_b32 v1, v2, v3 bitop3:0x54
	s_movk_i32 s4, 0x44
	s_movk_i32 s1, 0xcc0
	v_mad_u32_u24 v10, v3, s4, 0x880
	s_delay_alu instid0(VALU_DEP_2)
	v_add_nc_u32_e32 v0, 1, v0
	v_mad_u32_u24 v11, 0x44, v3, s1
	v_cmp_ne_u32_e64 s1, 0, v1
	v_cmp_lt_u32_e64 s2, 11, v8
	v_add_nc_u32_e32 v13, v10, v7
	v_and_b32_e32 v9, 0x7ffffffc, v0
	v_dual_mov_b32 v16, 0 :: v_dual_add_nc_u32 v7, v11, v7
	v_mad_u32_u24 v8, v2, s4, 0x880
	v_add3_u32 v15, v5, v4, 0xcc0
	s_delay_alu instid0(VALU_DEP_4)
	v_lshl_add_u32 v12, v9, 2, v2
	v_cmp_ne_u32_e64 s3, v0, v9
	s_movk_i32 s8, 0x880
	s_mov_b32 s9, 0
	s_add_co_i32 s16, s12, s13
	v_mul_lo_u32 v14, 0x44, v12
	v_lshlrev_b32_e32 v17, 2, v12
	s_branch .LBB17_116
.LBB17_115:                             ;   in Loop: Header=BB17_116 Depth=1
	s_or_b32 exec_lo, exec_lo, s4
	v_add_nc_u32_e32 v8, 4, v8
	s_add_co_i32 s9, s9, 1
	s_add_co_i32 s8, s8, 4
	s_cmp_eq_u32 s9, s5
	s_wait_storecnt_dscnt 0x0
	s_cbranch_scc1 .LBB17_133
.LBB17_116:                             ; =>This Loop Header: Depth=1
                                        ;     Child Loop BB17_126 Depth 2
                                        ;     Child Loop BB17_132 Depth 2
	s_mov_b32 s17, exec_lo
	v_cmpx_eq_u32_e64 s9, v3
	s_cbranch_execz .LBB17_118
; %bb.117:                              ;   in Loop: Header=BB17_116 Depth=1
	ds_load_b32 v0, v13
	ds_load_b32 v1, v7
	s_wait_dscnt 0x0
	v_sub_f32_e32 v0, v0, v1
	s_delay_alu instid0(VALU_DEP_1) | instskip(SKIP_1) | instid1(VALU_DEP_1)
	v_cmp_gt_f32_e32 vcc_lo, 0, v0
	v_cndmask_b32_e64 v0, v0, -v0, vcc_lo
	v_mul_f32_e32 v1, 0x4f800000, v0
	v_cmp_gt_f32_e32 vcc_lo, 0xf800000, v0
	s_delay_alu instid0(VALU_DEP_2) | instskip(NEXT) | instid1(VALU_DEP_1)
	v_cndmask_b32_e32 v0, v0, v1, vcc_lo
	v_sqrt_f32_e32 v1, v0
	v_nop
	s_delay_alu instid0(TRANS32_DEP_1) | instskip(NEXT) | instid1(VALU_DEP_1)
	v_dual_add_nc_u32 v18, -1, v1 :: v_dual_add_nc_u32 v19, 1, v1
	v_dual_fma_f32 v20, -v18, v1, v0 :: v_dual_fma_f32 v21, -v19, v1, v0
	s_delay_alu instid0(VALU_DEP_1) | instskip(NEXT) | instid1(VALU_DEP_1)
	v_cmp_ge_f32_e64 s4, 0, v20
	v_cndmask_b32_e64 v1, v1, v18, s4
	s_delay_alu instid0(VALU_DEP_3) | instskip(NEXT) | instid1(VALU_DEP_1)
	v_cmp_lt_f32_e64 s4, 0, v21
	v_cndmask_b32_e64 v1, v1, v19, s4
	s_delay_alu instid0(VALU_DEP_1) | instskip(NEXT) | instid1(VALU_DEP_1)
	v_mul_f32_e32 v18, 0x37800000, v1
	v_cndmask_b32_e32 v1, v1, v18, vcc_lo
	v_cmp_class_f32_e64 vcc_lo, v0, 0x260
	s_delay_alu instid0(VALU_DEP_2)
	v_cndmask_b32_e32 v0, v1, v0, vcc_lo
	ds_store_b32 v13, v0
.LBB17_118:                             ;   in Loop: Header=BB17_116 Depth=1
	s_or_b32 exec_lo, exec_lo, s17
	s_lshl_b32 s4, s9, 2
	s_mul_i32 s17, s9, 0x44
	s_wait_dscnt 0x0
	s_add_co_i32 s17, s17, s4
	s_delay_alu instid0(SALU_CYCLE_1)
	v_dual_mov_b32 v0, s17 :: v_dual_add_nc_u32 v1, s4, v10
	ds_load_b32 v18, v0 offset:2176
	ds_load_b32 v0, v1
	s_wait_dscnt 0x1
	v_readfirstlane_b32 s4, v18
	s_cmp_neq_f32 s4, 0
	s_cselect_b32 vcc_lo, -1, 0
	v_cndmask_b32_e32 v18, 1.0, v18, vcc_lo
	s_nor_b32 s17, vcc_lo, s1
	s_delay_alu instid0(SALU_CYCLE_1)
	s_and_saveexec_b32 s4, s17
	s_cbranch_execz .LBB17_122
; %bb.119:                              ;   in Loop: Header=BB17_116 Depth=1
	v_mbcnt_lo_u32_b32 v18, exec_lo, 0
	s_mov_b32 s17, exec_lo
	s_delay_alu instid0(VALU_DEP_1)
	v_cmpx_eq_u32_e32 0, v18
	s_cbranch_execz .LBB17_121
; %bb.120:                              ;   in Loop: Header=BB17_116 Depth=1
	v_mov_b32_e32 v18, s16
	global_atomic_min_i32 v16, v18, s[14:15] scope:SCOPE_DEV
.LBB17_121:                             ;   in Loop: Header=BB17_116 Depth=1
	s_wait_xcnt 0x0
	s_or_b32 exec_lo, exec_lo, s17
	v_mov_b32_e32 v18, 1.0
.LBB17_122:                             ;   in Loop: Header=BB17_116 Depth=1
	s_or_b32 exec_lo, exec_lo, s4
	s_delay_alu instid0(SALU_CYCLE_1)
	s_mov_b32 s4, exec_lo
	v_cmpx_lt_u32_e64 s9, v3
	s_cbranch_execz .LBB17_115
; %bb.123:                              ;   in Loop: Header=BB17_116 Depth=1
	v_lshl_add_u32 v19, s9, 2, v11
	ds_load_b32 v19, v19
	s_wait_dscnt 0x0
	v_sub_f32_e32 v0, v0, v19
	s_delay_alu instid0(VALU_DEP_1) | instskip(NEXT) | instid1(VALU_DEP_1)
	v_div_scale_f32 v19, null, v18, v18, v0
	v_rcp_f32_e32 v20, v19
	v_nop
	s_delay_alu instid0(TRANS32_DEP_1) | instskip(NEXT) | instid1(VALU_DEP_1)
	v_fma_f32 v21, -v19, v20, 1.0
	v_fmac_f32_e32 v20, v21, v20
	v_div_scale_f32 v22, vcc_lo, v0, v18, v0
	s_delay_alu instid0(VALU_DEP_1) | instskip(NEXT) | instid1(VALU_DEP_1)
	v_mul_f32_e32 v21, v22, v20
	v_fma_f32 v23, -v19, v21, v22
	s_delay_alu instid0(VALU_DEP_1) | instskip(NEXT) | instid1(VALU_DEP_1)
	v_fmac_f32_e32 v21, v23, v20
	v_fma_f32 v19, -v19, v21, v22
	s_delay_alu instid0(VALU_DEP_1) | instskip(NEXT) | instid1(VALU_DEP_1)
	v_div_fmas_f32 v19, v19, v20, v21
	v_div_fixup_f32 v0, v19, v18, v0
	ds_store_b32 v1, v0
	s_wait_storecnt_dscnt 0x0
	s_and_b32 exec_lo, exec_lo, s0
	s_cbranch_execz .LBB17_115
; %bb.124:                              ;   in Loop: Header=BB17_116 Depth=1
	v_dual_mov_b32 v1, v2 :: v_dual_mov_b32 v18, v4
	v_mov_b32_e32 v19, v6
	s_mov_b32 s18, -1
	s_and_saveexec_b32 s17, s2
	s_cbranch_execz .LBB17_130
; %bb.125:                              ;   in Loop: Header=BB17_116 Depth=1
	v_dual_mov_b32 v1, v0 :: v_dual_mov_b32 v18, v9
	v_dual_mov_b32 v19, v15 :: v_dual_mov_b32 v20, v8
	s_mov_b32 s18, 0
.LBB17_126:                             ;   Parent Loop BB17_116 Depth=1
                                        ; =>  This Inner Loop Header: Depth=2
	ds_load_2addr_b32 v[22:23], v20 offset1:68
	ds_load_2addr_b32 v[24:25], v20 offset0:136 offset1:204
	ds_load_2addr_b32 v[26:27], v19 offset1:4
	ds_load_2addr_b32 v[28:29], v19 offset0:8 offset1:12
	v_add_nc_u32_e32 v18, -4, v18
	v_add_nc_u32_e32 v20, 0x440, v20
	s_wait_dscnt 0x1
	v_pk_fma_f32 v[22:23], v[0:1], v[22:23], v[26:27]
	s_wait_dscnt 0x0
	v_pk_fma_f32 v[24:25], v[0:1], v[24:25], v[28:29]
	ds_store_2addr_b32 v19, v22, v23 offset1:4
	ds_store_2addr_b32 v19, v24, v25 offset0:8 offset1:12
	v_add_nc_u32_e32 v19, 64, v19
	v_cmp_eq_u32_e32 vcc_lo, 0, v18
	s_or_b32 s18, vcc_lo, s18
	s_delay_alu instid0(SALU_CYCLE_1)
	s_and_not1_b32 exec_lo, exec_lo, s18
	s_cbranch_execnz .LBB17_126
; %bb.127:                              ;   in Loop: Header=BB17_116 Depth=1
	s_or_b32 exec_lo, exec_lo, s18
	s_mov_b32 s18, 0
	s_and_saveexec_b32 s19, s3
; %bb.128:                              ;   in Loop: Header=BB17_116 Depth=1
	s_mov_b32 s18, exec_lo
; %bb.129:                              ;   in Loop: Header=BB17_116 Depth=1
	s_or_b32 exec_lo, exec_lo, s19
	v_dual_mov_b32 v1, v12 :: v_dual_mov_b32 v18, v17
	v_mov_b32_e32 v19, v14
	s_or_not1_b32 s18, s18, exec_lo
.LBB17_130:                             ;   in Loop: Header=BB17_116 Depth=1
	s_or_b32 exec_lo, exec_lo, s17
	s_delay_alu instid0(SALU_CYCLE_1)
	s_and_b32 exec_lo, exec_lo, s18
	s_cbranch_execz .LBB17_115
; %bb.131:                              ;   in Loop: Header=BB17_116 Depth=1
	v_dual_add_nc_u32 v18, v11, v18 :: v_dual_add_nc_u32 v19, s8, v19
	s_mov_b32 s17, 0
.LBB17_132:                             ;   Parent Loop BB17_116 Depth=1
                                        ; =>  This Inner Loop Header: Depth=2
	ds_load_b32 v20, v19
	ds_load_b32 v21, v18
	v_add_nc_u32_e32 v1, 4, v1
	v_add_nc_u32_e32 v19, 0x110, v19
	s_wait_dscnt 0x0
	v_fmac_f32_e32 v21, v0, v20
	s_delay_alu instid0(VALU_DEP_3) | instskip(SKIP_3) | instid1(SALU_CYCLE_1)
	v_cmp_le_i32_e32 vcc_lo, s5, v1
	ds_store_b32 v18, v21
	v_add_nc_u32_e32 v18, 16, v18
	s_or_b32 s17, vcc_lo, s17
	s_and_not1_b32 exec_lo, exec_lo, s17
	s_cbranch_execnz .LBB17_132
	s_branch .LBB17_115
.LBB17_133:
	s_and_saveexec_b32 s1, s0
	s_cbranch_execz .LBB17_142
; %bb.134:
	s_mul_i32 s30, s30, s5
	v_add3_u32 v1, v5, v4, 0x880
	v_dual_add_nc_u32 v0, s30, v3 :: v_dual_mov_b32 v4, v2
	v_cmp_gt_i32_e64 s0, s5, v3
	s_cmp_lg_u32 s31, 0
	s_mov_b32 s2, 0
	v_mul_lo_u32 v0, v0, s5
	s_cselect_b32 s3, -1, 0
	s_branch .LBB17_138
.LBB17_135:                             ;   in Loop: Header=BB17_138 Depth=1
	v_add_nc_u32_e32 v6, v0, v4
.LBB17_136:                             ;   in Loop: Header=BB17_138 Depth=1
	s_wait_dscnt 0x0
	global_store_b32 v6, v5, s[20:21] scale_offset
.LBB17_137:                             ;   in Loop: Header=BB17_138 Depth=1
	s_wait_xcnt 0x0
	s_or_b32 exec_lo, exec_lo, s4
	v_dual_add_nc_u32 v4, 4, v4 :: v_dual_add_nc_u32 v1, 16, v1
	s_delay_alu instid0(VALU_DEP_1) | instskip(SKIP_1) | instid1(SALU_CYCLE_1)
	v_cmp_le_i32_e32 vcc_lo, s5, v4
	s_or_b32 s2, vcc_lo, s2
	s_and_not1_b32 exec_lo, exec_lo, s2
	s_cbranch_execz .LBB17_142
.LBB17_138:                             ; =>This Inner Loop Header: Depth=1
	s_and_saveexec_b32 s4, s0
	s_cbranch_execz .LBB17_137
; %bb.139:                              ;   in Loop: Header=BB17_138 Depth=1
	ds_load_b32 v5, v1
	s_and_b32 vcc_lo, exec_lo, s3
	s_cbranch_vccz .LBB17_141
; %bb.140:                              ;   in Loop: Header=BB17_138 Depth=1
	v_add_nc_u32_e32 v6, s30, v4
	s_delay_alu instid0(VALU_DEP_1)
	v_mad_u32 v6, v6, s5, v3
	s_cbranch_execnz .LBB17_136
	s_branch .LBB17_135
.LBB17_141:                             ;   in Loop: Header=BB17_138 Depth=1
                                        ; implicit-def: $vgpr6
	s_branch .LBB17_135
.LBB17_142:
	s_or_b32 exec_lo, exec_lo, s1
	v_or_b32_e32 v0, v2, v3
	s_mov_b32 s0, 0
	s_mov_b32 s1, exec_lo
	s_delay_alu instid0(VALU_DEP_1)
	v_cmpx_eq_u32_e32 0, v0
	s_cbranch_execz .LBB17_144
; %bb.143:
	v_dual_mov_b32 v0, 0 :: v_dual_mov_b32 v1, 1
	s_add_nc_u64 s[2:3], s[10:11], s[6:7]
	global_wb scope:SCOPE_DEV
	s_wait_storecnt 0x0
	global_store_b32 v0, v1, s[2:3] scope:SCOPE_DEV
.LBB17_144:
	s_wait_xcnt 0x0
	s_or_b32 exec_lo, exec_lo, s1
	s_delay_alu instid0(SALU_CYCLE_1)
	s_and_b32 vcc_lo, exec_lo, s0
	s_cbranch_vccnz .LBB17_147
.LBB17_145:
	s_endpgm
.LBB17_146:
	s_cbranch_execz .LBB17_145
.LBB17_147:
	v_or_b32_e32 v0, v2, v3
	s_mov_b32 s0, exec_lo
	s_delay_alu instid0(VALU_DEP_1)
	v_cmpx_eq_u32_e32 0, v0
	s_cbranch_execz .LBB17_145
; %bb.148:
	v_mbcnt_lo_u32_b32 v0, exec_lo, 0
	s_mov_b32 s0, exec_lo
	s_delay_alu instid0(VALU_DEP_1)
	v_cmpx_eq_u32_e32 0, v0
	s_cbranch_execz .LBB17_150
; %bb.149:
	s_add_co_i32 s1, s12, s13
	s_delay_alu instid0(SALU_CYCLE_1)
	v_dual_mov_b32 v0, 0 :: v_dual_mov_b32 v1, s1
	global_atomic_min_i32 v0, v1, s[14:15] scope:SCOPE_DEV
.LBB17_150:
	s_wait_xcnt 0x0
	s_or_b32 exec_lo, exec_lo, s0
	v_dual_mov_b32 v0, 0 :: v_dual_mov_b32 v1, 1
	s_add_nc_u64 s[0:1], s[10:11], s[6:7]
	global_wb scope:SCOPE_DEV
	s_wait_storecnt 0x0
	global_store_b32 v0, v1, s[0:1] scope:SCOPE_DEV
	s_endpgm
	.section	.rodata,"a",@progbits
	.p2align	6, 0x0
	.amdhsa_kernel _ZN9rocsparseL18bsric0_9_16_kernelILi64ELi128ELi16EfEEv20rocsparse_direction_iiPKiS3_PT2_S3_PiS3_S6_21rocsparse_index_base_
		.amdhsa_group_segment_fixed_size 5888
		.amdhsa_private_segment_fixed_size 0
		.amdhsa_kernarg_size 76
		.amdhsa_user_sgpr_count 2
		.amdhsa_user_sgpr_dispatch_ptr 0
		.amdhsa_user_sgpr_queue_ptr 0
		.amdhsa_user_sgpr_kernarg_segment_ptr 1
		.amdhsa_user_sgpr_dispatch_id 0
		.amdhsa_user_sgpr_kernarg_preload_length 0
		.amdhsa_user_sgpr_kernarg_preload_offset 0
		.amdhsa_user_sgpr_private_segment_size 0
		.amdhsa_wavefront_size32 1
		.amdhsa_uses_dynamic_stack 0
		.amdhsa_enable_private_segment 0
		.amdhsa_system_sgpr_workgroup_id_x 1
		.amdhsa_system_sgpr_workgroup_id_y 0
		.amdhsa_system_sgpr_workgroup_id_z 0
		.amdhsa_system_sgpr_workgroup_info 0
		.amdhsa_system_vgpr_workitem_id 1
		.amdhsa_next_free_vgpr 40
		.amdhsa_next_free_sgpr 46
		.amdhsa_named_barrier_count 0
		.amdhsa_reserve_vcc 1
		.amdhsa_float_round_mode_32 0
		.amdhsa_float_round_mode_16_64 0
		.amdhsa_float_denorm_mode_32 3
		.amdhsa_float_denorm_mode_16_64 3
		.amdhsa_fp16_overflow 0
		.amdhsa_memory_ordered 1
		.amdhsa_forward_progress 1
		.amdhsa_inst_pref_size 37
		.amdhsa_round_robin_scheduling 0
		.amdhsa_exception_fp_ieee_invalid_op 0
		.amdhsa_exception_fp_denorm_src 0
		.amdhsa_exception_fp_ieee_div_zero 0
		.amdhsa_exception_fp_ieee_overflow 0
		.amdhsa_exception_fp_ieee_underflow 0
		.amdhsa_exception_fp_ieee_inexact 0
		.amdhsa_exception_int_div_zero 0
	.end_amdhsa_kernel
	.section	.text._ZN9rocsparseL18bsric0_9_16_kernelILi64ELi128ELi16EfEEv20rocsparse_direction_iiPKiS3_PT2_S3_PiS3_S6_21rocsparse_index_base_,"axG",@progbits,_ZN9rocsparseL18bsric0_9_16_kernelILi64ELi128ELi16EfEEv20rocsparse_direction_iiPKiS3_PT2_S3_PiS3_S6_21rocsparse_index_base_,comdat
.Lfunc_end17:
	.size	_ZN9rocsparseL18bsric0_9_16_kernelILi64ELi128ELi16EfEEv20rocsparse_direction_iiPKiS3_PT2_S3_PiS3_S6_21rocsparse_index_base_, .Lfunc_end17-_ZN9rocsparseL18bsric0_9_16_kernelILi64ELi128ELi16EfEEv20rocsparse_direction_iiPKiS3_PT2_S3_PiS3_S6_21rocsparse_index_base_
                                        ; -- End function
	.set _ZN9rocsparseL18bsric0_9_16_kernelILi64ELi128ELi16EfEEv20rocsparse_direction_iiPKiS3_PT2_S3_PiS3_S6_21rocsparse_index_base_.num_vgpr, 40
	.set _ZN9rocsparseL18bsric0_9_16_kernelILi64ELi128ELi16EfEEv20rocsparse_direction_iiPKiS3_PT2_S3_PiS3_S6_21rocsparse_index_base_.num_agpr, 0
	.set _ZN9rocsparseL18bsric0_9_16_kernelILi64ELi128ELi16EfEEv20rocsparse_direction_iiPKiS3_PT2_S3_PiS3_S6_21rocsparse_index_base_.numbered_sgpr, 46
	.set _ZN9rocsparseL18bsric0_9_16_kernelILi64ELi128ELi16EfEEv20rocsparse_direction_iiPKiS3_PT2_S3_PiS3_S6_21rocsparse_index_base_.num_named_barrier, 0
	.set _ZN9rocsparseL18bsric0_9_16_kernelILi64ELi128ELi16EfEEv20rocsparse_direction_iiPKiS3_PT2_S3_PiS3_S6_21rocsparse_index_base_.private_seg_size, 0
	.set _ZN9rocsparseL18bsric0_9_16_kernelILi64ELi128ELi16EfEEv20rocsparse_direction_iiPKiS3_PT2_S3_PiS3_S6_21rocsparse_index_base_.uses_vcc, 1
	.set _ZN9rocsparseL18bsric0_9_16_kernelILi64ELi128ELi16EfEEv20rocsparse_direction_iiPKiS3_PT2_S3_PiS3_S6_21rocsparse_index_base_.uses_flat_scratch, 0
	.set _ZN9rocsparseL18bsric0_9_16_kernelILi64ELi128ELi16EfEEv20rocsparse_direction_iiPKiS3_PT2_S3_PiS3_S6_21rocsparse_index_base_.has_dyn_sized_stack, 0
	.set _ZN9rocsparseL18bsric0_9_16_kernelILi64ELi128ELi16EfEEv20rocsparse_direction_iiPKiS3_PT2_S3_PiS3_S6_21rocsparse_index_base_.has_recursion, 0
	.set _ZN9rocsparseL18bsric0_9_16_kernelILi64ELi128ELi16EfEEv20rocsparse_direction_iiPKiS3_PT2_S3_PiS3_S6_21rocsparse_index_base_.has_indirect_call, 0
	.section	.AMDGPU.csdata,"",@progbits
; Kernel info:
; codeLenInByte = 4700
; TotalNumSgprs: 48
; NumVgprs: 40
; ScratchSize: 0
; MemoryBound: 0
; FloatMode: 240
; IeeeMode: 1
; LDSByteSize: 5888 bytes/workgroup (compile time only)
; SGPRBlocks: 0
; VGPRBlocks: 2
; NumSGPRsForWavesPerEU: 48
; NumVGPRsForWavesPerEU: 40
; NamedBarCnt: 0
; Occupancy: 14
; WaveLimiterHint : 1
; COMPUTE_PGM_RSRC2:SCRATCH_EN: 0
; COMPUTE_PGM_RSRC2:USER_SGPR: 2
; COMPUTE_PGM_RSRC2:TRAP_HANDLER: 0
; COMPUTE_PGM_RSRC2:TGID_X_EN: 1
; COMPUTE_PGM_RSRC2:TGID_Y_EN: 0
; COMPUTE_PGM_RSRC2:TGID_Z_EN: 0
; COMPUTE_PGM_RSRC2:TIDIG_COMP_CNT: 1
	.section	.text._ZN9rocsparseL19bsric0_17_32_kernelILi64ELi128ELi32EfEEv20rocsparse_direction_iiPKiS3_PT2_S3_PiS3_S6_21rocsparse_index_base_,"axG",@progbits,_ZN9rocsparseL19bsric0_17_32_kernelILi64ELi128ELi32EfEEv20rocsparse_direction_iiPKiS3_PT2_S3_PiS3_S6_21rocsparse_index_base_,comdat
	.globl	_ZN9rocsparseL19bsric0_17_32_kernelILi64ELi128ELi32EfEEv20rocsparse_direction_iiPKiS3_PT2_S3_PiS3_S6_21rocsparse_index_base_ ; -- Begin function _ZN9rocsparseL19bsric0_17_32_kernelILi64ELi128ELi32EfEEv20rocsparse_direction_iiPKiS3_PT2_S3_PiS3_S6_21rocsparse_index_base_
	.p2align	8
	.type	_ZN9rocsparseL19bsric0_17_32_kernelILi64ELi128ELi32EfEEv20rocsparse_direction_iiPKiS3_PT2_S3_PiS3_S6_21rocsparse_index_base_,@function
_ZN9rocsparseL19bsric0_17_32_kernelILi64ELi128ELi32EfEEv20rocsparse_direction_iiPKiS3_PT2_S3_PiS3_S6_21rocsparse_index_base_: ; @_ZN9rocsparseL19bsric0_17_32_kernelILi64ELi128ELi32EfEEv20rocsparse_direction_iiPKiS3_PT2_S3_PiS3_S6_21rocsparse_index_base_
; %bb.0:
	s_load_b256 s[8:15], s[0:1], 0x28
	s_bfe_u32 s2, ttmp6, 0x4000c
	s_and_b32 s3, ttmp6, 15
	s_add_co_i32 s2, s2, 1
	s_getreg_b32 s4, hwreg(HW_REG_IB_STS2, 6, 4)
	s_mul_i32 s2, ttmp9, s2
	v_and_b32_e32 v2, 0x3ff, v0
	s_add_co_i32 s3, s3, s2
	s_cmp_eq_u32 s4, 0
	v_bfe_u32 v3, v0, 10, 10
	s_cselect_b32 s2, ttmp9, s3
	s_wait_kmcnt 0x0
	s_load_b32 s12, s[12:13], s2 offset:0x0 scale_offset
	s_wait_kmcnt 0x0
	s_ashr_i32 s13, s12, 31
	s_delay_alu instid0(SALU_CYCLE_1) | instskip(NEXT) | instid1(SALU_CYCLE_1)
	s_lshl_b64 s[6:7], s[12:13], 2
	s_add_nc_u64 s[2:3], s[8:9], s[6:7]
	s_load_b32 s13, s[2:3], 0x0
	s_load_b32 s5, s[0:1], 0x48
	s_wait_kmcnt 0x0
	s_cmp_lg_u32 s13, -1
	s_cbranch_scc0 .LBB18_132
; %bb.1:
	s_clause 0x1
	s_load_b128 s[16:19], s[0:1], 0x10
	s_load_b64 s[20:21], s[0:1], 0x20
	v_dual_lshlrev_b32 v0, 1, v3 :: v_dual_lshlrev_b32 v4, 2, v2
	s_wait_kmcnt 0x0
	s_add_nc_u64 s[2:3], s[16:17], s[6:7]
	s_load_b32 s2, s[2:3], 0x0
	s_wait_kmcnt 0x0
	s_sub_co_i32 s33, s2, s5
	s_mov_b32 s2, exec_lo
	v_add3_u32 v0, v0, v2, s33
	s_delay_alu instid0(VALU_DEP_1)
	v_cmpx_ge_i32_e64 s13, v0
	s_cbranch_execz .LBB18_4
; %bb.2:
	v_dual_lshlrev_b32 v1, 3, v3 :: v_dual_lshlrev_b32 v5, 2, v2
	s_mov_b32 s3, 0
	s_delay_alu instid0(VALU_DEP_1)
	v_add3_u32 v1, v1, v5, 0x3580
.LBB18_3:                               ; =>This Inner Loop Header: Depth=1
	global_load_b32 v5, v0, s[18:19] scale_offset
	s_wait_xcnt 0x0
	v_add_nc_u32_e32 v0, 64, v0
	s_delay_alu instid0(VALU_DEP_1)
	v_cmp_lt_i32_e32 vcc_lo, s13, v0
	s_or_b32 s3, vcc_lo, s3
	s_wait_loadcnt 0x0
	v_subrev_nc_u32_e32 v5, s5, v5
	ds_store_b32 v1, v5
	v_add_nc_u32_e32 v1, 0x100, v1
	s_and_not1_b32 exec_lo, exec_lo, s3
	s_cbranch_execnz .LBB18_3
.LBB18_4:
	s_or_b32 exec_lo, exec_lo, s2
	v_mul_u32_u24_e32 v5, 0x84, v3
	s_mov_b32 s2, exec_lo
	v_cmpx_gt_u32_e32 32, v2
	s_cbranch_execz .LBB18_7
; %bb.5:
	v_dual_lshlrev_b32 v1, 2, v2 :: v_dual_add_nc_u32 v0, -2, v2
	v_mov_b32_e32 v6, 0
	s_mov_b32 s3, 0
	s_delay_alu instid0(VALU_DEP_2)
	v_add3_u32 v1, v5, v1, 0x2100
.LBB18_6:                               ; =>This Inner Loop Header: Depth=1
	s_delay_alu instid0(VALU_DEP_3) | instskip(SKIP_4) | instid1(SALU_CYCLE_1)
	v_add_nc_u32_e32 v0, 2, v0
	ds_store_b32 v1, v6
	v_add_nc_u32_e32 v1, 8, v1
	v_cmp_lt_u32_e32 vcc_lo, 29, v0
	s_or_b32 s3, vcc_lo, s3
	s_and_not1_b32 exec_lo, exec_lo, s3
	s_cbranch_execnz .LBB18_6
.LBB18_7:
	s_or_b32 exec_lo, exec_lo, s2
	s_clause 0x1
	s_load_b32 s30, s[0:1], 0x8
	s_load_b32 s31, s[0:1], 0x0
	v_mul_u32_u24_e32 v6, 0x84, v2
	s_cmp_ge_i32 s33, s13
	s_wait_dscnt 0x0
	s_wait_kmcnt 0x0
	v_cmp_gt_i32_e64 s0, s30, v2
	v_xad_u32 v7, v2, -1, s30
	s_cbranch_scc1 .LBB18_86
; %bb.8:
	s_delay_alu instid0(VALU_DEP_1) | instskip(SKIP_3) | instid1(VALU_DEP_4)
	v_dual_lshrrev_b32 v0, 1, v7 :: v_dual_lshlrev_b32 v11, 2, v2
	v_mad_u32 v1, s30, s33, v3
	v_mul_lo_u32 v9, s30, v3
	v_mul_lo_u32 v14, v2, s30
	v_dual_add_nc_u32 v0, 1, v0 :: v_dual_bitop2_b32 v12, v2, v3 bitop3:0x54
	v_mad_u32_u24 v13, 0x84, v3, v11
	s_movk_i32 s22, 0x1080
	s_cmp_eq_u32 s31, 0
	s_delay_alu instid0(VALU_DEP_2) | instskip(SKIP_3) | instid1(VALU_DEP_4)
	v_dual_mov_b32 v22, 0 :: v_dual_bitop2_b32 v10, -4, v0 bitop3:0x40
	v_cmp_ne_u32_e64 s2, 0, v12
	v_mul_lo_u32 v17, s30, v1
	v_mad_u32_u24 v8, 0x84, v3, s22
	v_lshl_add_u32 v12, v10, 1, v2
	v_mad_u32_u24 v16, 0x84, v2, s22
	s_movk_i32 s22, 0x2100
	s_cselect_b32 s34, -1, 0
	s_cmp_lg_u32 s31, 0
	v_mul_lo_u32 v20, 0x84, v12
	v_cmp_gt_i32_e64 s1, s30, v3
	v_cmp_lt_u32_e64 s3, 5, v7
	v_cmp_ne_u32_e64 s4, v0, v10
	v_mul_u32_u24_e32 v15, 0x84, v2
	v_add_nc_u32_e32 v18, 0x2100, v13
	v_mad_u32_u24 v19, 0x84, v3, s22
	v_add_nc_u32_e32 v21, 0x1080, v13
	v_lshlrev_b32_e32 v23, 2, v12
	s_cselect_b32 s35, -1, 0
	s_cmp_gt_i32 s30, 0
	s_mul_i32 s37, s30, s30
	s_cselect_b32 s36, -1, 0
	s_lshl_b32 s38, s30, 1
	s_mov_b32 s22, s33
	s_branch .LBB18_10
.LBB18_9:                               ;   in Loop: Header=BB18_10 Depth=1
	s_or_b32 exec_lo, exec_lo, s24
	s_add_co_i32 s22, s22, 1
	v_add_nc_u32_e32 v17, s37, v17
	s_cmp_ge_i32 s22, s13
	global_wb scope:SCOPE_DEV
	s_wait_storecnt 0x0
	global_inv scope:SCOPE_DEV
	s_cselect_b32 s23, -1, 0
	s_delay_alu instid0(SALU_CYCLE_1)
	s_and_b32 vcc_lo, exec_lo, s23
	s_cbranch_vccnz .LBB18_86
.LBB18_10:                              ; =>This Loop Header: Depth=1
                                        ;     Child Loop BB18_14 Depth 2
                                        ;     Child Loop BB18_26 Depth 2
	;; [unrolled: 1-line block ×4, first 2 shown]
                                        ;       Child Loop BB18_43 Depth 3
                                        ;         Child Loop BB18_48 Depth 4
                                        ;     Child Loop BB18_57 Depth 2
                                        ;       Child Loop BB18_64 Depth 3
                                        ;       Child Loop BB18_69 Depth 3
	;; [unrolled: 1-line block ×3, first 2 shown]
                                        ;     Child Loop BB18_80 Depth 2
	s_ashr_i32 s23, s22, 31
	s_delay_alu instid0(SALU_CYCLE_1) | instskip(NEXT) | instid1(SALU_CYCLE_1)
	s_lshl_b64 s[24:25], s[22:23], 2
	s_add_nc_u64 s[24:25], s[18:19], s[24:25]
	s_load_b32 s39, s[24:25], 0x0
	s_wait_kmcnt 0x0
	s_sub_co_i32 s26, s39, s5
	s_delay_alu instid0(SALU_CYCLE_1) | instskip(SKIP_2) | instid1(SALU_CYCLE_1)
	s_ashr_i32 s27, s26, 31
	s_wait_xcnt 0x0
	s_lshl_b64 s[24:25], s[26:27], 2
	s_add_nc_u64 s[28:29], s[8:9], s[24:25]
	s_load_b32 s27, s[28:29], 0x0
	s_wait_kmcnt 0x0
	s_cmp_eq_u32 s27, -1
	s_cbranch_scc1 .LBB18_85
; %bb.11:                               ;   in Loop: Header=BB18_10 Depth=1
	s_wait_xcnt 0x0
	s_add_nc_u64 s[28:29], s[16:17], s[24:25]
	s_mul_i32 s23, s22, s30
	s_load_b32 s28, s[28:29], 0x0
	s_wait_xcnt 0x0
	s_and_saveexec_b32 s29, s0
	s_cbranch_execz .LBB18_24
; %bb.12:                               ;   in Loop: Header=BB18_10 Depth=1
	v_dual_mov_b32 v0, v13 :: v_dual_mov_b32 v1, v2
	s_mov_b32 s40, 0
	s_branch .LBB18_14
.LBB18_13:                              ;   in Loop: Header=BB18_14 Depth=2
	s_wait_xcnt 0x0
	s_or_b32 exec_lo, exec_lo, s42
	v_add_nc_u32_e32 v1, 2, v1
	s_wait_loadcnt 0x0
	ds_store_b32 v0, v25 offset:4224
	ds_store_b32 v0, v22
	v_add_nc_u32_e32 v0, 8, v0
	v_cmp_le_i32_e32 vcc_lo, s30, v1
	s_or_b32 s40, vcc_lo, s40
	s_delay_alu instid0(SALU_CYCLE_1)
	s_and_not1_b32 exec_lo, exec_lo, s40
	s_cbranch_execz .LBB18_24
.LBB18_14:                              ;   Parent Loop BB18_10 Depth=1
                                        ; =>  This Inner Loop Header: Depth=2
	s_mov_b32 s42, -1
	s_and_b32 vcc_lo, exec_lo, s35
	s_mov_b32 s41, 0
                                        ; implicit-def: $vgpr24
	s_cbranch_vccz .LBB18_19
; %bb.15:                               ;   in Loop: Header=BB18_14 Depth=2
	s_mov_b32 s42, 0
                                        ; implicit-def: $vgpr24
	s_and_saveexec_b32 s43, s1
	s_delay_alu instid0(SALU_CYCLE_1)
	s_xor_b32 s43, exec_lo, s43
; %bb.16:                               ;   in Loop: Header=BB18_14 Depth=2
	v_add_nc_u32_e32 v24, s23, v1
	s_mov_b32 s41, exec_lo
	s_delay_alu instid0(VALU_DEP_1)
	v_mad_u32 v24, v24, s30, v3
; %bb.17:                               ;   in Loop: Header=BB18_14 Depth=2
	s_or_b32 exec_lo, exec_lo, s43
	s_delay_alu instid0(SALU_CYCLE_1)
	s_and_b32 vcc_lo, exec_lo, s42
	s_cbranch_vccnz .LBB18_20
.LBB18_18:                              ;   in Loop: Header=BB18_14 Depth=2
	v_mov_b32_e32 v25, 0
	s_and_saveexec_b32 s42, s41
	s_cbranch_execz .LBB18_13
	s_branch .LBB18_23
.LBB18_19:                              ;   in Loop: Header=BB18_14 Depth=2
	s_and_b32 vcc_lo, exec_lo, s42
	s_cbranch_vccz .LBB18_18
.LBB18_20:                              ;   in Loop: Header=BB18_14 Depth=2
                                        ; implicit-def: $vgpr24
	s_and_saveexec_b32 s42, s1
; %bb.21:                               ;   in Loop: Header=BB18_14 Depth=2
	v_add_nc_u32_e32 v24, v17, v1
	s_or_b32 s41, s41, exec_lo
; %bb.22:                               ;   in Loop: Header=BB18_14 Depth=2
	s_or_b32 exec_lo, exec_lo, s42
	v_mov_b32_e32 v25, 0
	s_and_saveexec_b32 s42, s41
	s_cbranch_execz .LBB18_13
.LBB18_23:                              ;   in Loop: Header=BB18_14 Depth=2
	global_load_b32 v25, v24, s[20:21] scale_offset
	s_branch .LBB18_13
.LBB18_24:                              ;   in Loop: Header=BB18_10 Depth=1
	s_or_b32 exec_lo, exec_lo, s29
	ds_load_b32 v0, v22 offset:13696
	s_wait_kmcnt 0x0
	s_sub_co_i32 s28, s28, s5
	s_delay_alu instid0(SALU_CYCLE_1) | instskip(SKIP_4) | instid1(SALU_CYCLE_1)
	s_cmp_le_i32 s28, s27
	s_cselect_b32 s29, -1, 0
	s_wait_dscnt 0x0
	v_cmp_ge_i32_e32 vcc_lo, s26, v0
	s_and_b32 s29, s29, vcc_lo
	s_and_not1_b32 vcc_lo, exec_lo, s29
	s_mov_b32 s29, 0
	s_cbranch_vccnz .LBB18_36
; %bb.25:                               ;   in Loop: Header=BB18_10 Depth=1
	s_mov_b32 s40, 0
	s_mov_b32 s41, 0
.LBB18_26:                              ;   Parent Loop BB18_10 Depth=1
                                        ; =>  This Inner Loop Header: Depth=2
	s_ashr_i32 s29, s28, 31
	s_lshl_b32 s44, s41, 2
	s_lshl_b64 s[42:43], s[28:29], 2
	v_mov_b32_e32 v0, s44
	s_add_nc_u64 s[42:43], s[18:19], s[42:43]
	s_mov_b32 s45, -1
	s_load_b32 s29, s[42:43], 0x0
                                        ; implicit-def: $sgpr44
                                        ; implicit-def: $sgpr43
	ds_load_b32 v0, v0 offset:13696
	s_wait_kmcnt 0x0
	s_sub_co_i32 s46, s29, s5
                                        ; implicit-def: $sgpr29
	s_wait_dscnt 0x0
	s_wait_xcnt 0x0
	v_readfirstlane_b32 s42, v0
	v_cmp_ge_i32_e32 vcc_lo, s46, v0
	s_cbranch_vccz .LBB18_32
; %bb.27:                               ;   in Loop: Header=BB18_26 Depth=2
	s_cmp_le_i32 s46, s42
                                        ; implicit-def: $sgpr29
                                        ; implicit-def: $sgpr44
                                        ; implicit-def: $sgpr43
	s_cbranch_scc0 .LBB18_29
; %bb.28:                               ;   in Loop: Header=BB18_26 Depth=2
	s_add_co_i32 s29, s41, s33
	s_lshl_b32 s43, s40, 2
	s_mul_i32 s29, s29, s37
	s_mul_i32 s44, s28, s37
	s_delay_alu instid0(SALU_CYCLE_1)
	v_dual_mov_b32 v0, s29 :: v_dual_mov_b32 v1, s44
	v_add_nc_u32_e64 v24, 0x80, s43
	s_add_co_i32 s43, s41, 1
	s_add_co_i32 s44, s28, 1
	s_add_co_i32 s29, s40, 1
	s_mov_b32 s45, 0
	ds_store_2addr_stride64_b32 v24, v1, v0 offset0:49 offset1:51
.LBB18_29:                              ;   in Loop: Header=BB18_26 Depth=2
	s_and_not1_b32 vcc_lo, exec_lo, s45
	s_cbranch_vccnz .LBB18_31
; %bb.30:                               ;   in Loop: Header=BB18_26 Depth=2
	s_add_co_i32 s43, s41, 1
	s_mov_b32 s29, s40
	s_mov_b32 s44, s28
.LBB18_31:                              ;   in Loop: Header=BB18_26 Depth=2
	s_mov_b32 s45, 0
.LBB18_32:                              ;   in Loop: Header=BB18_26 Depth=2
	s_delay_alu instid0(SALU_CYCLE_1)
	s_and_not1_b32 vcc_lo, exec_lo, s45
	s_cbranch_vccnz .LBB18_34
; %bb.33:                               ;   in Loop: Header=BB18_26 Depth=2
	s_add_co_i32 s44, s28, 1
	s_mov_b32 s43, s41
	s_mov_b32 s29, s40
.LBB18_34:                              ;   in Loop: Header=BB18_26 Depth=2
	s_cmp_le_i32 s44, s27
	s_cselect_b32 s28, -1, 0
	s_cmp_le_i32 s42, s26
	s_cselect_b32 s40, -1, 0
	s_delay_alu instid0(SALU_CYCLE_1) | instskip(NEXT) | instid1(SALU_CYCLE_1)
	s_and_b32 s28, s28, s40
	s_and_b32 vcc_lo, exec_lo, s28
	s_cbranch_vccz .LBB18_36
; %bb.35:                               ;   in Loop: Header=BB18_26 Depth=2
	s_mov_b32 s40, s29
	s_mov_b32 s28, s44
	;; [unrolled: 1-line block ×3, first 2 shown]
	s_branch .LBB18_26
.LBB18_36:                              ;   in Loop: Header=BB18_10 Depth=1
	s_add_nc_u64 s[24:25], s[10:11], s[24:25]
	s_wait_dscnt 0x0
.LBB18_37:                              ;   Parent Loop BB18_10 Depth=1
                                        ; =>  This Inner Loop Header: Depth=2
	global_load_b32 v0, v22, s[24:25] scope:SCOPE_DEV
	s_wait_loadcnt 0x0
	v_cmp_eq_u32_e32 vcc_lo, 0, v0
	s_cbranch_vccnz .LBB18_37
; %bb.38:                               ;   in Loop: Header=BB18_10 Depth=1
	s_cmp_lt_i32 s29, 2
	global_inv scope:SCOPE_DEV
	s_cbranch_scc1 .LBB18_54
; %bb.39:                               ;   in Loop: Header=BB18_10 Depth=1
	s_wait_xcnt 0x0
	s_add_co_i32 s24, s29, -2
	s_mov_b32 s25, 0
	s_branch .LBB18_41
.LBB18_40:                              ;   in Loop: Header=BB18_41 Depth=2
	s_or_b32 exec_lo, exec_lo, s26
	s_add_co_i32 s26, s25, 1
	s_cmp_eq_u32 s25, s24
	s_mov_b32 s25, s26
	s_cbranch_scc1 .LBB18_54
.LBB18_41:                              ;   Parent Loop BB18_10 Depth=1
                                        ; =>  This Loop Header: Depth=2
                                        ;       Child Loop BB18_43 Depth 3
                                        ;         Child Loop BB18_48 Depth 4
	s_and_saveexec_b32 s26, s0
	s_cbranch_execz .LBB18_40
; %bb.42:                               ;   in Loop: Header=BB18_41 Depth=2
	s_lshl_b32 s28, s25, 2
	s_delay_alu instid0(SALU_CYCLE_1)
	v_add_nc_u32_e64 v0, 0x80, s28
	s_mov_b32 s28, 0
	ds_load_2addr_stride64_b32 v[26:27], v0 offset0:49 offset1:51
	s_wait_dscnt 0x0
	v_dual_add_nc_u32 v0, v27, v9 :: v_dual_add_nc_u32 v24, v2, v26
	v_dual_add_nc_u32 v1, v3, v27 :: v_dual_add_nc_u32 v25, v14, v26
	v_mov_b32_e32 v26, v2
.LBB18_43:                              ;   Parent Loop BB18_10 Depth=1
                                        ;     Parent Loop BB18_41 Depth=2
                                        ; =>    This Loop Header: Depth=3
                                        ;         Child Loop BB18_48 Depth 4
	s_delay_alu instid0(VALU_DEP_3) | instskip(NEXT) | instid1(VALU_DEP_3)
	v_dual_mov_b32 v29, 0 :: v_dual_mov_b32 v27, v24
	v_mov_b32_e32 v28, v1
	s_mov_b32 s29, 0
	s_and_b32 vcc_lo, exec_lo, s35
	s_mov_b32 s40, -1
                                        ; implicit-def: $vgpr30
	s_cbranch_vccz .LBB18_48
	s_branch .LBB18_45
.LBB18_44:                              ;   in Loop: Header=BB18_48 Depth=4
	v_mov_b32_e32 v29, v30
	s_and_b32 vcc_lo, exec_lo, s35
	s_mov_b32 s40, -1
                                        ; implicit-def: $vgpr30
	s_cbranch_vccz .LBB18_48
.LBB18_45:                              ;   in Loop: Header=BB18_43 Depth=3
	global_load_b32 v30, v27, s[20:21] scale_offset
	v_mov_b32_e32 v31, 0
	s_wait_xcnt 0x0
	s_and_saveexec_b32 s40, s1
	s_cbranch_execz .LBB18_47
; %bb.46:                               ;   in Loop: Header=BB18_43 Depth=3
	global_load_b32 v31, v28, s[20:21] scale_offset
.LBB18_47:                              ;   in Loop: Header=BB18_43 Depth=3
	s_wait_xcnt 0x0
	s_or_b32 exec_lo, exec_lo, s40
	s_wait_loadcnt 0x0
	v_fma_f32 v30, v30, v31, v29
	s_mov_b32 s40, 0
.LBB18_48:                              ;   Parent Loop BB18_10 Depth=1
                                        ;     Parent Loop BB18_41 Depth=2
                                        ;       Parent Loop BB18_43 Depth=3
                                        ; =>      This Inner Loop Header: Depth=4
	s_delay_alu instid0(SALU_CYCLE_1)
	s_and_b32 vcc_lo, exec_lo, s40
	s_cbranch_vccz .LBB18_52
; %bb.49:                               ;   in Loop: Header=BB18_48 Depth=4
	v_dual_mov_b32 v31, 0 :: v_dual_add_nc_u32 v30, s29, v25
	global_load_b32 v30, v30, s[20:21] scale_offset
	s_wait_xcnt 0x0
	s_and_saveexec_b32 s40, s1
	s_cbranch_execz .LBB18_51
; %bb.50:                               ;   in Loop: Header=BB18_48 Depth=4
	v_add_nc_u32_e32 v31, s29, v0
	global_load_b32 v31, v31, s[20:21] scale_offset
.LBB18_51:                              ;   in Loop: Header=BB18_48 Depth=4
	s_wait_xcnt 0x0
	s_or_b32 exec_lo, exec_lo, s40
	s_wait_loadcnt 0x0
	v_fmac_f32_e32 v29, v30, v31
	s_delay_alu instid0(VALU_DEP_1)
	v_mov_b32_e32 v30, v29
.LBB18_52:                              ;   in Loop: Header=BB18_48 Depth=4
	v_dual_add_nc_u32 v28, s30, v28 :: v_dual_add_nc_u32 v27, s30, v27
	s_add_co_i32 s29, s29, 1
	s_delay_alu instid0(SALU_CYCLE_1)
	s_cmp_eq_u32 s30, s29
	s_cbranch_scc0 .LBB18_44
; %bb.53:                               ;   in Loop: Header=BB18_43 Depth=3
	v_lshl_add_u32 v27, v26, 2, v5
	v_dual_add_nc_u32 v24, 2, v24 :: v_dual_add_nc_u32 v25, s38, v25
	ds_load_b32 v28, v27
	s_wait_dscnt 0x0
	v_dual_add_nc_u32 v26, 2, v26 :: v_dual_add_f32 v28, v30, v28
	s_delay_alu instid0(VALU_DEP_1) | instskip(SKIP_2) | instid1(SALU_CYCLE_1)
	v_cmp_le_i32_e32 vcc_lo, s30, v26
	ds_store_b32 v27, v28
	s_or_b32 s28, vcc_lo, s28
	s_and_not1_b32 exec_lo, exec_lo, s28
	s_cbranch_execnz .LBB18_43
	s_branch .LBB18_40
.LBB18_54:                              ;   in Loop: Header=BB18_10 Depth=1
	s_and_not1_b32 vcc_lo, exec_lo, s36
	s_wait_loadcnt_dscnt 0x0
	s_cbranch_vccnz .LBB18_76
; %bb.55:                               ;   in Loop: Header=BB18_10 Depth=1
	v_mov_b32_e32 v24, v16
	s_wait_xcnt 0x0
	s_mul_i32 s24, s37, s27
	s_mov_b32 s25, 0
	s_movk_i32 s26, 0x1080
	s_mov_b32 s27, s24
	s_branch .LBB18_57
.LBB18_56:                              ;   in Loop: Header=BB18_57 Depth=2
	s_or_b32 exec_lo, exec_lo, s28
	v_add_nc_u32_e32 v24, 4, v24
	s_add_co_i32 s25, s25, 1
	s_add_co_i32 s27, s27, 1
	;; [unrolled: 1-line block ×3, first 2 shown]
	s_cmp_eq_u32 s25, s30
	s_wait_dscnt 0x0
	s_cbranch_scc1 .LBB18_76
.LBB18_57:                              ;   Parent Loop BB18_10 Depth=1
                                        ; =>  This Loop Header: Depth=2
                                        ;       Child Loop BB18_64 Depth 3
                                        ;       Child Loop BB18_69 Depth 3
	;; [unrolled: 1-line block ×3, first 2 shown]
	s_mul_i32 s28, s25, s30
	v_lshl_add_u32 v1, s25, 2, v8
	s_add_co_i32 s28, s28, s24
	s_delay_alu instid0(SALU_CYCLE_1) | instskip(NEXT) | instid1(SALU_CYCLE_1)
	s_add_co_i32 s29, s28, s25
	v_mov_b32_e32 v0, s29
	global_load_b32 v25, v0, s[20:21] scale_offset
	s_wait_xcnt 0x0
	ds_load_b32 v0, v1
	s_wait_loadcnt 0x0
	v_readfirstlane_b32 s29, v25
	s_cmp_neq_f32 s29, 0
	s_cselect_b32 vcc_lo, -1, 0
	v_cndmask_b32_e32 v25, 1.0, v25, vcc_lo
	s_nor_b32 s40, vcc_lo, s2
	s_delay_alu instid0(SALU_CYCLE_1)
	s_and_saveexec_b32 s29, s40
	s_cbranch_execz .LBB18_61
; %bb.58:                               ;   in Loop: Header=BB18_57 Depth=2
	v_mbcnt_lo_u32_b32 v25, exec_lo, 0
	s_mov_b32 s40, exec_lo
	s_delay_alu instid0(VALU_DEP_1)
	v_cmpx_eq_u32_e32 0, v25
	s_cbranch_execz .LBB18_60
; %bb.59:                               ;   in Loop: Header=BB18_57 Depth=2
	v_mov_b32_e32 v25, s39
	global_atomic_min_i32 v22, v25, s[14:15] scope:SCOPE_DEV
.LBB18_60:                              ;   in Loop: Header=BB18_57 Depth=2
	s_wait_xcnt 0x0
	s_or_b32 exec_lo, exec_lo, s40
	v_mov_b32_e32 v25, 1.0
.LBB18_61:                              ;   in Loop: Header=BB18_57 Depth=2
	s_or_b32 exec_lo, exec_lo, s29
	v_lshl_add_u32 v26, s25, 2, v5
	s_cmp_eq_u32 s25, 0
	ds_load_b32 v26, v26
	s_cbranch_scc1 .LBB18_66
; %bb.62:                               ;   in Loop: Header=BB18_57 Depth=2
	v_mov_b32_e32 v27, v8
	s_mov_b32 s29, 0
	s_mov_b32 s40, s25
	;; [unrolled: 1-line block ×3, first 2 shown]
	s_branch .LBB18_64
.LBB18_63:                              ;   in Loop: Header=BB18_64 Depth=3
	s_wait_xcnt 0x0
	v_mov_b32_e32 v28, s42
	ds_load_b32 v29, v27
	v_add_nc_u32_e32 v27, 4, v27
	s_add_co_i32 s40, s40, -1
	s_add_co_i32 s29, s29, 1
	global_load_b32 v28, v28, s[20:21] scale_offset
	s_add_co_i32 s41, s41, s30
	s_cmp_eq_u32 s40, 0
	s_wait_loadcnt_dscnt 0x0
	v_fmac_f32_e32 v26, v28, v29
	s_cbranch_scc1 .LBB18_66
.LBB18_64:                              ;   Parent Loop BB18_10 Depth=1
                                        ;     Parent Loop BB18_57 Depth=2
                                        ; =>    This Inner Loop Header: Depth=3
	s_and_not1_b32 vcc_lo, exec_lo, s34
	s_mov_b32 s42, s41
	s_cbranch_vccnz .LBB18_63
; %bb.65:                               ;   in Loop: Header=BB18_64 Depth=3
	s_add_co_i32 s42, s29, s28
	s_branch .LBB18_63
.LBB18_66:                              ;   in Loop: Header=BB18_57 Depth=2
	s_wait_dscnt 0x0
	s_delay_alu instid0(VALU_DEP_1) | instskip(NEXT) | instid1(VALU_DEP_1)
	v_sub_f32_e32 v0, v0, v26
	v_div_scale_f32 v26, null, v25, v25, v0
	v_div_scale_f32 v29, vcc_lo, v0, v25, v0
	s_delay_alu instid0(VALU_DEP_2) | instskip(SKIP_2) | instid1(TRANS32_DEP_1)
	v_rcp_f32_e32 v27, v26
	s_wait_xcnt 0x0
	v_nop
	v_fma_f32 v28, -v26, v27, 1.0
	s_delay_alu instid0(VALU_DEP_1) | instskip(NEXT) | instid1(VALU_DEP_1)
	v_fmac_f32_e32 v27, v28, v27
	v_mul_f32_e32 v28, v29, v27
	s_delay_alu instid0(VALU_DEP_1) | instskip(NEXT) | instid1(VALU_DEP_1)
	v_fma_f32 v30, -v26, v28, v29
	v_fmac_f32_e32 v28, v30, v27
	s_delay_alu instid0(VALU_DEP_1) | instskip(NEXT) | instid1(VALU_DEP_1)
	v_fma_f32 v26, -v26, v28, v29
	v_div_fmas_f32 v26, v26, v27, v28
	s_delay_alu instid0(VALU_DEP_1)
	v_div_fixup_f32 v0, v26, v25, v0
	ds_store_b32 v1, v0
	s_wait_storecnt_dscnt 0x0
	s_and_saveexec_b32 s28, s0
	s_cbranch_execz .LBB18_56
; %bb.67:                               ;   in Loop: Header=BB18_57 Depth=2
	v_dual_mov_b32 v1, v2 :: v_dual_mov_b32 v25, v11
	v_mov_b32_e32 v26, v15
	s_mov_b32 s40, -1
	s_and_saveexec_b32 s29, s3
	s_cbranch_execz .LBB18_73
; %bb.68:                               ;   in Loop: Header=BB18_57 Depth=2
	v_dual_mov_b32 v1, v0 :: v_dual_mov_b32 v25, v10
	v_dual_mov_b32 v26, v18 :: v_dual_mov_b32 v27, v24
	s_mov_b32 s40, 0
.LBB18_69:                              ;   Parent Loop BB18_10 Depth=1
                                        ;     Parent Loop BB18_57 Depth=2
                                        ; =>    This Inner Loop Header: Depth=3
	ds_load_2addr_b32 v[28:29], v27 offset1:66
	ds_load_2addr_b32 v[30:31], v27 offset0:132 offset1:198
	ds_load_2addr_b32 v[32:33], v26 offset1:2
	ds_load_2addr_b32 v[34:35], v26 offset0:4 offset1:6
	v_add_nc_u32_e32 v25, -4, v25
	v_add_nc_u32_e32 v27, 0x420, v27
	s_wait_dscnt 0x1
	v_pk_fma_f32 v[28:29], v[0:1], v[28:29], v[32:33]
	s_wait_dscnt 0x0
	v_pk_fma_f32 v[30:31], v[0:1], v[30:31], v[34:35]
	ds_store_2addr_b32 v26, v28, v29 offset1:2
	ds_store_2addr_b32 v26, v30, v31 offset0:4 offset1:6
	v_add_nc_u32_e32 v26, 32, v26
	v_cmp_eq_u32_e32 vcc_lo, 0, v25
	s_or_b32 s40, vcc_lo, s40
	s_delay_alu instid0(SALU_CYCLE_1)
	s_and_not1_b32 exec_lo, exec_lo, s40
	s_cbranch_execnz .LBB18_69
; %bb.70:                               ;   in Loop: Header=BB18_57 Depth=2
	s_or_b32 exec_lo, exec_lo, s40
	s_mov_b32 s40, 0
	s_and_saveexec_b32 s41, s4
; %bb.71:                               ;   in Loop: Header=BB18_57 Depth=2
	s_mov_b32 s40, exec_lo
; %bb.72:                               ;   in Loop: Header=BB18_57 Depth=2
	s_or_b32 exec_lo, exec_lo, s41
	v_dual_mov_b32 v1, v12 :: v_dual_mov_b32 v25, v23
	v_mov_b32_e32 v26, v20
	s_or_not1_b32 s40, s40, exec_lo
.LBB18_73:                              ;   in Loop: Header=BB18_57 Depth=2
	s_or_b32 exec_lo, exec_lo, s29
	s_delay_alu instid0(SALU_CYCLE_1)
	s_and_b32 exec_lo, exec_lo, s40
	s_cbranch_execz .LBB18_56
; %bb.74:                               ;   in Loop: Header=BB18_57 Depth=2
	v_dual_add_nc_u32 v25, v19, v25 :: v_dual_add_nc_u32 v26, s26, v26
	s_mov_b32 s29, 0
.LBB18_75:                              ;   Parent Loop BB18_10 Depth=1
                                        ;     Parent Loop BB18_57 Depth=2
                                        ; =>    This Inner Loop Header: Depth=3
	ds_load_b32 v27, v26
	ds_load_b32 v28, v25
	v_add_nc_u32_e32 v1, 2, v1
	v_add_nc_u32_e32 v26, 0x108, v26
	s_wait_dscnt 0x0
	v_fmac_f32_e32 v28, v0, v27
	s_delay_alu instid0(VALU_DEP_3) | instskip(SKIP_3) | instid1(SALU_CYCLE_1)
	v_cmp_le_i32_e32 vcc_lo, s30, v1
	ds_store_b32 v25, v28
	v_add_nc_u32_e32 v25, 8, v25
	s_or_b32 s29, vcc_lo, s29
	s_and_not1_b32 exec_lo, exec_lo, s29
	s_cbranch_execnz .LBB18_75
	s_branch .LBB18_56
.LBB18_76:                              ;   in Loop: Header=BB18_10 Depth=1
	s_wait_xcnt 0x0
	s_and_saveexec_b32 s24, s0
	s_cbranch_execz .LBB18_9
; %bb.77:                               ;   in Loop: Header=BB18_10 Depth=1
	v_dual_mov_b32 v0, v21 :: v_dual_mov_b32 v1, v2
	s_mov_b32 s25, 0
	s_branch .LBB18_80
.LBB18_78:                              ;   in Loop: Header=BB18_80 Depth=2
	s_wait_dscnt 0x0
	global_store_b32 v25, v24, s[20:21] scale_offset
.LBB18_79:                              ;   in Loop: Header=BB18_80 Depth=2
	s_wait_xcnt 0x0
	s_or_b32 exec_lo, exec_lo, s26
	v_dual_add_nc_u32 v1, 2, v1 :: v_dual_add_nc_u32 v0, 8, v0
	s_delay_alu instid0(VALU_DEP_1) | instskip(SKIP_1) | instid1(SALU_CYCLE_1)
	v_cmp_le_i32_e32 vcc_lo, s30, v1
	s_or_b32 s25, vcc_lo, s25
	s_and_not1_b32 exec_lo, exec_lo, s25
	s_cbranch_execz .LBB18_9
.LBB18_80:                              ;   Parent Loop BB18_10 Depth=1
                                        ; =>  This Inner Loop Header: Depth=2
	s_and_saveexec_b32 s26, s1
	s_cbranch_execz .LBB18_79
; %bb.81:                               ;   in Loop: Header=BB18_80 Depth=2
	ds_load_b32 v24, v0
	s_and_b32 vcc_lo, exec_lo, s35
	s_mov_b32 s27, -1
                                        ; implicit-def: $vgpr25
	s_cbranch_vccz .LBB18_83
; %bb.82:                               ;   in Loop: Header=BB18_80 Depth=2
	v_add_nc_u32_e32 v25, s23, v1
	s_mov_b32 s27, 0
	s_delay_alu instid0(VALU_DEP_1)
	v_mad_u32 v25, v25, s30, v3
.LBB18_83:                              ;   in Loop: Header=BB18_80 Depth=2
	s_and_not1_b32 vcc_lo, exec_lo, s27
	s_cbranch_vccnz .LBB18_78
; %bb.84:                               ;   in Loop: Header=BB18_80 Depth=2
	v_add_nc_u32_e32 v25, v17, v1
	s_branch .LBB18_78
.LBB18_85:                              ;   in Loop: Header=BB18_10 Depth=1
                                        ; implicit-def: $sgpr22
                                        ; implicit-def: $vgpr17
	s_cbranch_execz .LBB18_10
.LBB18_86:
	v_cmp_gt_i32_e64 s0, s30, v2
	s_and_saveexec_b32 s2, s0
	s_cbranch_execz .LBB18_99
; %bb.87:
	s_mul_i32 s3, s13, s30
	v_cmp_gt_i32_e64 s1, s30, v3
	v_dual_add_nc_u32 v0, s3, v3 :: v_dual_lshlrev_b32 v1, 2, v2
	v_mov_b32_e32 v8, v2
	s_cmp_lg_u32 s31, 0
	s_mov_b32 s4, 0
	s_delay_alu instid0(VALU_DEP_2)
	v_mul_lo_u32 v0, v0, s30
	v_add3_u32 v1, v5, v1, 0x1080
	s_cselect_b32 s8, -1, 0
	s_branch .LBB18_89
.LBB18_88:                              ;   in Loop: Header=BB18_89 Depth=1
	s_wait_xcnt 0x0
	s_or_b32 exec_lo, exec_lo, s16
	v_add_nc_u32_e32 v8, 2, v8
	s_wait_loadcnt 0x0
	ds_store_b32 v1, v10
	v_add_nc_u32_e32 v1, 8, v1
	v_cmp_le_i32_e32 vcc_lo, s30, v8
	s_or_b32 s4, vcc_lo, s4
	s_delay_alu instid0(SALU_CYCLE_1)
	s_and_not1_b32 exec_lo, exec_lo, s4
	s_cbranch_execz .LBB18_99
.LBB18_89:                              ; =>This Inner Loop Header: Depth=1
	s_and_b32 vcc_lo, exec_lo, s8
	s_cbranch_vccz .LBB18_96
; %bb.90:                               ;   in Loop: Header=BB18_89 Depth=1
	s_mov_b32 s16, 0
	s_mov_b32 s9, 0
                                        ; implicit-def: $vgpr9
	s_and_saveexec_b32 s17, s1
	s_delay_alu instid0(SALU_CYCLE_1)
	s_xor_b32 s17, exec_lo, s17
; %bb.91:                               ;   in Loop: Header=BB18_89 Depth=1
	v_add_nc_u32_e32 v9, s3, v8
	s_mov_b32 s9, exec_lo
	s_delay_alu instid0(VALU_DEP_1)
	v_mad_u32 v9, v9, s30, v3
; %bb.92:                               ;   in Loop: Header=BB18_89 Depth=1
	s_or_b32 exec_lo, exec_lo, s17
	s_delay_alu instid0(SALU_CYCLE_1)
	s_and_b32 vcc_lo, exec_lo, s16
	s_cbranch_vccz .LBB18_97
.LBB18_93:                              ;   in Loop: Header=BB18_89 Depth=1
                                        ; implicit-def: $vgpr9
	s_and_saveexec_b32 s16, s1
; %bb.94:                               ;   in Loop: Header=BB18_89 Depth=1
	s_delay_alu instid0(VALU_DEP_2)
	v_add_nc_u32_e32 v9, v0, v8
	s_or_b32 s9, s9, exec_lo
; %bb.95:                               ;   in Loop: Header=BB18_89 Depth=1
	s_or_b32 exec_lo, exec_lo, s16
	v_mov_b32_e32 v10, 0
	s_and_saveexec_b32 s16, s9
	s_cbranch_execz .LBB18_88
	s_branch .LBB18_98
.LBB18_96:                              ;   in Loop: Header=BB18_89 Depth=1
	s_mov_b32 s9, 0
                                        ; implicit-def: $vgpr9
	s_cbranch_execnz .LBB18_93
.LBB18_97:                              ;   in Loop: Header=BB18_89 Depth=1
	v_mov_b32_e32 v10, 0
	s_and_saveexec_b32 s16, s9
	s_cbranch_execz .LBB18_88
.LBB18_98:                              ;   in Loop: Header=BB18_89 Depth=1
	global_load_b32 v10, v9, s[20:21] scale_offset
	s_branch .LBB18_88
.LBB18_99:
	s_or_b32 exec_lo, exec_lo, s2
	s_cmp_lt_i32 s30, 1
	s_wait_loadcnt_dscnt 0x0
	s_cbranch_scc1 .LBB18_119
; %bb.100:
	s_movk_i32 s4, 0x84
	v_dual_mov_b32 v16, 0 :: v_dual_lshlrev_b32 v13, 2, v3
	v_mad_u32_u24 v8, v3, s4, 0x1080
	v_lshrrev_b32_e32 v0, 1, v7
	s_movk_i32 s1, 0x2100
	v_cmp_lt_u32_e64 s2, 5, v7
	s_delay_alu instid0(VALU_DEP_3) | instskip(NEXT) | instid1(VALU_DEP_3)
	v_dual_add_nc_u32 v12, v8, v13 :: v_dual_bitop2_b32 v1, v2, v3 bitop3:0x54
	v_add_nc_u32_e32 v0, 1, v0
	v_mad_u32_u24 v10, 0x84, v3, s1
	v_mad_u32_u24 v7, v2, s4, 0x1080
	s_delay_alu instid0(VALU_DEP_4) | instskip(SKIP_1) | instid1(VALU_DEP_4)
	v_cmp_ne_u32_e64 s1, 0, v1
	v_add3_u32 v15, v5, v4, 0x2100
	v_dual_add_nc_u32 v13, v10, v13 :: v_dual_bitop2_b32 v9, -4, v0 bitop3:0x40
	s_movk_i32 s8, 0x1080
	s_mov_b32 s9, 0
	s_add_co_i32 s16, s12, s5
	s_delay_alu instid0(VALU_DEP_1) | instskip(SKIP_1) | instid1(VALU_DEP_2)
	v_lshl_add_u32 v11, v9, 1, v2
	v_cmp_ne_u32_e64 s3, v0, v9
	v_mul_lo_u32 v14, 0x84, v11
	v_lshlrev_b32_e32 v17, 2, v11
	s_branch .LBB18_102
.LBB18_101:                             ;   in Loop: Header=BB18_102 Depth=1
	s_or_b32 exec_lo, exec_lo, s4
	v_add_nc_u32_e32 v7, 4, v7
	s_add_co_i32 s9, s9, 1
	s_add_co_i32 s8, s8, 4
	s_cmp_eq_u32 s9, s30
	s_wait_storecnt_dscnt 0x0
	s_cbranch_scc1 .LBB18_119
.LBB18_102:                             ; =>This Loop Header: Depth=1
                                        ;     Child Loop BB18_112 Depth 2
                                        ;     Child Loop BB18_118 Depth 2
	s_mov_b32 s17, exec_lo
	v_cmpx_eq_u32_e64 s9, v3
	s_cbranch_execz .LBB18_104
; %bb.103:                              ;   in Loop: Header=BB18_102 Depth=1
	ds_load_b32 v0, v12
	ds_load_b32 v1, v13
	s_wait_dscnt 0x0
	v_sub_f32_e32 v0, v0, v1
	s_delay_alu instid0(VALU_DEP_1) | instskip(SKIP_1) | instid1(VALU_DEP_1)
	v_cmp_gt_f32_e32 vcc_lo, 0, v0
	v_cndmask_b32_e64 v0, v0, -v0, vcc_lo
	v_mul_f32_e32 v1, 0x4f800000, v0
	v_cmp_gt_f32_e32 vcc_lo, 0xf800000, v0
	s_delay_alu instid0(VALU_DEP_2) | instskip(NEXT) | instid1(VALU_DEP_1)
	v_cndmask_b32_e32 v0, v0, v1, vcc_lo
	v_sqrt_f32_e32 v1, v0
	v_nop
	s_delay_alu instid0(TRANS32_DEP_1) | instskip(NEXT) | instid1(VALU_DEP_1)
	v_dual_add_nc_u32 v18, -1, v1 :: v_dual_add_nc_u32 v19, 1, v1
	v_dual_fma_f32 v20, -v18, v1, v0 :: v_dual_fma_f32 v21, -v19, v1, v0
	s_delay_alu instid0(VALU_DEP_1) | instskip(NEXT) | instid1(VALU_DEP_1)
	v_cmp_ge_f32_e64 s4, 0, v20
	v_cndmask_b32_e64 v1, v1, v18, s4
	s_delay_alu instid0(VALU_DEP_3) | instskip(NEXT) | instid1(VALU_DEP_1)
	v_cmp_lt_f32_e64 s4, 0, v21
	v_cndmask_b32_e64 v1, v1, v19, s4
	s_delay_alu instid0(VALU_DEP_1) | instskip(NEXT) | instid1(VALU_DEP_1)
	v_mul_f32_e32 v18, 0x37800000, v1
	v_cndmask_b32_e32 v1, v1, v18, vcc_lo
	v_cmp_class_f32_e64 vcc_lo, v0, 0x260
	s_delay_alu instid0(VALU_DEP_2)
	v_cndmask_b32_e32 v0, v1, v0, vcc_lo
	ds_store_b32 v12, v0
.LBB18_104:                             ;   in Loop: Header=BB18_102 Depth=1
	s_or_b32 exec_lo, exec_lo, s17
	s_lshl_b32 s4, s9, 2
	s_mul_i32 s17, s9, 0x84
	s_wait_dscnt 0x0
	s_add_co_i32 s17, s17, s4
	s_delay_alu instid0(SALU_CYCLE_1)
	v_dual_mov_b32 v0, s17 :: v_dual_add_nc_u32 v1, s4, v8
	ds_load_b32 v18, v0 offset:4224
	ds_load_b32 v0, v1
	s_wait_dscnt 0x1
	v_readfirstlane_b32 s4, v18
	s_cmp_neq_f32 s4, 0
	s_cselect_b32 vcc_lo, -1, 0
	v_cndmask_b32_e32 v18, 1.0, v18, vcc_lo
	s_nor_b32 s17, vcc_lo, s1
	s_delay_alu instid0(SALU_CYCLE_1)
	s_and_saveexec_b32 s4, s17
	s_cbranch_execz .LBB18_108
; %bb.105:                              ;   in Loop: Header=BB18_102 Depth=1
	v_mbcnt_lo_u32_b32 v18, exec_lo, 0
	s_mov_b32 s17, exec_lo
	s_delay_alu instid0(VALU_DEP_1)
	v_cmpx_eq_u32_e32 0, v18
	s_cbranch_execz .LBB18_107
; %bb.106:                              ;   in Loop: Header=BB18_102 Depth=1
	v_mov_b32_e32 v18, s16
	global_atomic_min_i32 v16, v18, s[14:15] scope:SCOPE_DEV
.LBB18_107:                             ;   in Loop: Header=BB18_102 Depth=1
	s_wait_xcnt 0x0
	s_or_b32 exec_lo, exec_lo, s17
	v_mov_b32_e32 v18, 1.0
.LBB18_108:                             ;   in Loop: Header=BB18_102 Depth=1
	s_or_b32 exec_lo, exec_lo, s4
	s_delay_alu instid0(SALU_CYCLE_1)
	s_mov_b32 s4, exec_lo
	v_cmpx_lt_u32_e64 s9, v3
	s_cbranch_execz .LBB18_101
; %bb.109:                              ;   in Loop: Header=BB18_102 Depth=1
	v_lshl_add_u32 v19, s9, 2, v10
	ds_load_b32 v19, v19
	s_wait_dscnt 0x0
	v_sub_f32_e32 v0, v0, v19
	s_delay_alu instid0(VALU_DEP_1) | instskip(NEXT) | instid1(VALU_DEP_1)
	v_div_scale_f32 v19, null, v18, v18, v0
	v_rcp_f32_e32 v20, v19
	v_nop
	s_delay_alu instid0(TRANS32_DEP_1) | instskip(NEXT) | instid1(VALU_DEP_1)
	v_fma_f32 v21, -v19, v20, 1.0
	v_fmac_f32_e32 v20, v21, v20
	v_div_scale_f32 v22, vcc_lo, v0, v18, v0
	s_delay_alu instid0(VALU_DEP_1) | instskip(NEXT) | instid1(VALU_DEP_1)
	v_mul_f32_e32 v21, v22, v20
	v_fma_f32 v23, -v19, v21, v22
	s_delay_alu instid0(VALU_DEP_1) | instskip(NEXT) | instid1(VALU_DEP_1)
	v_fmac_f32_e32 v21, v23, v20
	v_fma_f32 v19, -v19, v21, v22
	s_delay_alu instid0(VALU_DEP_1) | instskip(NEXT) | instid1(VALU_DEP_1)
	v_div_fmas_f32 v19, v19, v20, v21
	v_div_fixup_f32 v0, v19, v18, v0
	ds_store_b32 v1, v0
	s_wait_storecnt_dscnt 0x0
	s_and_b32 exec_lo, exec_lo, s0
	s_cbranch_execz .LBB18_101
; %bb.110:                              ;   in Loop: Header=BB18_102 Depth=1
	v_dual_mov_b32 v1, v2 :: v_dual_mov_b32 v18, v4
	v_mov_b32_e32 v19, v6
	s_mov_b32 s18, -1
	s_and_saveexec_b32 s17, s2
	s_cbranch_execz .LBB18_116
; %bb.111:                              ;   in Loop: Header=BB18_102 Depth=1
	v_dual_mov_b32 v1, v0 :: v_dual_mov_b32 v18, v9
	v_dual_mov_b32 v19, v15 :: v_dual_mov_b32 v20, v7
	s_mov_b32 s18, 0
.LBB18_112:                             ;   Parent Loop BB18_102 Depth=1
                                        ; =>  This Inner Loop Header: Depth=2
	ds_load_2addr_b32 v[22:23], v20 offset1:66
	ds_load_2addr_b32 v[24:25], v20 offset0:132 offset1:198
	ds_load_2addr_b32 v[26:27], v19 offset1:2
	ds_load_2addr_b32 v[28:29], v19 offset0:4 offset1:6
	v_add_nc_u32_e32 v18, -4, v18
	v_add_nc_u32_e32 v20, 0x420, v20
	s_wait_dscnt 0x1
	v_pk_fma_f32 v[22:23], v[0:1], v[22:23], v[26:27]
	s_wait_dscnt 0x0
	v_pk_fma_f32 v[24:25], v[0:1], v[24:25], v[28:29]
	ds_store_2addr_b32 v19, v22, v23 offset1:2
	ds_store_2addr_b32 v19, v24, v25 offset0:4 offset1:6
	v_add_nc_u32_e32 v19, 32, v19
	v_cmp_eq_u32_e32 vcc_lo, 0, v18
	s_or_b32 s18, vcc_lo, s18
	s_delay_alu instid0(SALU_CYCLE_1)
	s_and_not1_b32 exec_lo, exec_lo, s18
	s_cbranch_execnz .LBB18_112
; %bb.113:                              ;   in Loop: Header=BB18_102 Depth=1
	s_or_b32 exec_lo, exec_lo, s18
	s_mov_b32 s18, 0
	s_and_saveexec_b32 s19, s3
; %bb.114:                              ;   in Loop: Header=BB18_102 Depth=1
	s_mov_b32 s18, exec_lo
; %bb.115:                              ;   in Loop: Header=BB18_102 Depth=1
	s_or_b32 exec_lo, exec_lo, s19
	v_dual_mov_b32 v1, v11 :: v_dual_mov_b32 v18, v17
	v_mov_b32_e32 v19, v14
	s_or_not1_b32 s18, s18, exec_lo
.LBB18_116:                             ;   in Loop: Header=BB18_102 Depth=1
	s_or_b32 exec_lo, exec_lo, s17
	s_delay_alu instid0(SALU_CYCLE_1)
	s_and_b32 exec_lo, exec_lo, s18
	s_cbranch_execz .LBB18_101
; %bb.117:                              ;   in Loop: Header=BB18_102 Depth=1
	v_dual_add_nc_u32 v18, v10, v18 :: v_dual_add_nc_u32 v19, s8, v19
	s_mov_b32 s17, 0
.LBB18_118:                             ;   Parent Loop BB18_102 Depth=1
                                        ; =>  This Inner Loop Header: Depth=2
	ds_load_b32 v20, v19
	ds_load_b32 v21, v18
	v_add_nc_u32_e32 v1, 2, v1
	v_add_nc_u32_e32 v19, 0x108, v19
	s_wait_dscnt 0x0
	v_fmac_f32_e32 v21, v0, v20
	s_delay_alu instid0(VALU_DEP_3) | instskip(SKIP_3) | instid1(SALU_CYCLE_1)
	v_cmp_le_i32_e32 vcc_lo, s30, v1
	ds_store_b32 v18, v21
	v_add_nc_u32_e32 v18, 8, v18
	s_or_b32 s17, vcc_lo, s17
	s_and_not1_b32 exec_lo, exec_lo, s17
	s_cbranch_execnz .LBB18_118
	s_branch .LBB18_101
.LBB18_119:
	s_and_saveexec_b32 s1, s0
	s_cbranch_execz .LBB18_128
; %bb.120:
	s_mul_i32 s13, s13, s30
	v_add3_u32 v1, v5, v4, 0x1080
	v_dual_add_nc_u32 v0, s13, v3 :: v_dual_mov_b32 v4, v2
	v_cmp_gt_i32_e64 s0, s30, v3
	s_cmp_lg_u32 s31, 0
	s_mov_b32 s2, 0
	v_mul_lo_u32 v0, v0, s30
	s_cselect_b32 s3, -1, 0
	s_branch .LBB18_124
.LBB18_121:                             ;   in Loop: Header=BB18_124 Depth=1
	v_add_nc_u32_e32 v6, v0, v4
.LBB18_122:                             ;   in Loop: Header=BB18_124 Depth=1
	s_wait_dscnt 0x0
	global_store_b32 v6, v5, s[20:21] scale_offset
.LBB18_123:                             ;   in Loop: Header=BB18_124 Depth=1
	s_wait_xcnt 0x0
	s_or_b32 exec_lo, exec_lo, s4
	v_dual_add_nc_u32 v4, 2, v4 :: v_dual_add_nc_u32 v1, 8, v1
	s_delay_alu instid0(VALU_DEP_1) | instskip(SKIP_1) | instid1(SALU_CYCLE_1)
	v_cmp_le_i32_e32 vcc_lo, s30, v4
	s_or_b32 s2, vcc_lo, s2
	s_and_not1_b32 exec_lo, exec_lo, s2
	s_cbranch_execz .LBB18_128
.LBB18_124:                             ; =>This Inner Loop Header: Depth=1
	s_and_saveexec_b32 s4, s0
	s_cbranch_execz .LBB18_123
; %bb.125:                              ;   in Loop: Header=BB18_124 Depth=1
	ds_load_b32 v5, v1
	s_and_b32 vcc_lo, exec_lo, s3
	s_cbranch_vccz .LBB18_127
; %bb.126:                              ;   in Loop: Header=BB18_124 Depth=1
	v_add_nc_u32_e32 v6, s13, v4
	s_delay_alu instid0(VALU_DEP_1)
	v_mad_u32 v6, v6, s30, v3
	s_cbranch_execnz .LBB18_122
	s_branch .LBB18_121
.LBB18_127:                             ;   in Loop: Header=BB18_124 Depth=1
                                        ; implicit-def: $vgpr6
	s_branch .LBB18_121
.LBB18_128:
	s_or_b32 exec_lo, exec_lo, s1
	v_or_b32_e32 v0, v2, v3
	s_mov_b32 s0, 0
	s_mov_b32 s1, exec_lo
	s_delay_alu instid0(VALU_DEP_1)
	v_cmpx_eq_u32_e32 0, v0
	s_cbranch_execz .LBB18_130
; %bb.129:
	v_dual_mov_b32 v0, 0 :: v_dual_mov_b32 v1, 1
	s_add_nc_u64 s[2:3], s[10:11], s[6:7]
	global_wb scope:SCOPE_DEV
	s_wait_storecnt 0x0
	global_store_b32 v0, v1, s[2:3] scope:SCOPE_DEV
.LBB18_130:
	s_wait_xcnt 0x0
	s_or_b32 exec_lo, exec_lo, s1
	s_delay_alu instid0(SALU_CYCLE_1)
	s_and_b32 vcc_lo, exec_lo, s0
	s_cbranch_vccnz .LBB18_133
.LBB18_131:
	s_endpgm
.LBB18_132:
	s_cbranch_execz .LBB18_131
.LBB18_133:
	v_or_b32_e32 v0, v2, v3
	s_mov_b32 s0, exec_lo
	s_delay_alu instid0(VALU_DEP_1)
	v_cmpx_eq_u32_e32 0, v0
	s_cbranch_execz .LBB18_131
; %bb.134:
	v_mbcnt_lo_u32_b32 v0, exec_lo, 0
	s_mov_b32 s0, exec_lo
	s_delay_alu instid0(VALU_DEP_1)
	v_cmpx_eq_u32_e32 0, v0
	s_cbranch_execz .LBB18_136
; %bb.135:
	s_add_co_i32 s1, s12, s5
	s_delay_alu instid0(SALU_CYCLE_1)
	v_dual_mov_b32 v0, 0 :: v_dual_mov_b32 v1, s1
	global_atomic_min_i32 v0, v1, s[14:15] scope:SCOPE_DEV
.LBB18_136:
	s_wait_xcnt 0x0
	s_or_b32 exec_lo, exec_lo, s0
	v_dual_mov_b32 v0, 0 :: v_dual_mov_b32 v1, 1
	s_add_nc_u64 s[0:1], s[10:11], s[6:7]
	global_wb scope:SCOPE_DEV
	s_wait_storecnt 0x0
	global_store_b32 v0, v1, s[0:1] scope:SCOPE_DEV
	s_endpgm
	.section	.rodata,"a",@progbits
	.p2align	6, 0x0
	.amdhsa_kernel _ZN9rocsparseL19bsric0_17_32_kernelILi64ELi128ELi32EfEEv20rocsparse_direction_iiPKiS3_PT2_S3_PiS3_S6_21rocsparse_index_base_
		.amdhsa_group_segment_fixed_size 14208
		.amdhsa_private_segment_fixed_size 0
		.amdhsa_kernarg_size 76
		.amdhsa_user_sgpr_count 2
		.amdhsa_user_sgpr_dispatch_ptr 0
		.amdhsa_user_sgpr_queue_ptr 0
		.amdhsa_user_sgpr_kernarg_segment_ptr 1
		.amdhsa_user_sgpr_dispatch_id 0
		.amdhsa_user_sgpr_kernarg_preload_length 0
		.amdhsa_user_sgpr_kernarg_preload_offset 0
		.amdhsa_user_sgpr_private_segment_size 0
		.amdhsa_wavefront_size32 1
		.amdhsa_uses_dynamic_stack 0
		.amdhsa_enable_private_segment 0
		.amdhsa_system_sgpr_workgroup_id_x 1
		.amdhsa_system_sgpr_workgroup_id_y 0
		.amdhsa_system_sgpr_workgroup_id_z 0
		.amdhsa_system_sgpr_workgroup_info 0
		.amdhsa_system_vgpr_workitem_id 1
		.amdhsa_next_free_vgpr 113
		.amdhsa_next_free_sgpr 47
		.amdhsa_named_barrier_count 0
		.amdhsa_reserve_vcc 1
		.amdhsa_float_round_mode_32 0
		.amdhsa_float_round_mode_16_64 0
		.amdhsa_float_denorm_mode_32 3
		.amdhsa_float_denorm_mode_16_64 3
		.amdhsa_fp16_overflow 0
		.amdhsa_memory_ordered 1
		.amdhsa_forward_progress 1
		.amdhsa_inst_pref_size 35
		.amdhsa_round_robin_scheduling 0
		.amdhsa_exception_fp_ieee_invalid_op 0
		.amdhsa_exception_fp_denorm_src 0
		.amdhsa_exception_fp_ieee_div_zero 0
		.amdhsa_exception_fp_ieee_overflow 0
		.amdhsa_exception_fp_ieee_underflow 0
		.amdhsa_exception_fp_ieee_inexact 0
		.amdhsa_exception_int_div_zero 0
	.end_amdhsa_kernel
	.section	.text._ZN9rocsparseL19bsric0_17_32_kernelILi64ELi128ELi32EfEEv20rocsparse_direction_iiPKiS3_PT2_S3_PiS3_S6_21rocsparse_index_base_,"axG",@progbits,_ZN9rocsparseL19bsric0_17_32_kernelILi64ELi128ELi32EfEEv20rocsparse_direction_iiPKiS3_PT2_S3_PiS3_S6_21rocsparse_index_base_,comdat
.Lfunc_end18:
	.size	_ZN9rocsparseL19bsric0_17_32_kernelILi64ELi128ELi32EfEEv20rocsparse_direction_iiPKiS3_PT2_S3_PiS3_S6_21rocsparse_index_base_, .Lfunc_end18-_ZN9rocsparseL19bsric0_17_32_kernelILi64ELi128ELi32EfEEv20rocsparse_direction_iiPKiS3_PT2_S3_PiS3_S6_21rocsparse_index_base_
                                        ; -- End function
	.set _ZN9rocsparseL19bsric0_17_32_kernelILi64ELi128ELi32EfEEv20rocsparse_direction_iiPKiS3_PT2_S3_PiS3_S6_21rocsparse_index_base_.num_vgpr, 36
	.set _ZN9rocsparseL19bsric0_17_32_kernelILi64ELi128ELi32EfEEv20rocsparse_direction_iiPKiS3_PT2_S3_PiS3_S6_21rocsparse_index_base_.num_agpr, 0
	.set _ZN9rocsparseL19bsric0_17_32_kernelILi64ELi128ELi32EfEEv20rocsparse_direction_iiPKiS3_PT2_S3_PiS3_S6_21rocsparse_index_base_.numbered_sgpr, 47
	.set _ZN9rocsparseL19bsric0_17_32_kernelILi64ELi128ELi32EfEEv20rocsparse_direction_iiPKiS3_PT2_S3_PiS3_S6_21rocsparse_index_base_.num_named_barrier, 0
	.set _ZN9rocsparseL19bsric0_17_32_kernelILi64ELi128ELi32EfEEv20rocsparse_direction_iiPKiS3_PT2_S3_PiS3_S6_21rocsparse_index_base_.private_seg_size, 0
	.set _ZN9rocsparseL19bsric0_17_32_kernelILi64ELi128ELi32EfEEv20rocsparse_direction_iiPKiS3_PT2_S3_PiS3_S6_21rocsparse_index_base_.uses_vcc, 1
	.set _ZN9rocsparseL19bsric0_17_32_kernelILi64ELi128ELi32EfEEv20rocsparse_direction_iiPKiS3_PT2_S3_PiS3_S6_21rocsparse_index_base_.uses_flat_scratch, 0
	.set _ZN9rocsparseL19bsric0_17_32_kernelILi64ELi128ELi32EfEEv20rocsparse_direction_iiPKiS3_PT2_S3_PiS3_S6_21rocsparse_index_base_.has_dyn_sized_stack, 0
	.set _ZN9rocsparseL19bsric0_17_32_kernelILi64ELi128ELi32EfEEv20rocsparse_direction_iiPKiS3_PT2_S3_PiS3_S6_21rocsparse_index_base_.has_recursion, 0
	.set _ZN9rocsparseL19bsric0_17_32_kernelILi64ELi128ELi32EfEEv20rocsparse_direction_iiPKiS3_PT2_S3_PiS3_S6_21rocsparse_index_base_.has_indirect_call, 0
	.section	.AMDGPU.csdata,"",@progbits
; Kernel info:
; codeLenInByte = 4460
; TotalNumSgprs: 49
; NumVgprs: 36
; ScratchSize: 0
; MemoryBound: 0
; FloatMode: 240
; IeeeMode: 1
; LDSByteSize: 14208 bytes/workgroup (compile time only)
; SGPRBlocks: 0
; VGPRBlocks: 7
; NumSGPRsForWavesPerEU: 49
; NumVGPRsForWavesPerEU: 113
; NamedBarCnt: 0
; Occupancy: 8
; WaveLimiterHint : 1
; COMPUTE_PGM_RSRC2:SCRATCH_EN: 0
; COMPUTE_PGM_RSRC2:USER_SGPR: 2
; COMPUTE_PGM_RSRC2:TRAP_HANDLER: 0
; COMPUTE_PGM_RSRC2:TGID_X_EN: 1
; COMPUTE_PGM_RSRC2:TGID_Y_EN: 0
; COMPUTE_PGM_RSRC2:TGID_Z_EN: 0
; COMPUTE_PGM_RSRC2:TIDIG_COMP_CNT: 1
	.section	.text._ZN9rocsparseL23bsric0_binsearch_kernelILj32ELj32ELb0EdEEv20rocsparse_direction_iiPKiS3_PT2_S3_PiS3_S6_21rocsparse_index_base_,"axG",@progbits,_ZN9rocsparseL23bsric0_binsearch_kernelILj32ELj32ELb0EdEEv20rocsparse_direction_iiPKiS3_PT2_S3_PiS3_S6_21rocsparse_index_base_,comdat
	.globl	_ZN9rocsparseL23bsric0_binsearch_kernelILj32ELj32ELb0EdEEv20rocsparse_direction_iiPKiS3_PT2_S3_PiS3_S6_21rocsparse_index_base_ ; -- Begin function _ZN9rocsparseL23bsric0_binsearch_kernelILj32ELj32ELb0EdEEv20rocsparse_direction_iiPKiS3_PT2_S3_PiS3_S6_21rocsparse_index_base_
	.p2align	8
	.type	_ZN9rocsparseL23bsric0_binsearch_kernelILj32ELj32ELb0EdEEv20rocsparse_direction_iiPKiS3_PT2_S3_PiS3_S6_21rocsparse_index_base_,@function
_ZN9rocsparseL23bsric0_binsearch_kernelILj32ELj32ELb0EdEEv20rocsparse_direction_iiPKiS3_PT2_S3_PiS3_S6_21rocsparse_index_base_: ; @_ZN9rocsparseL23bsric0_binsearch_kernelILj32ELj32ELb0EdEEv20rocsparse_direction_iiPKiS3_PT2_S3_PiS3_S6_21rocsparse_index_base_
; %bb.0:
	s_load_b256 s[8:15], s[0:1], 0x28
	s_bfe_u32 s2, ttmp6, 0x4000c
	s_and_b32 s3, ttmp6, 15
	s_add_co_i32 s2, s2, 1
	s_getreg_b32 s4, hwreg(HW_REG_IB_STS2, 6, 4)
	s_mul_i32 s2, ttmp9, s2
	s_load_b32 s7, s[0:1], 0x48
	s_add_co_i32 s3, s3, s2
	s_cmp_eq_u32 s4, 0
	s_cselect_b32 s2, ttmp9, s3
	s_delay_alu instid0(SALU_CYCLE_1)
	v_mov_b32_e32 v1, s2
	s_wait_kmcnt 0x0
	global_load_b32 v2, v1, s[12:13] scale_offset
	s_wait_loadcnt 0x0
	global_load_b32 v1, v2, s[8:9] scale_offset
	v_ashrrev_i32_e32 v3, 31, v2
	s_wait_loadcnt 0x0
	v_readfirstlane_b32 s2, v1
	s_cmp_lg_u32 s2, -1
	s_cselect_b32 s2, -1, 0
	s_delay_alu instid0(SALU_CYCLE_1) | instskip(NEXT) | instid1(SALU_CYCLE_1)
	s_and_saveexec_b32 s3, s2
	s_xor_b32 s20, exec_lo, s3
	s_cbranch_execz .LBB19_69
; %bb.1:
	s_load_b32 s21, s[0:1], 0x8
	s_mov_b32 s22, exec_lo
	s_wait_kmcnt 0x0
	v_cmpx_gt_i32_e64 s21, v0
	s_cbranch_execz .LBB19_66
; %bb.2:
	s_clause 0x2
	s_load_b128 s[16:19], s[0:1], 0x10
	s_load_b32 s5, s[0:1], 0x0
	s_load_b64 s[12:13], s[0:1], 0x20
	s_mul_i32 s23, s21, s21
	s_wait_xcnt 0x0
	v_cmp_ne_u32_e64 s0, 0, v0
	v_mul_lo_u32 v23, v1, s23
	s_mov_b32 s24, 0
	v_mov_b32_e32 v22, 0
	s_wait_kmcnt 0x0
	v_lshl_add_u64 v[4:5], v[2:3], 2, s[16:17]
	s_cmp_eq_u32 s5, 0
	s_cselect_b32 s1, -1, 0
	s_cmp_lg_u32 s5, 0
	global_load_b64 v[4:5], v[4:5], off
	s_cselect_b32 s25, -1, 0
	s_wait_loadcnt 0x0
	v_subrev_nc_u32_e32 v18, s7, v4
	v_xad_u32 v19, s7, -1, v5
	s_delay_alu instid0(VALU_DEP_2) | instskip(NEXT) | instid1(VALU_DEP_2)
	v_mul_lo_u32 v20, s23, v18
	v_add_nc_u32_e32 v4, v19, v18
	v_add_nc_u32_e32 v21, s7, v2
	v_cmp_lt_i32_e64 s2, v18, v1
	v_cmp_ge_i32_e64 s3, v18, v1
	v_cmp_lt_i32_e64 s4, v18, v19
	v_ashrrev_i32_e32 v4, 1, v4
	s_delay_alu instid0(VALU_DEP_1) | instskip(SKIP_1) | instid1(VALU_DEP_2)
	v_ashrrev_i32_e32 v5, 31, v4
	v_add_nc_u32_e32 v24, v20, v0
	v_lshl_add_u64 v[6:7], v[4:5], 2, s[18:19]
	v_mov_b32_e32 v5, v0
	s_branch .LBB19_4
.LBB19_3:                               ;   in Loop: Header=BB19_4 Depth=1
	v_dual_add_nc_u32 v5, 32, v5 :: v_dual_add_nc_u32 v24, 32, v24
	s_delay_alu instid0(VALU_DEP_1) | instskip(SKIP_1) | instid1(SALU_CYCLE_1)
	v_cmp_le_i32_e32 vcc_lo, s21, v5
	s_or_b32 s24, vcc_lo, s24
	s_and_not1_b32 exec_lo, exec_lo, s24
	s_cbranch_execz .LBB19_66
.LBB19_4:                               ; =>This Loop Header: Depth=1
                                        ;     Child Loop BB19_9 Depth 2
                                        ;       Child Loop BB19_12 Depth 3
                                        ;       Child Loop BB19_16 Depth 3
                                        ;         Child Loop BB19_18 Depth 4
                                        ;         Child Loop BB19_25 Depth 4
                                        ;           Child Loop BB19_27 Depth 5
                                        ;           Child Loop BB19_33 Depth 5
                                        ;     Child Loop BB19_40 Depth 2
                                        ;       Child Loop BB19_44 Depth 3
                                        ;       Child Loop BB19_52 Depth 3
                                        ;         Child Loop BB19_54 Depth 4
                                        ;       Child Loop BB19_62 Depth 3
	s_delay_alu instid0(VALU_DEP_1) | instskip(SKIP_1) | instid1(SALU_CYCLE_1)
	v_mul_lo_u32 v25, v5, s21
	s_and_saveexec_b32 s5, s3
	s_xor_b32 s5, exec_lo, s5
; %bb.5:                                ;   in Loop: Header=BB19_4 Depth=1
	v_mul_lo_u32 v25, v5, s21
; %bb.6:                                ;   in Loop: Header=BB19_4 Depth=1
	s_or_saveexec_b32 s26, s5
	v_mov_b64_e32 v[8:9], 0
	s_xor_b32 exec_lo, exec_lo, s26
	s_cbranch_execz .LBB19_37
; %bb.7:                                ;   in Loop: Header=BB19_4 Depth=1
	v_mov_b64_e32 v[8:9], 0
	v_mov_b32_e32 v26, v18
	s_mov_b32 s27, 0
	s_branch .LBB19_9
.LBB19_8:                               ;   in Loop: Header=BB19_9 Depth=2
	s_wait_xcnt 0x0
	s_or_b32 exec_lo, exec_lo, s28
	v_add_nc_u32_e32 v26, 1, v26
	s_xor_b32 s5, s5, -1
	s_delay_alu instid0(VALU_DEP_1) | instskip(SKIP_1) | instid1(SALU_CYCLE_1)
	v_cmp_ge_i32_e32 vcc_lo, v26, v1
	s_or_b32 s5, s5, vcc_lo
	s_and_b32 s5, exec_lo, s5
	s_delay_alu instid0(SALU_CYCLE_1) | instskip(NEXT) | instid1(SALU_CYCLE_1)
	s_or_b32 s27, s5, s27
	s_and_not1_b32 exec_lo, exec_lo, s27
	s_cbranch_execz .LBB19_36
.LBB19_9:                               ;   Parent Loop BB19_4 Depth=1
                                        ; =>  This Loop Header: Depth=2
                                        ;       Child Loop BB19_12 Depth 3
                                        ;       Child Loop BB19_16 Depth 3
                                        ;         Child Loop BB19_18 Depth 4
                                        ;         Child Loop BB19_25 Depth 4
                                        ;           Child Loop BB19_27 Depth 5
                                        ;           Child Loop BB19_33 Depth 5
	global_load_b32 v27, v26, s[18:19] scale_offset
	s_wait_loadcnt 0x0
	v_subrev_nc_u32_e32 v10, s7, v27
	global_load_b32 v28, v10, s[8:9] scale_offset
	s_wait_loadcnt 0x0
	v_cmp_ne_u32_e64 s5, -1, v28
	s_wait_xcnt 0x0
	s_and_saveexec_b32 s28, s5
	s_cbranch_execz .LBB19_8
; %bb.10:                               ;   in Loop: Header=BB19_9 Depth=2
	v_ashrrev_i32_e32 v11, 31, v10
	s_mov_b32 s6, exec_lo
	s_delay_alu instid0(VALU_DEP_1) | instskip(NEXT) | instid1(VALU_DEP_1)
	v_lshlrev_b64_e32 v[12:13], 2, v[10:11]
	v_add_nc_u64_e32 v[14:15], s[16:17], v[12:13]
	v_add_nc_u64_e32 v[12:13], s[10:11], v[12:13]
	global_load_b32 v11, v[14:15], off
	global_load_b32 v16, v[12:13], off scope:SCOPE_DEV
	s_wait_loadcnt 0x0
	s_wait_xcnt 0x0
	v_cmpx_eq_u32_e32 0, v16
	s_cbranch_execz .LBB19_13
; %bb.11:                               ;   in Loop: Header=BB19_9 Depth=2
	s_mov_b32 s29, 0
.LBB19_12:                              ;   Parent Loop BB19_4 Depth=1
                                        ;     Parent Loop BB19_9 Depth=2
                                        ; =>    This Inner Loop Header: Depth=3
	global_load_b32 v14, v[12:13], off scope:SCOPE_DEV
	s_wait_loadcnt 0x0
	v_cmp_ne_u32_e32 vcc_lo, 0, v14
	s_or_b32 s29, vcc_lo, s29
	s_wait_xcnt 0x0
	s_and_not1_b32 exec_lo, exec_lo, s29
	s_cbranch_execnz .LBB19_12
.LBB19_13:                              ;   in Loop: Header=BB19_9 Depth=2
	s_or_b32 exec_lo, exec_lo, s6
	v_mul_lo_u32 v12, v26, s23
	v_subrev_nc_u32_e32 v29, s7, v11
	v_mul_lo_u32 v30, v10, s21
	v_mul_lo_u32 v31, v28, s23
	s_mov_b32 s29, 0
	global_inv scope:SCOPE_DEV
	v_mul_lo_u32 v32, s23, v29
	v_cmp_le_i32_e64 s6, v29, v28
	v_add_nc_u32_e32 v33, v12, v5
	v_add_nc_u32_e32 v34, v12, v25
	s_branch .LBB19_16
.LBB19_14:                              ;   in Loop: Header=BB19_16 Depth=3
	s_or_b32 exec_lo, exec_lo, s33
.LBB19_15:                              ;   in Loop: Header=BB19_16 Depth=3
	s_delay_alu instid0(SALU_CYCLE_1) | instskip(SKIP_4) | instid1(SALU_CYCLE_1)
	s_or_b32 exec_lo, exec_lo, s31
	s_wait_loadcnt 0x0
	v_dual_add_f64 v[12:13], v[12:13], -v[16:17] :: v_dual_ashrrev_i32 v15, 31, v14
	v_add_nc_u32_e32 v32, 1, v32
	s_add_co_i32 s29, s29, 1
	s_cmp_eq_u32 s29, s21
	s_delay_alu instid0(VALU_DEP_2) | instskip(NEXT) | instid1(VALU_DEP_3)
	v_lshl_add_u64 v[14:15], v[14:15], 3, s[12:13]
	v_div_scale_f64 v[16:17], null, v[10:11], v[10:11], v[12:13]
	s_delay_alu instid0(VALU_DEP_1) | instskip(SKIP_1) | instid1(TRANS32_DEP_1)
	v_rcp_f64_e32 v[36:37], v[16:17]
	v_nop
	v_fma_f64 v[38:39], -v[16:17], v[36:37], 1.0
	s_delay_alu instid0(VALU_DEP_1) | instskip(NEXT) | instid1(VALU_DEP_1)
	v_fmac_f64_e32 v[36:37], v[36:37], v[38:39]
	v_fma_f64 v[38:39], -v[16:17], v[36:37], 1.0
	s_delay_alu instid0(VALU_DEP_1) | instskip(SKIP_1) | instid1(VALU_DEP_1)
	v_fmac_f64_e32 v[36:37], v[36:37], v[38:39]
	v_div_scale_f64 v[38:39], vcc_lo, v[12:13], v[10:11], v[12:13]
	v_mul_f64_e32 v[40:41], v[38:39], v[36:37]
	s_delay_alu instid0(VALU_DEP_1) | instskip(NEXT) | instid1(VALU_DEP_1)
	v_fma_f64 v[16:17], -v[16:17], v[40:41], v[38:39]
	v_div_fmas_f64 v[16:17], v[16:17], v[36:37], v[40:41]
	s_delay_alu instid0(VALU_DEP_1) | instskip(NEXT) | instid1(VALU_DEP_1)
	v_div_fixup_f64 v[10:11], v[16:17], v[10:11], v[12:13]
	v_fmac_f64_e32 v[8:9], v[10:11], v[10:11]
	global_store_b64 v[14:15], v[10:11], off
	s_cbranch_scc1 .LBB19_8
.LBB19_16:                              ;   Parent Loop BB19_4 Depth=1
                                        ;     Parent Loop BB19_9 Depth=2
                                        ; =>    This Loop Header: Depth=3
                                        ;         Child Loop BB19_18 Depth 4
                                        ;         Child Loop BB19_25 Depth 4
                                        ;           Child Loop BB19_27 Depth 5
                                        ;           Child Loop BB19_33 Depth 5
	s_mul_i32 s30, s29, s21
	s_wait_xcnt 0x0
	v_add3_u32 v10, s30, s29, v31
	global_load_b64 v[10:11], v10, s[12:13] scale_offset
	s_wait_loadcnt 0x0
	v_cmp_neq_f64_e32 vcc_lo, 0, v[10:11]
	v_cndmask_b32_e32 v11, 0x3ff00000, v11, vcc_lo
	s_wait_xcnt 0x0
	v_cndmask_b32_e32 v10, 0, v10, vcc_lo
	s_nor_b32 s33, vcc_lo, s0
	s_delay_alu instid0(SALU_CYCLE_1)
	s_and_saveexec_b32 s31, s33
	s_cbranch_execz .LBB19_22
; %bb.17:                               ;   in Loop: Header=BB19_16 Depth=3
	s_mov_b32 s34, exec_lo
	s_brev_b32 s33, -2
.LBB19_18:                              ;   Parent Loop BB19_4 Depth=1
                                        ;     Parent Loop BB19_9 Depth=2
                                        ;       Parent Loop BB19_16 Depth=3
                                        ; =>      This Inner Loop Header: Depth=4
	s_ctz_i32_b32 s35, s34
	s_delay_alu instid0(SALU_CYCLE_1) | instskip(SKIP_1) | instid1(SALU_CYCLE_1)
	v_readlane_b32 s36, v27, s35
	s_lshl_b32 s35, 1, s35
	s_and_not1_b32 s34, s34, s35
	s_min_i32 s33, s33, s36
	s_cmp_lg_u32 s34, 0
	s_cbranch_scc1 .LBB19_18
; %bb.19:                               ;   in Loop: Header=BB19_16 Depth=3
	v_mbcnt_lo_u32_b32 v10, exec_lo, 0
	s_mov_b32 s34, exec_lo
	s_delay_alu instid0(VALU_DEP_1)
	v_cmpx_eq_u32_e32 0, v10
	s_xor_b32 s34, exec_lo, s34
	s_cbranch_execz .LBB19_21
; %bb.20:                               ;   in Loop: Header=BB19_16 Depth=3
	v_mov_b32_e32 v10, s33
	global_atomic_min_i32 v22, v10, s[14:15] scope:SCOPE_DEV
.LBB19_21:                              ;   in Loop: Header=BB19_16 Depth=3
	s_wait_xcnt 0x0
	s_or_b32 exec_lo, exec_lo, s34
	v_mov_b64_e32 v[10:11], 1.0
.LBB19_22:                              ;   in Loop: Header=BB19_16 Depth=3
	s_or_b32 exec_lo, exec_lo, s31
	v_dual_add_nc_u32 v12, s30, v33 :: v_dual_add_nc_u32 v13, s29, v34
	v_mov_b64_e32 v[16:17], 0
	s_delay_alu instid0(VALU_DEP_2)
	v_cndmask_b32_e64 v14, v12, v13, s1
	global_load_b64 v[12:13], v14, s[12:13] scale_offset
	s_wait_xcnt 0x0
	s_and_saveexec_b32 s31, s6
	s_cbranch_execz .LBB19_15
; %bb.23:                               ;   in Loop: Header=BB19_16 Depth=3
	global_load_b32 v15, v[6:7], off
	v_mov_b64_e32 v[16:17], 0
	v_dual_mov_b32 v36, v32 :: v_dual_add_nc_u32 v35, s29, v30
	v_mov_b32_e32 v37, v29
	s_mov_b32 s33, 0
	s_branch .LBB19_25
.LBB19_24:                              ;   in Loop: Header=BB19_25 Depth=4
	s_or_b32 exec_lo, exec_lo, s34
	v_dual_add_nc_u32 v38, 1, v37 :: v_dual_add_nc_u32 v36, s23, v36
	v_cmp_ge_i32_e32 vcc_lo, v37, v28
	s_delay_alu instid0(VALU_DEP_2) | instskip(SKIP_1) | instid1(SALU_CYCLE_1)
	v_mov_b32_e32 v37, v38
	s_or_b32 s33, vcc_lo, s33
	s_and_not1_b32 exec_lo, exec_lo, s33
	s_cbranch_execz .LBB19_14
.LBB19_25:                              ;   Parent Loop BB19_4 Depth=1
                                        ;     Parent Loop BB19_9 Depth=2
                                        ;       Parent Loop BB19_16 Depth=3
                                        ; =>      This Loop Header: Depth=4
                                        ;           Child Loop BB19_27 Depth 5
                                        ;           Child Loop BB19_33 Depth 5
	global_load_b32 v38, v37, s[18:19] scale_offset
	s_wait_loadcnt 0x1
	v_dual_mov_b32 v40, v15 :: v_dual_mov_b32 v39, v4
	s_wait_xcnt 0x0
	s_and_saveexec_b32 s34, s4
	s_cbranch_execz .LBB19_29
; %bb.26:                               ;   in Loop: Header=BB19_25 Depth=4
	v_dual_mov_b32 v40, v15 :: v_dual_mov_b32 v39, v4
	v_dual_mov_b32 v41, v19 :: v_dual_mov_b32 v42, v18
	s_mov_b32 s35, 0
.LBB19_27:                              ;   Parent Loop BB19_4 Depth=1
                                        ;     Parent Loop BB19_9 Depth=2
                                        ;       Parent Loop BB19_16 Depth=3
                                        ;         Parent Loop BB19_25 Depth=4
                                        ; =>        This Inner Loop Header: Depth=5
	s_wait_loadcnt 0x0
	s_delay_alu instid0(VALU_DEP_2) | instskip(NEXT) | instid1(VALU_DEP_2)
	v_cmp_lt_i32_e32 vcc_lo, v40, v38
	v_dual_add_nc_u32 v43, 1, v39 :: v_dual_cndmask_b32 v41, v39, v41, vcc_lo
	s_delay_alu instid0(VALU_DEP_1) | instskip(NEXT) | instid1(VALU_DEP_1)
	v_cndmask_b32_e32 v42, v42, v43, vcc_lo
	v_add_nc_u32_e32 v39, v41, v42
	v_cmp_ge_i32_e32 vcc_lo, v42, v41
	s_delay_alu instid0(VALU_DEP_2)
	v_ashrrev_i32_e32 v39, 1, v39
	s_or_b32 s35, vcc_lo, s35
	global_load_b32 v40, v39, s[18:19] scale_offset
	s_wait_xcnt 0x0
	s_and_not1_b32 exec_lo, exec_lo, s35
	s_cbranch_execnz .LBB19_27
; %bb.28:                               ;   in Loop: Header=BB19_25 Depth=4
	s_or_b32 exec_lo, exec_lo, s35
.LBB19_29:                              ;   in Loop: Header=BB19_25 Depth=4
	s_delay_alu instid0(SALU_CYCLE_1) | instskip(NEXT) | instid1(SALU_CYCLE_1)
	s_or_b32 exec_lo, exec_lo, s34
	s_mov_b32 s34, exec_lo
	s_wait_loadcnt 0x0
	v_cmpx_eq_u32_e64 v40, v38
	s_cbranch_execz .LBB19_24
; %bb.30:                               ;   in Loop: Header=BB19_25 Depth=4
	v_mul_lo_u32 v41, v39, s23
	v_subrev_nc_u32_e32 v39, s7, v38
	v_mad_u32 v38, v37, s23, s30
	s_mov_b32 s35, 0
	v_mov_b32_e32 v42, v36
	s_delay_alu instid0(VALU_DEP_3)
	v_mul_lo_u32 v39, v39, s21
	v_add_nc_u32_e32 v40, v41, v25
	v_add_nc_u32_e32 v41, v5, v41
	s_branch .LBB19_33
.LBB19_31:                              ;   in Loop: Header=BB19_33 Depth=5
	s_clause 0x1
	global_load_b64 v[46:47], v44, s[12:13] scale_offset
	global_load_b64 v[48:49], v43, s[12:13] scale_offset
	s_wait_loadcnt 0x0
	v_fmac_f64_e32 v[16:17], v[46:47], v[48:49]
.LBB19_32:                              ;   in Loop: Header=BB19_33 Depth=5
	s_wait_xcnt 0x0
	s_or_b32 exec_lo, exec_lo, s36
	v_dual_add_nc_u32 v41, s21, v41 :: v_dual_add_nc_u32 v42, s21, v42
	s_add_co_i32 s35, s35, 1
	s_delay_alu instid0(SALU_CYCLE_1)
	s_cmp_lg_u32 s21, s35
	s_cbranch_scc0 .LBB19_24
.LBB19_33:                              ;   Parent Loop BB19_4 Depth=1
                                        ;     Parent Loop BB19_9 Depth=2
                                        ;       Parent Loop BB19_16 Depth=3
                                        ;         Parent Loop BB19_25 Depth=4
                                        ; =>        This Inner Loop Header: Depth=5
	s_delay_alu instid0(VALU_DEP_3) | instskip(SKIP_1) | instid1(VALU_DEP_1)
	v_add_nc_u32_e32 v43, s35, v39
	s_mov_b32 s36, exec_lo
	v_cmpx_lt_i32_e64 v43, v35
	s_cbranch_execz .LBB19_32
; %bb.34:                               ;   in Loop: Header=BB19_33 Depth=5
	v_dual_mov_b32 v43, v41 :: v_dual_mov_b32 v44, v42
	s_and_not1_b32 vcc_lo, exec_lo, s1
	s_cbranch_vccnz .LBB19_31
; %bb.35:                               ;   in Loop: Header=BB19_33 Depth=5
	v_dual_add_nc_u32 v44, s35, v38 :: v_dual_add_nc_u32 v43, s35, v40
	s_branch .LBB19_31
.LBB19_36:                              ;   in Loop: Header=BB19_4 Depth=1
	s_or_b32 exec_lo, exec_lo, s27
.LBB19_37:                              ;   in Loop: Header=BB19_4 Depth=1
	s_delay_alu instid0(SALU_CYCLE_1) | instskip(NEXT) | instid1(VALU_DEP_2)
	s_or_b32 exec_lo, exec_lo, s26
	v_dual_mov_b32 v27, v20 :: v_dual_add_nc_u32 v26, v25, v23
	s_mov_b32 s5, 0
	s_branch .LBB19_40
.LBB19_38:                              ;   in Loop: Header=BB19_40 Depth=2
	s_wait_loadcnt 0x0
	s_delay_alu instid0(VALU_DEP_1) | instskip(NEXT) | instid1(VALU_DEP_1)
	v_add_f64_e64 v[12:13], v[12:13], -v[14:15]
	v_div_scale_f64 v[14:15], null, v[10:11], v[10:11], v[12:13]
	s_delay_alu instid0(VALU_DEP_1) | instskip(SKIP_2) | instid1(TRANS32_DEP_1)
	v_rcp_f64_e32 v[28:29], v[14:15]
	s_wait_xcnt 0x0
	v_nop
	v_fma_f64 v[30:31], -v[14:15], v[28:29], 1.0
	s_delay_alu instid0(VALU_DEP_1) | instskip(NEXT) | instid1(VALU_DEP_1)
	v_fmac_f64_e32 v[28:29], v[28:29], v[30:31]
	v_fma_f64 v[30:31], -v[14:15], v[28:29], 1.0
	s_delay_alu instid0(VALU_DEP_1) | instskip(SKIP_1) | instid1(VALU_DEP_1)
	v_fmac_f64_e32 v[28:29], v[28:29], v[30:31]
	v_div_scale_f64 v[30:31], vcc_lo, v[12:13], v[10:11], v[12:13]
	v_mul_f64_e32 v[32:33], v[30:31], v[28:29]
	s_delay_alu instid0(VALU_DEP_1) | instskip(NEXT) | instid1(VALU_DEP_1)
	v_fma_f64 v[14:15], -v[14:15], v[32:33], v[30:31]
	v_div_fmas_f64 v[14:15], v[14:15], v[28:29], v[32:33]
	s_delay_alu instid0(VALU_DEP_1) | instskip(NEXT) | instid1(VALU_DEP_1)
	v_div_fixup_f64 v[10:11], v[14:15], v[10:11], v[12:13]
	v_fmac_f64_e32 v[8:9], v[10:11], v[10:11]
	global_store_b64 v[16:17], v[10:11], off
.LBB19_39:                              ;   in Loop: Header=BB19_40 Depth=2
	s_wait_xcnt 0x0
	s_or_b32 exec_lo, exec_lo, s26
	v_add_nc_u32_e32 v27, 1, v27
	s_add_co_i32 s5, s5, 1
	global_wb scope:SCOPE_DEV
	s_wait_storecnt 0x0
	global_inv scope:SCOPE_DEV
	s_cmp_eq_u32 s5, s21
	s_cbranch_scc1 .LBB19_3
.LBB19_40:                              ;   Parent Loop BB19_4 Depth=1
                                        ; =>  This Loop Header: Depth=2
                                        ;       Child Loop BB19_44 Depth 3
                                        ;       Child Loop BB19_52 Depth 3
                                        ;         Child Loop BB19_54 Depth 4
                                        ;       Child Loop BB19_62 Depth 3
	s_mul_i32 s6, s5, s21
	s_mov_b32 s26, exec_lo
	v_add_nc_u32_e32 v28, s6, v23
	s_delay_alu instid0(VALU_DEP_1) | instskip(NEXT) | instid1(VALU_DEP_1)
	v_add_nc_u32_e32 v10, s5, v28
	v_ashrrev_i32_e32 v11, 31, v10
	s_delay_alu instid0(VALU_DEP_1)
	v_lshl_add_u64 v[10:11], v[10:11], 3, s[12:13]
	v_cmpx_eq_u32_e64 s5, v5
	s_cbranch_execz .LBB19_42
; %bb.41:                               ;   in Loop: Header=BB19_40 Depth=2
	global_load_b64 v[12:13], v[10:11], off
	s_wait_loadcnt 0x0
	v_add_f64_e64 v[12:13], v[12:13], -v[8:9]
	s_delay_alu instid0(VALU_DEP_1) | instskip(SKIP_1) | instid1(VALU_DEP_1)
	v_cmp_gt_f64_e32 vcc_lo, 0, v[12:13]
	v_xor_b32_e32 v14, 0x80000000, v13
	v_cndmask_b32_e32 v13, v13, v14, vcc_lo
	s_delay_alu instid0(VALU_DEP_1) | instskip(SKIP_1) | instid1(VALU_DEP_1)
	v_cmp_gt_f64_e32 vcc_lo, 0x10000000, v[12:13]
	v_cndmask_b32_e64 v14, 0, 0x100, vcc_lo
	v_ldexp_f64 v[12:13], v[12:13], v14
	s_delay_alu instid0(VALU_DEP_1) | instskip(SKIP_1) | instid1(TRANS32_DEP_1)
	v_rsq_f64_e32 v[14:15], v[12:13]
	v_nop
	v_mul_f64_e32 v[16:17], v[12:13], v[14:15]
	v_mul_f64_e32 v[14:15], 0.5, v[14:15]
	s_delay_alu instid0(VALU_DEP_1) | instskip(NEXT) | instid1(VALU_DEP_1)
	v_fma_f64 v[30:31], -v[14:15], v[16:17], 0.5
	v_fmac_f64_e32 v[16:17], v[16:17], v[30:31]
	v_fmac_f64_e32 v[14:15], v[14:15], v[30:31]
	s_delay_alu instid0(VALU_DEP_2) | instskip(NEXT) | instid1(VALU_DEP_1)
	v_fma_f64 v[30:31], -v[16:17], v[16:17], v[12:13]
	v_fmac_f64_e32 v[16:17], v[30:31], v[14:15]
	s_delay_alu instid0(VALU_DEP_1) | instskip(NEXT) | instid1(VALU_DEP_1)
	v_fma_f64 v[30:31], -v[16:17], v[16:17], v[12:13]
	v_fmac_f64_e32 v[16:17], v[30:31], v[14:15]
	v_cndmask_b32_e64 v14, 0, 0xffffff80, vcc_lo
	v_cmp_class_f64_e64 vcc_lo, v[12:13], 0x260
	s_delay_alu instid0(VALU_DEP_2) | instskip(NEXT) | instid1(VALU_DEP_1)
	v_ldexp_f64 v[14:15], v[16:17], v14
	v_dual_cndmask_b32 v13, v15, v13 :: v_dual_cndmask_b32 v12, v14, v12
	global_store_b64 v[10:11], v[12:13], off
.LBB19_42:                              ;   in Loop: Header=BB19_40 Depth=2
	s_wait_xcnt 0x0
	s_or_b32 exec_lo, exec_lo, s26
	global_wb scope:SCOPE_DEV
	s_wait_storecnt 0x0
	global_inv scope:SCOPE_DEV
	global_load_b64 v[10:11], v[10:11], off
	s_wait_loadcnt 0x0
	v_cmp_neq_f64_e32 vcc_lo, 0, v[10:11]
	s_wait_xcnt 0x0
	v_cndmask_b32_e32 v11, 0x3ff00000, v11, vcc_lo
	v_cndmask_b32_e32 v10, 0, v10, vcc_lo
	s_nor_b32 s27, vcc_lo, s0
	s_delay_alu instid0(SALU_CYCLE_1)
	s_and_saveexec_b32 s26, s27
	s_cbranch_execz .LBB19_48
; %bb.43:                               ;   in Loop: Header=BB19_40 Depth=2
	s_mov_b32 s28, exec_lo
	s_brev_b32 s27, -2
.LBB19_44:                              ;   Parent Loop BB19_4 Depth=1
                                        ;     Parent Loop BB19_40 Depth=2
                                        ; =>    This Inner Loop Header: Depth=3
	s_ctz_i32_b32 s29, s28
	s_delay_alu instid0(SALU_CYCLE_1) | instskip(SKIP_1) | instid1(SALU_CYCLE_1)
	v_readlane_b32 s30, v21, s29
	s_lshl_b32 s29, 1, s29
	s_and_not1_b32 s28, s28, s29
	s_min_i32 s27, s27, s30
	s_cmp_lg_u32 s28, 0
	s_cbranch_scc1 .LBB19_44
; %bb.45:                               ;   in Loop: Header=BB19_40 Depth=2
	v_mbcnt_lo_u32_b32 v10, exec_lo, 0
	s_mov_b32 s28, exec_lo
	s_delay_alu instid0(VALU_DEP_1)
	v_cmpx_eq_u32_e32 0, v10
	s_xor_b32 s28, exec_lo, s28
	s_cbranch_execz .LBB19_47
; %bb.46:                               ;   in Loop: Header=BB19_40 Depth=2
	v_mov_b32_e32 v10, s27
	global_atomic_min_i32 v22, v10, s[14:15] scope:SCOPE_DEV
.LBB19_47:                              ;   in Loop: Header=BB19_40 Depth=2
	s_wait_xcnt 0x0
	s_or_b32 exec_lo, exec_lo, s28
	v_mov_b64_e32 v[10:11], 1.0
.LBB19_48:                              ;   in Loop: Header=BB19_40 Depth=2
	s_or_b32 exec_lo, exec_lo, s26
	s_delay_alu instid0(SALU_CYCLE_1)
	s_mov_b32 s26, exec_lo
	v_cmpx_lt_i32_e64 s5, v5
	s_cbranch_execz .LBB19_39
; %bb.49:                               ;   in Loop: Header=BB19_40 Depth=2
	v_dual_add_nc_u32 v12, v28, v5 :: v_dual_add_nc_u32 v13, s5, v26
	v_mov_b64_e32 v[14:15], 0
	s_delay_alu instid0(VALU_DEP_2)
	v_cndmask_b32_e64 v16, v12, v13, s1
	global_load_b64 v[12:13], v16, s[12:13] scale_offset
	s_wait_xcnt 0x0
	s_and_saveexec_b32 s27, s2
	s_cbranch_execz .LBB19_59
; %bb.50:                               ;   in Loop: Header=BB19_40 Depth=2
	v_mov_b64_e32 v[14:15], 0
	v_dual_mov_b32 v17, v27 :: v_dual_mov_b32 v29, v24
	v_mov_b32_e32 v30, v18
	s_mov_b32 s28, 0
	s_branch .LBB19_52
.LBB19_51:                              ;   in Loop: Header=BB19_52 Depth=3
	v_dual_add_nc_u32 v30, 1, v30 :: v_dual_add_nc_u32 v29, s23, v29
	v_add_nc_u32_e32 v17, s23, v17
	s_delay_alu instid0(VALU_DEP_2)
	v_cmp_ge_i32_e32 vcc_lo, v30, v1
	s_or_b32 s28, vcc_lo, s28
	s_wait_xcnt 0x0
	s_and_not1_b32 exec_lo, exec_lo, s28
	s_cbranch_execz .LBB19_58
.LBB19_52:                              ;   Parent Loop BB19_4 Depth=1
                                        ;     Parent Loop BB19_40 Depth=2
                                        ; =>    This Loop Header: Depth=3
                                        ;         Child Loop BB19_54 Depth 4
	s_delay_alu instid0(VALU_DEP_1) | instskip(SKIP_3) | instid1(VALU_DEP_1)
	v_mul_lo_u32 v32, v30, s23
	s_mov_b32 s29, s21
	s_mov_b32 s30, 0
	;; [unrolled: 1-line block ×3, first 2 shown]
	v_dual_add_nc_u32 v31, s6, v32 :: v_dual_add_nc_u32 v32, v32, v25
	s_branch .LBB19_54
.LBB19_53:                              ;   in Loop: Header=BB19_54 Depth=4
	s_clause 0x1
	global_load_b64 v[36:37], v33, s[12:13] scale_offset
	global_load_b64 v[38:39], v34, s[12:13] scale_offset
	s_add_co_i32 s29, s29, -1
	s_add_co_i32 s31, s31, 1
	s_add_co_i32 s30, s30, s21
	s_cmp_eq_u32 s29, 0
	s_wait_loadcnt 0x0
	v_fmac_f64_e32 v[14:15], v[36:37], v[38:39]
	s_cbranch_scc1 .LBB19_51
.LBB19_54:                              ;   Parent Loop BB19_4 Depth=1
                                        ;     Parent Loop BB19_40 Depth=2
                                        ;       Parent Loop BB19_52 Depth=3
                                        ; =>      This Inner Loop Header: Depth=4
	s_and_b32 vcc_lo, exec_lo, s25
	s_mov_b32 s33, -1
                                        ; implicit-def: $vgpr33
                                        ; implicit-def: $vgpr34
	s_cbranch_vccz .LBB19_56
; %bb.55:                               ;   in Loop: Header=BB19_54 Depth=4
	s_wait_xcnt 0x1
	v_add_nc_u32_e32 v33, s30, v17
	s_wait_xcnt 0x0
	v_add_nc_u32_e32 v34, s30, v29
	s_mov_b32 s33, 0
.LBB19_56:                              ;   in Loop: Header=BB19_54 Depth=4
	s_delay_alu instid0(SALU_CYCLE_1)
	s_and_not1_b32 vcc_lo, exec_lo, s33
	s_cbranch_vccnz .LBB19_53
; %bb.57:                               ;   in Loop: Header=BB19_54 Depth=4
	s_wait_xcnt 0x0
	v_dual_add_nc_u32 v33, s31, v31 :: v_dual_add_nc_u32 v34, s31, v32
	s_branch .LBB19_53
.LBB19_58:                              ;   in Loop: Header=BB19_40 Depth=2
	s_or_b32 exec_lo, exec_lo, s28
.LBB19_59:                              ;   in Loop: Header=BB19_40 Depth=2
	s_delay_alu instid0(SALU_CYCLE_1) | instskip(SKIP_2) | instid1(VALU_DEP_1)
	s_or_b32 exec_lo, exec_lo, s27
	v_ashrrev_i32_e32 v17, 31, v16
	s_cmp_eq_u32 s5, 0
	v_lshl_add_u64 v[16:17], v[16:17], 3, s[12:13]
	s_cbranch_scc1 .LBB19_38
; %bb.60:                               ;   in Loop: Header=BB19_40 Depth=2
	v_mov_b32_e32 v29, v23
	s_mov_b32 s6, 0
	s_branch .LBB19_62
.LBB19_61:                              ;   in Loop: Header=BB19_62 Depth=3
	s_clause 0x1
	global_load_b64 v[32:33], v30, s[12:13] scale_offset
	global_load_b64 v[34:35], v31, s[12:13] scale_offset
	v_add_nc_u32_e32 v29, s21, v29
	s_add_co_i32 s6, s6, 1
	s_delay_alu instid0(SALU_CYCLE_1)
	s_cmp_eq_u32 s5, s6
	s_wait_loadcnt 0x0
	v_fmac_f64_e32 v[14:15], v[32:33], v[34:35]
	s_cbranch_scc1 .LBB19_38
.LBB19_62:                              ;   Parent Loop BB19_4 Depth=1
                                        ;     Parent Loop BB19_40 Depth=2
                                        ; =>    This Inner Loop Header: Depth=3
	s_and_b32 vcc_lo, exec_lo, s25
	s_mov_b32 s27, -1
                                        ; implicit-def: $vgpr30
                                        ; implicit-def: $vgpr31
	s_cbranch_vccz .LBB19_64
; %bb.63:                               ;   in Loop: Header=BB19_62 Depth=3
	s_wait_xcnt 0x0
	v_dual_add_nc_u32 v30, s5, v29 :: v_dual_add_nc_u32 v31, v5, v29
	s_mov_b32 s27, 0
.LBB19_64:                              ;   in Loop: Header=BB19_62 Depth=3
	s_delay_alu instid0(SALU_CYCLE_1)
	s_and_not1_b32 vcc_lo, exec_lo, s27
	s_cbranch_vccnz .LBB19_61
; %bb.65:                               ;   in Loop: Header=BB19_62 Depth=3
	s_wait_xcnt 0x0
	v_dual_add_nc_u32 v30, s6, v28 :: v_dual_add_nc_u32 v31, s6, v26
	s_branch .LBB19_61
.LBB19_66:
	s_or_b32 exec_lo, exec_lo, s22
	s_delay_alu instid0(SALU_CYCLE_1)
	s_mov_b32 s0, exec_lo
	v_cmpx_eq_u32_e32 31, v0
	s_cbranch_execz .LBB19_68
; %bb.67:
	v_lshl_add_u64 v[0:1], v[2:3], 2, s[10:11]
	v_mov_b32_e32 v2, 1
	global_wb scope:SCOPE_DEV
	s_wait_loadcnt 0x0
	s_wait_storecnt 0x0
	global_store_b32 v[0:1], v2, off scope:SCOPE_DEV
.LBB19_68:
	s_wait_xcnt 0x0
	s_or_b32 exec_lo, exec_lo, s0
                                        ; implicit-def: $vgpr0
                                        ; implicit-def: $vgpr2_vgpr3
.LBB19_69:
	s_and_not1_saveexec_b32 s0, s20
	s_cbranch_execz .LBB19_76
; %bb.70:
	s_mov_b32 s0, exec_lo
	v_cmpx_eq_u32_e32 31, v0
	s_cbranch_execz .LBB19_76
; %bb.71:
	v_add_nc_u32_e32 v0, s7, v2
	s_mov_b32 s1, exec_lo
	s_brev_b32 s0, -2
.LBB19_72:                              ; =>This Inner Loop Header: Depth=1
	s_ctz_i32_b32 s2, s1
	s_delay_alu instid0(VALU_DEP_1) | instid1(SALU_CYCLE_1)
	v_readlane_b32 s3, v0, s2
	s_lshl_b32 s2, 1, s2
	s_delay_alu instid0(SALU_CYCLE_1)
	s_and_not1_b32 s1, s1, s2
	s_min_i32 s0, s0, s3
	s_cmp_lg_u32 s1, 0
	s_cbranch_scc1 .LBB19_72
; %bb.73:
	v_mbcnt_lo_u32_b32 v0, exec_lo, 0
	s_mov_b32 s1, exec_lo
	s_delay_alu instid0(VALU_DEP_1)
	v_cmpx_eq_u32_e32 0, v0
	s_xor_b32 s1, exec_lo, s1
	s_cbranch_execz .LBB19_75
; %bb.74:
	v_dual_mov_b32 v0, 0 :: v_dual_mov_b32 v1, s0
	global_atomic_min_i32 v0, v1, s[14:15] scope:SCOPE_DEV
.LBB19_75:
	s_wait_xcnt 0x0
	s_or_b32 exec_lo, exec_lo, s1
	v_lshl_add_u64 v[0:1], v[2:3], 2, s[10:11]
	v_mov_b32_e32 v2, 1
	global_wb scope:SCOPE_DEV
	s_wait_loadcnt 0x0
	s_wait_storecnt 0x0
	global_store_b32 v[0:1], v2, off scope:SCOPE_DEV
.LBB19_76:
	s_endpgm
	.section	.rodata,"a",@progbits
	.p2align	6, 0x0
	.amdhsa_kernel _ZN9rocsparseL23bsric0_binsearch_kernelILj32ELj32ELb0EdEEv20rocsparse_direction_iiPKiS3_PT2_S3_PiS3_S6_21rocsparse_index_base_
		.amdhsa_group_segment_fixed_size 0
		.amdhsa_private_segment_fixed_size 0
		.amdhsa_kernarg_size 76
		.amdhsa_user_sgpr_count 2
		.amdhsa_user_sgpr_dispatch_ptr 0
		.amdhsa_user_sgpr_queue_ptr 0
		.amdhsa_user_sgpr_kernarg_segment_ptr 1
		.amdhsa_user_sgpr_dispatch_id 0
		.amdhsa_user_sgpr_kernarg_preload_length 0
		.amdhsa_user_sgpr_kernarg_preload_offset 0
		.amdhsa_user_sgpr_private_segment_size 0
		.amdhsa_wavefront_size32 1
		.amdhsa_uses_dynamic_stack 0
		.amdhsa_enable_private_segment 0
		.amdhsa_system_sgpr_workgroup_id_x 1
		.amdhsa_system_sgpr_workgroup_id_y 0
		.amdhsa_system_sgpr_workgroup_id_z 0
		.amdhsa_system_sgpr_workgroup_info 0
		.amdhsa_system_vgpr_workitem_id 0
		.amdhsa_next_free_vgpr 50
		.amdhsa_next_free_sgpr 37
		.amdhsa_named_barrier_count 0
		.amdhsa_reserve_vcc 1
		.amdhsa_float_round_mode_32 0
		.amdhsa_float_round_mode_16_64 0
		.amdhsa_float_denorm_mode_32 3
		.amdhsa_float_denorm_mode_16_64 3
		.amdhsa_fp16_overflow 0
		.amdhsa_memory_ordered 1
		.amdhsa_forward_progress 1
		.amdhsa_inst_pref_size 23
		.amdhsa_round_robin_scheduling 0
		.amdhsa_exception_fp_ieee_invalid_op 0
		.amdhsa_exception_fp_denorm_src 0
		.amdhsa_exception_fp_ieee_div_zero 0
		.amdhsa_exception_fp_ieee_overflow 0
		.amdhsa_exception_fp_ieee_underflow 0
		.amdhsa_exception_fp_ieee_inexact 0
		.amdhsa_exception_int_div_zero 0
	.end_amdhsa_kernel
	.section	.text._ZN9rocsparseL23bsric0_binsearch_kernelILj32ELj32ELb0EdEEv20rocsparse_direction_iiPKiS3_PT2_S3_PiS3_S6_21rocsparse_index_base_,"axG",@progbits,_ZN9rocsparseL23bsric0_binsearch_kernelILj32ELj32ELb0EdEEv20rocsparse_direction_iiPKiS3_PT2_S3_PiS3_S6_21rocsparse_index_base_,comdat
.Lfunc_end19:
	.size	_ZN9rocsparseL23bsric0_binsearch_kernelILj32ELj32ELb0EdEEv20rocsparse_direction_iiPKiS3_PT2_S3_PiS3_S6_21rocsparse_index_base_, .Lfunc_end19-_ZN9rocsparseL23bsric0_binsearch_kernelILj32ELj32ELb0EdEEv20rocsparse_direction_iiPKiS3_PT2_S3_PiS3_S6_21rocsparse_index_base_
                                        ; -- End function
	.set _ZN9rocsparseL23bsric0_binsearch_kernelILj32ELj32ELb0EdEEv20rocsparse_direction_iiPKiS3_PT2_S3_PiS3_S6_21rocsparse_index_base_.num_vgpr, 50
	.set _ZN9rocsparseL23bsric0_binsearch_kernelILj32ELj32ELb0EdEEv20rocsparse_direction_iiPKiS3_PT2_S3_PiS3_S6_21rocsparse_index_base_.num_agpr, 0
	.set _ZN9rocsparseL23bsric0_binsearch_kernelILj32ELj32ELb0EdEEv20rocsparse_direction_iiPKiS3_PT2_S3_PiS3_S6_21rocsparse_index_base_.numbered_sgpr, 37
	.set _ZN9rocsparseL23bsric0_binsearch_kernelILj32ELj32ELb0EdEEv20rocsparse_direction_iiPKiS3_PT2_S3_PiS3_S6_21rocsparse_index_base_.num_named_barrier, 0
	.set _ZN9rocsparseL23bsric0_binsearch_kernelILj32ELj32ELb0EdEEv20rocsparse_direction_iiPKiS3_PT2_S3_PiS3_S6_21rocsparse_index_base_.private_seg_size, 0
	.set _ZN9rocsparseL23bsric0_binsearch_kernelILj32ELj32ELb0EdEEv20rocsparse_direction_iiPKiS3_PT2_S3_PiS3_S6_21rocsparse_index_base_.uses_vcc, 1
	.set _ZN9rocsparseL23bsric0_binsearch_kernelILj32ELj32ELb0EdEEv20rocsparse_direction_iiPKiS3_PT2_S3_PiS3_S6_21rocsparse_index_base_.uses_flat_scratch, 0
	.set _ZN9rocsparseL23bsric0_binsearch_kernelILj32ELj32ELb0EdEEv20rocsparse_direction_iiPKiS3_PT2_S3_PiS3_S6_21rocsparse_index_base_.has_dyn_sized_stack, 0
	.set _ZN9rocsparseL23bsric0_binsearch_kernelILj32ELj32ELb0EdEEv20rocsparse_direction_iiPKiS3_PT2_S3_PiS3_S6_21rocsparse_index_base_.has_recursion, 0
	.set _ZN9rocsparseL23bsric0_binsearch_kernelILj32ELj32ELb0EdEEv20rocsparse_direction_iiPKiS3_PT2_S3_PiS3_S6_21rocsparse_index_base_.has_indirect_call, 0
	.section	.AMDGPU.csdata,"",@progbits
; Kernel info:
; codeLenInByte = 2904
; TotalNumSgprs: 39
; NumVgprs: 50
; ScratchSize: 0
; MemoryBound: 0
; FloatMode: 240
; IeeeMode: 1
; LDSByteSize: 0 bytes/workgroup (compile time only)
; SGPRBlocks: 0
; VGPRBlocks: 3
; NumSGPRsForWavesPerEU: 39
; NumVGPRsForWavesPerEU: 50
; NamedBarCnt: 0
; Occupancy: 16
; WaveLimiterHint : 1
; COMPUTE_PGM_RSRC2:SCRATCH_EN: 0
; COMPUTE_PGM_RSRC2:USER_SGPR: 2
; COMPUTE_PGM_RSRC2:TRAP_HANDLER: 0
; COMPUTE_PGM_RSRC2:TGID_X_EN: 1
; COMPUTE_PGM_RSRC2:TGID_Y_EN: 0
; COMPUTE_PGM_RSRC2:TGID_Z_EN: 0
; COMPUTE_PGM_RSRC2:TIDIG_COMP_CNT: 0
	.section	.text._ZN9rocsparseL23bsric0_binsearch_kernelILj64ELj64ELb1EdEEv20rocsparse_direction_iiPKiS3_PT2_S3_PiS3_S6_21rocsparse_index_base_,"axG",@progbits,_ZN9rocsparseL23bsric0_binsearch_kernelILj64ELj64ELb1EdEEv20rocsparse_direction_iiPKiS3_PT2_S3_PiS3_S6_21rocsparse_index_base_,comdat
	.globl	_ZN9rocsparseL23bsric0_binsearch_kernelILj64ELj64ELb1EdEEv20rocsparse_direction_iiPKiS3_PT2_S3_PiS3_S6_21rocsparse_index_base_ ; -- Begin function _ZN9rocsparseL23bsric0_binsearch_kernelILj64ELj64ELb1EdEEv20rocsparse_direction_iiPKiS3_PT2_S3_PiS3_S6_21rocsparse_index_base_
	.p2align	8
	.type	_ZN9rocsparseL23bsric0_binsearch_kernelILj64ELj64ELb1EdEEv20rocsparse_direction_iiPKiS3_PT2_S3_PiS3_S6_21rocsparse_index_base_,@function
_ZN9rocsparseL23bsric0_binsearch_kernelILj64ELj64ELb1EdEEv20rocsparse_direction_iiPKiS3_PT2_S3_PiS3_S6_21rocsparse_index_base_: ; @_ZN9rocsparseL23bsric0_binsearch_kernelILj64ELj64ELb1EdEEv20rocsparse_direction_iiPKiS3_PT2_S3_PiS3_S6_21rocsparse_index_base_
; %bb.0:
	s_load_b256 s[8:15], s[0:1], 0x28
	s_bfe_u32 s2, ttmp6, 0x4000c
	s_and_b32 s3, ttmp6, 15
	s_add_co_i32 s2, s2, 1
	s_getreg_b32 s4, hwreg(HW_REG_IB_STS2, 6, 4)
	s_mul_i32 s2, ttmp9, s2
	s_load_b32 s7, s[0:1], 0x48
	s_add_co_i32 s3, s3, s2
	s_cmp_eq_u32 s4, 0
	s_cselect_b32 s2, ttmp9, s3
	s_delay_alu instid0(SALU_CYCLE_1)
	v_mov_b32_e32 v1, s2
	s_wait_kmcnt 0x0
	global_load_b32 v2, v1, s[12:13] scale_offset
	s_wait_loadcnt 0x0
	global_load_b32 v1, v2, s[8:9] scale_offset
	v_ashrrev_i32_e32 v3, 31, v2
	s_wait_loadcnt 0x0
	v_readfirstlane_b32 s2, v1
	s_cmp_lg_u32 s2, -1
	s_cselect_b32 s2, -1, 0
	s_delay_alu instid0(SALU_CYCLE_1) | instskip(NEXT) | instid1(SALU_CYCLE_1)
	s_and_saveexec_b32 s3, s2
	s_xor_b32 s20, exec_lo, s3
	s_cbranch_execz .LBB20_71
; %bb.1:
	s_load_b32 s21, s[0:1], 0x8
	s_mov_b32 s22, exec_lo
	s_wait_kmcnt 0x0
	v_cmpx_gt_i32_e64 s21, v0
	s_cbranch_execz .LBB20_68
; %bb.2:
	s_clause 0x2
	s_load_b128 s[16:19], s[0:1], 0x10
	s_load_b32 s5, s[0:1], 0x0
	s_load_b64 s[12:13], s[0:1], 0x20
	s_mul_i32 s23, s21, s21
	s_wait_xcnt 0x0
	v_cmp_ne_u32_e64 s0, 0, v0
	v_mul_lo_u32 v23, v1, s23
	s_mov_b32 s24, 0
	v_mov_b32_e32 v22, 0
	s_wait_kmcnt 0x0
	v_lshl_add_u64 v[4:5], v[2:3], 2, s[16:17]
	s_cmp_eq_u32 s5, 0
	s_cselect_b32 s1, -1, 0
	s_cmp_lg_u32 s5, 0
	global_load_b64 v[4:5], v[4:5], off
	s_cselect_b32 s25, -1, 0
	s_wait_loadcnt 0x0
	v_subrev_nc_u32_e32 v18, s7, v4
	v_xad_u32 v19, s7, -1, v5
	s_delay_alu instid0(VALU_DEP_2) | instskip(NEXT) | instid1(VALU_DEP_2)
	v_mul_lo_u32 v21, s23, v18
	v_add_nc_u32_e32 v4, v19, v18
	v_add_nc_u32_e32 v20, s7, v2
	v_cmp_lt_i32_e64 s2, v18, v1
	v_cmp_ge_i32_e64 s3, v18, v1
	v_cmp_lt_i32_e64 s4, v18, v19
	v_ashrrev_i32_e32 v4, 1, v4
	s_delay_alu instid0(VALU_DEP_1) | instskip(SKIP_1) | instid1(VALU_DEP_2)
	v_ashrrev_i32_e32 v5, 31, v4
	v_add_nc_u32_e32 v24, v21, v0
	v_lshl_add_u64 v[6:7], v[4:5], 2, s[18:19]
	v_mov_b32_e32 v5, v0
	s_branch .LBB20_4
.LBB20_3:                               ;   in Loop: Header=BB20_4 Depth=1
	v_dual_add_nc_u32 v5, 64, v5 :: v_dual_add_nc_u32 v24, 64, v24
	s_delay_alu instid0(VALU_DEP_1) | instskip(SKIP_1) | instid1(SALU_CYCLE_1)
	v_cmp_le_i32_e32 vcc_lo, s21, v5
	s_or_b32 s24, vcc_lo, s24
	s_and_not1_b32 exec_lo, exec_lo, s24
	s_cbranch_execz .LBB20_68
.LBB20_4:                               ; =>This Loop Header: Depth=1
                                        ;     Child Loop BB20_9 Depth 2
                                        ;       Child Loop BB20_13 Depth 3
                                        ;         Child Loop BB20_14 Depth 4
                                        ;       Child Loop BB20_18 Depth 3
                                        ;         Child Loop BB20_20 Depth 4
                                        ;         Child Loop BB20_27 Depth 4
                                        ;           Child Loop BB20_29 Depth 5
                                        ;           Child Loop BB20_35 Depth 5
                                        ;     Child Loop BB20_42 Depth 2
                                        ;       Child Loop BB20_46 Depth 3
                                        ;       Child Loop BB20_54 Depth 3
                                        ;         Child Loop BB20_56 Depth 4
                                        ;       Child Loop BB20_64 Depth 3
	s_delay_alu instid0(VALU_DEP_1) | instskip(SKIP_1) | instid1(SALU_CYCLE_1)
	v_mul_lo_u32 v25, v5, s21
	s_and_saveexec_b32 s5, s3
	s_xor_b32 s5, exec_lo, s5
; %bb.5:                                ;   in Loop: Header=BB20_4 Depth=1
	v_mul_lo_u32 v25, v5, s21
; %bb.6:                                ;   in Loop: Header=BB20_4 Depth=1
	s_or_saveexec_b32 s26, s5
	v_mov_b64_e32 v[8:9], 0
	s_xor_b32 exec_lo, exec_lo, s26
	s_cbranch_execz .LBB20_39
; %bb.7:                                ;   in Loop: Header=BB20_4 Depth=1
	v_mov_b64_e32 v[8:9], 0
	v_mov_b32_e32 v26, v18
	s_mov_b32 s27, 0
	s_branch .LBB20_9
.LBB20_8:                               ;   in Loop: Header=BB20_9 Depth=2
	s_wait_xcnt 0x0
	s_or_b32 exec_lo, exec_lo, s28
	v_add_nc_u32_e32 v26, 1, v26
	s_xor_b32 s5, s5, -1
	s_delay_alu instid0(VALU_DEP_1) | instskip(SKIP_1) | instid1(SALU_CYCLE_1)
	v_cmp_ge_i32_e32 vcc_lo, v26, v1
	s_or_b32 s5, s5, vcc_lo
	s_and_b32 s5, exec_lo, s5
	s_delay_alu instid0(SALU_CYCLE_1) | instskip(NEXT) | instid1(SALU_CYCLE_1)
	s_or_b32 s27, s5, s27
	s_and_not1_b32 exec_lo, exec_lo, s27
	s_cbranch_execz .LBB20_38
.LBB20_9:                               ;   Parent Loop BB20_4 Depth=1
                                        ; =>  This Loop Header: Depth=2
                                        ;       Child Loop BB20_13 Depth 3
                                        ;         Child Loop BB20_14 Depth 4
                                        ;       Child Loop BB20_18 Depth 3
                                        ;         Child Loop BB20_20 Depth 4
                                        ;         Child Loop BB20_27 Depth 4
                                        ;           Child Loop BB20_29 Depth 5
                                        ;           Child Loop BB20_35 Depth 5
	global_load_b32 v27, v26, s[18:19] scale_offset
	s_wait_loadcnt 0x0
	v_subrev_nc_u32_e32 v10, s7, v27
	global_load_b32 v28, v10, s[8:9] scale_offset
	s_wait_loadcnt 0x0
	v_cmp_ne_u32_e64 s5, -1, v28
	s_wait_xcnt 0x0
	s_and_saveexec_b32 s28, s5
	s_cbranch_execz .LBB20_8
; %bb.10:                               ;   in Loop: Header=BB20_9 Depth=2
	v_ashrrev_i32_e32 v11, 31, v10
	s_mov_b32 s6, exec_lo
	s_delay_alu instid0(VALU_DEP_1) | instskip(NEXT) | instid1(VALU_DEP_1)
	v_lshlrev_b64_e32 v[12:13], 2, v[10:11]
	v_add_nc_u64_e32 v[14:15], s[16:17], v[12:13]
	v_add_nc_u64_e32 v[12:13], s[10:11], v[12:13]
	global_load_b32 v11, v[14:15], off
	global_load_b32 v16, v[12:13], off scope:SCOPE_DEV
	s_wait_loadcnt 0x0
	s_wait_xcnt 0x0
	v_cmpx_eq_u32_e32 0, v16
	s_cbranch_execz .LBB20_15
; %bb.11:                               ;   in Loop: Header=BB20_9 Depth=2
	s_mov_b32 s29, 0
	s_mov_b32 s30, 0
	s_branch .LBB20_13
.LBB20_12:                              ;   in Loop: Header=BB20_13 Depth=3
	global_load_b32 v14, v[12:13], off scope:SCOPE_DEV
	s_cmp_lt_u32 s30, 0xf43
	s_cselect_b32 s31, -1, 0
	s_delay_alu instid0(SALU_CYCLE_1)
	s_cmp_lg_u32 s31, 0
	s_add_co_ci_u32 s30, s30, 0
	s_wait_loadcnt 0x0
	v_cmp_ne_u32_e32 vcc_lo, 0, v14
	s_or_b32 s29, vcc_lo, s29
	s_wait_xcnt 0x0
	s_and_not1_b32 exec_lo, exec_lo, s29
	s_cbranch_execz .LBB20_15
.LBB20_13:                              ;   Parent Loop BB20_4 Depth=1
                                        ;     Parent Loop BB20_9 Depth=2
                                        ; =>    This Loop Header: Depth=3
                                        ;         Child Loop BB20_14 Depth 4
	s_cmp_eq_u32 s30, 0
	s_mov_b32 s31, s30
	s_cbranch_scc1 .LBB20_12
.LBB20_14:                              ;   Parent Loop BB20_4 Depth=1
                                        ;     Parent Loop BB20_9 Depth=2
                                        ;       Parent Loop BB20_13 Depth=3
                                        ; =>      This Inner Loop Header: Depth=4
	s_add_co_i32 s31, s31, -1
	s_sleep 1
	s_cmp_eq_u32 s31, 0
	s_cbranch_scc0 .LBB20_14
	s_branch .LBB20_12
.LBB20_15:                              ;   in Loop: Header=BB20_9 Depth=2
	s_or_b32 exec_lo, exec_lo, s6
	v_mul_lo_u32 v12, v26, s23
	v_subrev_nc_u32_e32 v29, s7, v11
	v_mul_lo_u32 v30, v10, s21
	v_mul_lo_u32 v31, v28, s23
	s_mov_b32 s29, 0
	global_inv scope:SCOPE_DEV
	v_mul_lo_u32 v32, s23, v29
	v_cmp_le_i32_e64 s6, v29, v28
	v_add_nc_u32_e32 v33, v12, v5
	v_add_nc_u32_e32 v34, v12, v25
	s_branch .LBB20_18
.LBB20_16:                              ;   in Loop: Header=BB20_18 Depth=3
	s_or_b32 exec_lo, exec_lo, s33
.LBB20_17:                              ;   in Loop: Header=BB20_18 Depth=3
	s_delay_alu instid0(SALU_CYCLE_1) | instskip(SKIP_4) | instid1(SALU_CYCLE_1)
	s_or_b32 exec_lo, exec_lo, s31
	s_wait_loadcnt 0x0
	v_dual_add_f64 v[12:13], v[12:13], -v[16:17] :: v_dual_ashrrev_i32 v15, 31, v14
	v_add_nc_u32_e32 v32, 1, v32
	s_add_co_i32 s29, s29, 1
	s_cmp_eq_u32 s29, s21
	s_delay_alu instid0(VALU_DEP_2) | instskip(NEXT) | instid1(VALU_DEP_3)
	v_lshl_add_u64 v[14:15], v[14:15], 3, s[12:13]
	v_div_scale_f64 v[16:17], null, v[10:11], v[10:11], v[12:13]
	s_delay_alu instid0(VALU_DEP_1) | instskip(SKIP_1) | instid1(TRANS32_DEP_1)
	v_rcp_f64_e32 v[36:37], v[16:17]
	v_nop
	v_fma_f64 v[38:39], -v[16:17], v[36:37], 1.0
	s_delay_alu instid0(VALU_DEP_1) | instskip(NEXT) | instid1(VALU_DEP_1)
	v_fmac_f64_e32 v[36:37], v[36:37], v[38:39]
	v_fma_f64 v[38:39], -v[16:17], v[36:37], 1.0
	s_delay_alu instid0(VALU_DEP_1) | instskip(SKIP_1) | instid1(VALU_DEP_1)
	v_fmac_f64_e32 v[36:37], v[36:37], v[38:39]
	v_div_scale_f64 v[38:39], vcc_lo, v[12:13], v[10:11], v[12:13]
	v_mul_f64_e32 v[40:41], v[38:39], v[36:37]
	s_delay_alu instid0(VALU_DEP_1) | instskip(NEXT) | instid1(VALU_DEP_1)
	v_fma_f64 v[16:17], -v[16:17], v[40:41], v[38:39]
	v_div_fmas_f64 v[16:17], v[16:17], v[36:37], v[40:41]
	s_delay_alu instid0(VALU_DEP_1) | instskip(NEXT) | instid1(VALU_DEP_1)
	v_div_fixup_f64 v[10:11], v[16:17], v[10:11], v[12:13]
	v_fmac_f64_e32 v[8:9], v[10:11], v[10:11]
	global_store_b64 v[14:15], v[10:11], off
	s_cbranch_scc1 .LBB20_8
.LBB20_18:                              ;   Parent Loop BB20_4 Depth=1
                                        ;     Parent Loop BB20_9 Depth=2
                                        ; =>    This Loop Header: Depth=3
                                        ;         Child Loop BB20_20 Depth 4
                                        ;         Child Loop BB20_27 Depth 4
                                        ;           Child Loop BB20_29 Depth 5
                                        ;           Child Loop BB20_35 Depth 5
	s_mul_i32 s30, s29, s21
	s_wait_xcnt 0x0
	v_add3_u32 v10, s30, s29, v31
	global_load_b64 v[10:11], v10, s[12:13] scale_offset
	s_wait_loadcnt 0x0
	v_cmp_neq_f64_e32 vcc_lo, 0, v[10:11]
	v_cndmask_b32_e32 v11, 0x3ff00000, v11, vcc_lo
	s_wait_xcnt 0x0
	v_cndmask_b32_e32 v10, 0, v10, vcc_lo
	s_nor_b32 s33, vcc_lo, s0
	s_delay_alu instid0(SALU_CYCLE_1)
	s_and_saveexec_b32 s31, s33
	s_cbranch_execz .LBB20_24
; %bb.19:                               ;   in Loop: Header=BB20_18 Depth=3
	s_mov_b32 s34, exec_lo
	s_brev_b32 s33, -2
.LBB20_20:                              ;   Parent Loop BB20_4 Depth=1
                                        ;     Parent Loop BB20_9 Depth=2
                                        ;       Parent Loop BB20_18 Depth=3
                                        ; =>      This Inner Loop Header: Depth=4
	s_ctz_i32_b32 s35, s34
	s_delay_alu instid0(SALU_CYCLE_1) | instskip(SKIP_1) | instid1(SALU_CYCLE_1)
	v_readlane_b32 s36, v27, s35
	s_lshl_b32 s35, 1, s35
	s_and_not1_b32 s34, s34, s35
	s_min_i32 s33, s33, s36
	s_cmp_lg_u32 s34, 0
	s_cbranch_scc1 .LBB20_20
; %bb.21:                               ;   in Loop: Header=BB20_18 Depth=3
	v_mbcnt_lo_u32_b32 v10, exec_lo, 0
	s_mov_b32 s34, exec_lo
	s_delay_alu instid0(VALU_DEP_1)
	v_cmpx_eq_u32_e32 0, v10
	s_xor_b32 s34, exec_lo, s34
	s_cbranch_execz .LBB20_23
; %bb.22:                               ;   in Loop: Header=BB20_18 Depth=3
	v_mov_b32_e32 v10, s33
	global_atomic_min_i32 v22, v10, s[14:15] scope:SCOPE_DEV
.LBB20_23:                              ;   in Loop: Header=BB20_18 Depth=3
	s_wait_xcnt 0x0
	s_or_b32 exec_lo, exec_lo, s34
	v_mov_b64_e32 v[10:11], 1.0
.LBB20_24:                              ;   in Loop: Header=BB20_18 Depth=3
	s_or_b32 exec_lo, exec_lo, s31
	v_dual_add_nc_u32 v12, s30, v33 :: v_dual_add_nc_u32 v13, s29, v34
	v_mov_b64_e32 v[16:17], 0
	s_delay_alu instid0(VALU_DEP_2)
	v_cndmask_b32_e64 v14, v12, v13, s1
	global_load_b64 v[12:13], v14, s[12:13] scale_offset
	s_wait_xcnt 0x0
	s_and_saveexec_b32 s31, s6
	s_cbranch_execz .LBB20_17
; %bb.25:                               ;   in Loop: Header=BB20_18 Depth=3
	global_load_b32 v15, v[6:7], off
	v_mov_b64_e32 v[16:17], 0
	v_dual_mov_b32 v36, v32 :: v_dual_add_nc_u32 v35, s29, v30
	v_mov_b32_e32 v37, v29
	s_mov_b32 s33, 0
	s_branch .LBB20_27
.LBB20_26:                              ;   in Loop: Header=BB20_27 Depth=4
	s_or_b32 exec_lo, exec_lo, s34
	v_dual_add_nc_u32 v38, 1, v37 :: v_dual_add_nc_u32 v36, s23, v36
	v_cmp_ge_i32_e32 vcc_lo, v37, v28
	s_delay_alu instid0(VALU_DEP_2) | instskip(SKIP_1) | instid1(SALU_CYCLE_1)
	v_mov_b32_e32 v37, v38
	s_or_b32 s33, vcc_lo, s33
	s_and_not1_b32 exec_lo, exec_lo, s33
	s_cbranch_execz .LBB20_16
.LBB20_27:                              ;   Parent Loop BB20_4 Depth=1
                                        ;     Parent Loop BB20_9 Depth=2
                                        ;       Parent Loop BB20_18 Depth=3
                                        ; =>      This Loop Header: Depth=4
                                        ;           Child Loop BB20_29 Depth 5
                                        ;           Child Loop BB20_35 Depth 5
	global_load_b32 v38, v37, s[18:19] scale_offset
	s_wait_loadcnt 0x1
	v_dual_mov_b32 v40, v15 :: v_dual_mov_b32 v39, v4
	s_wait_xcnt 0x0
	s_and_saveexec_b32 s34, s4
	s_cbranch_execz .LBB20_31
; %bb.28:                               ;   in Loop: Header=BB20_27 Depth=4
	v_dual_mov_b32 v40, v15 :: v_dual_mov_b32 v39, v4
	v_dual_mov_b32 v41, v19 :: v_dual_mov_b32 v42, v18
	s_mov_b32 s35, 0
.LBB20_29:                              ;   Parent Loop BB20_4 Depth=1
                                        ;     Parent Loop BB20_9 Depth=2
                                        ;       Parent Loop BB20_18 Depth=3
                                        ;         Parent Loop BB20_27 Depth=4
                                        ; =>        This Inner Loop Header: Depth=5
	s_wait_loadcnt 0x0
	s_delay_alu instid0(VALU_DEP_2) | instskip(NEXT) | instid1(VALU_DEP_2)
	v_cmp_lt_i32_e32 vcc_lo, v40, v38
	v_dual_add_nc_u32 v43, 1, v39 :: v_dual_cndmask_b32 v41, v39, v41, vcc_lo
	s_delay_alu instid0(VALU_DEP_1) | instskip(NEXT) | instid1(VALU_DEP_1)
	v_cndmask_b32_e32 v42, v42, v43, vcc_lo
	v_add_nc_u32_e32 v39, v41, v42
	v_cmp_ge_i32_e32 vcc_lo, v42, v41
	s_delay_alu instid0(VALU_DEP_2)
	v_ashrrev_i32_e32 v39, 1, v39
	s_or_b32 s35, vcc_lo, s35
	global_load_b32 v40, v39, s[18:19] scale_offset
	s_wait_xcnt 0x0
	s_and_not1_b32 exec_lo, exec_lo, s35
	s_cbranch_execnz .LBB20_29
; %bb.30:                               ;   in Loop: Header=BB20_27 Depth=4
	s_or_b32 exec_lo, exec_lo, s35
.LBB20_31:                              ;   in Loop: Header=BB20_27 Depth=4
	s_delay_alu instid0(SALU_CYCLE_1) | instskip(NEXT) | instid1(SALU_CYCLE_1)
	s_or_b32 exec_lo, exec_lo, s34
	s_mov_b32 s34, exec_lo
	s_wait_loadcnt 0x0
	v_cmpx_eq_u32_e64 v40, v38
	s_cbranch_execz .LBB20_26
; %bb.32:                               ;   in Loop: Header=BB20_27 Depth=4
	v_mul_lo_u32 v41, v39, s23
	v_subrev_nc_u32_e32 v39, s7, v38
	v_mad_u32 v38, v37, s23, s30
	s_mov_b32 s35, 0
	v_mov_b32_e32 v42, v36
	s_delay_alu instid0(VALU_DEP_3)
	v_mul_lo_u32 v39, v39, s21
	v_add_nc_u32_e32 v40, v41, v25
	v_add_nc_u32_e32 v41, v5, v41
	s_branch .LBB20_35
.LBB20_33:                              ;   in Loop: Header=BB20_35 Depth=5
	s_clause 0x1
	global_load_b64 v[46:47], v44, s[12:13] scale_offset
	global_load_b64 v[48:49], v43, s[12:13] scale_offset
	s_wait_loadcnt 0x0
	v_fmac_f64_e32 v[16:17], v[46:47], v[48:49]
.LBB20_34:                              ;   in Loop: Header=BB20_35 Depth=5
	s_wait_xcnt 0x0
	s_or_b32 exec_lo, exec_lo, s36
	v_dual_add_nc_u32 v41, s21, v41 :: v_dual_add_nc_u32 v42, s21, v42
	s_add_co_i32 s35, s35, 1
	s_delay_alu instid0(SALU_CYCLE_1)
	s_cmp_lg_u32 s21, s35
	s_cbranch_scc0 .LBB20_26
.LBB20_35:                              ;   Parent Loop BB20_4 Depth=1
                                        ;     Parent Loop BB20_9 Depth=2
                                        ;       Parent Loop BB20_18 Depth=3
                                        ;         Parent Loop BB20_27 Depth=4
                                        ; =>        This Inner Loop Header: Depth=5
	s_delay_alu instid0(VALU_DEP_3) | instskip(SKIP_1) | instid1(VALU_DEP_1)
	v_add_nc_u32_e32 v43, s35, v39
	s_mov_b32 s36, exec_lo
	v_cmpx_lt_i32_e64 v43, v35
	s_cbranch_execz .LBB20_34
; %bb.36:                               ;   in Loop: Header=BB20_35 Depth=5
	v_dual_mov_b32 v43, v41 :: v_dual_mov_b32 v44, v42
	s_and_not1_b32 vcc_lo, exec_lo, s1
	s_cbranch_vccnz .LBB20_33
; %bb.37:                               ;   in Loop: Header=BB20_35 Depth=5
	v_dual_add_nc_u32 v44, s35, v38 :: v_dual_add_nc_u32 v43, s35, v40
	s_branch .LBB20_33
.LBB20_38:                              ;   in Loop: Header=BB20_4 Depth=1
	s_or_b32 exec_lo, exec_lo, s27
.LBB20_39:                              ;   in Loop: Header=BB20_4 Depth=1
	s_delay_alu instid0(SALU_CYCLE_1) | instskip(NEXT) | instid1(VALU_DEP_2)
	s_or_b32 exec_lo, exec_lo, s26
	v_add_nc_u32_e32 v26, v25, v23
	v_mov_b32_e32 v27, v21
	s_mov_b32 s5, 0
	s_branch .LBB20_42
.LBB20_40:                              ;   in Loop: Header=BB20_42 Depth=2
	s_wait_loadcnt 0x0
	s_delay_alu instid0(VALU_DEP_1) | instskip(NEXT) | instid1(VALU_DEP_1)
	v_add_f64_e64 v[12:13], v[12:13], -v[14:15]
	v_div_scale_f64 v[14:15], null, v[10:11], v[10:11], v[12:13]
	s_delay_alu instid0(VALU_DEP_1) | instskip(SKIP_2) | instid1(TRANS32_DEP_1)
	v_rcp_f64_e32 v[28:29], v[14:15]
	s_wait_xcnt 0x0
	v_nop
	v_fma_f64 v[30:31], -v[14:15], v[28:29], 1.0
	s_delay_alu instid0(VALU_DEP_1) | instskip(NEXT) | instid1(VALU_DEP_1)
	v_fmac_f64_e32 v[28:29], v[28:29], v[30:31]
	v_fma_f64 v[30:31], -v[14:15], v[28:29], 1.0
	s_delay_alu instid0(VALU_DEP_1) | instskip(SKIP_1) | instid1(VALU_DEP_1)
	v_fmac_f64_e32 v[28:29], v[28:29], v[30:31]
	v_div_scale_f64 v[30:31], vcc_lo, v[12:13], v[10:11], v[12:13]
	v_mul_f64_e32 v[32:33], v[30:31], v[28:29]
	s_delay_alu instid0(VALU_DEP_1) | instskip(NEXT) | instid1(VALU_DEP_1)
	v_fma_f64 v[14:15], -v[14:15], v[32:33], v[30:31]
	v_div_fmas_f64 v[14:15], v[14:15], v[28:29], v[32:33]
	s_delay_alu instid0(VALU_DEP_1) | instskip(NEXT) | instid1(VALU_DEP_1)
	v_div_fixup_f64 v[10:11], v[14:15], v[10:11], v[12:13]
	v_fmac_f64_e32 v[8:9], v[10:11], v[10:11]
	global_store_b64 v[16:17], v[10:11], off
.LBB20_41:                              ;   in Loop: Header=BB20_42 Depth=2
	s_wait_xcnt 0x0
	s_or_b32 exec_lo, exec_lo, s26
	v_add_nc_u32_e32 v27, 1, v27
	s_add_co_i32 s5, s5, 1
	global_wb scope:SCOPE_DEV
	s_wait_storecnt 0x0
	global_inv scope:SCOPE_DEV
	s_cmp_eq_u32 s5, s21
	s_cbranch_scc1 .LBB20_3
.LBB20_42:                              ;   Parent Loop BB20_4 Depth=1
                                        ; =>  This Loop Header: Depth=2
                                        ;       Child Loop BB20_46 Depth 3
                                        ;       Child Loop BB20_54 Depth 3
                                        ;         Child Loop BB20_56 Depth 4
                                        ;       Child Loop BB20_64 Depth 3
	s_mul_i32 s6, s5, s21
	s_mov_b32 s26, exec_lo
	v_add_nc_u32_e32 v28, s6, v23
	s_delay_alu instid0(VALU_DEP_1) | instskip(NEXT) | instid1(VALU_DEP_1)
	v_add_nc_u32_e32 v10, s5, v28
	v_ashrrev_i32_e32 v11, 31, v10
	s_delay_alu instid0(VALU_DEP_1)
	v_lshl_add_u64 v[10:11], v[10:11], 3, s[12:13]
	v_cmpx_eq_u32_e64 s5, v5
	s_cbranch_execz .LBB20_44
; %bb.43:                               ;   in Loop: Header=BB20_42 Depth=2
	global_load_b64 v[12:13], v[10:11], off
	s_wait_loadcnt 0x0
	v_add_f64_e64 v[12:13], v[12:13], -v[8:9]
	s_delay_alu instid0(VALU_DEP_1) | instskip(SKIP_1) | instid1(VALU_DEP_1)
	v_cmp_gt_f64_e32 vcc_lo, 0, v[12:13]
	v_xor_b32_e32 v14, 0x80000000, v13
	v_cndmask_b32_e32 v13, v13, v14, vcc_lo
	s_delay_alu instid0(VALU_DEP_1) | instskip(SKIP_1) | instid1(VALU_DEP_1)
	v_cmp_gt_f64_e32 vcc_lo, 0x10000000, v[12:13]
	v_cndmask_b32_e64 v14, 0, 0x100, vcc_lo
	v_ldexp_f64 v[12:13], v[12:13], v14
	s_delay_alu instid0(VALU_DEP_1) | instskip(SKIP_1) | instid1(TRANS32_DEP_1)
	v_rsq_f64_e32 v[14:15], v[12:13]
	v_nop
	v_mul_f64_e32 v[16:17], v[12:13], v[14:15]
	v_mul_f64_e32 v[14:15], 0.5, v[14:15]
	s_delay_alu instid0(VALU_DEP_1) | instskip(NEXT) | instid1(VALU_DEP_1)
	v_fma_f64 v[30:31], -v[14:15], v[16:17], 0.5
	v_fmac_f64_e32 v[16:17], v[16:17], v[30:31]
	v_fmac_f64_e32 v[14:15], v[14:15], v[30:31]
	s_delay_alu instid0(VALU_DEP_2) | instskip(NEXT) | instid1(VALU_DEP_1)
	v_fma_f64 v[30:31], -v[16:17], v[16:17], v[12:13]
	v_fmac_f64_e32 v[16:17], v[30:31], v[14:15]
	s_delay_alu instid0(VALU_DEP_1) | instskip(NEXT) | instid1(VALU_DEP_1)
	v_fma_f64 v[30:31], -v[16:17], v[16:17], v[12:13]
	v_fmac_f64_e32 v[16:17], v[30:31], v[14:15]
	v_cndmask_b32_e64 v14, 0, 0xffffff80, vcc_lo
	v_cmp_class_f64_e64 vcc_lo, v[12:13], 0x260
	s_delay_alu instid0(VALU_DEP_2) | instskip(NEXT) | instid1(VALU_DEP_1)
	v_ldexp_f64 v[14:15], v[16:17], v14
	v_dual_cndmask_b32 v13, v15, v13 :: v_dual_cndmask_b32 v12, v14, v12
	global_store_b64 v[10:11], v[12:13], off
.LBB20_44:                              ;   in Loop: Header=BB20_42 Depth=2
	s_wait_xcnt 0x0
	s_or_b32 exec_lo, exec_lo, s26
	global_wb scope:SCOPE_DEV
	s_wait_storecnt 0x0
	global_inv scope:SCOPE_DEV
	global_load_b64 v[10:11], v[10:11], off
	s_wait_loadcnt 0x0
	v_cmp_neq_f64_e32 vcc_lo, 0, v[10:11]
	s_wait_xcnt 0x0
	v_cndmask_b32_e32 v11, 0x3ff00000, v11, vcc_lo
	v_cndmask_b32_e32 v10, 0, v10, vcc_lo
	s_nor_b32 s27, vcc_lo, s0
	s_delay_alu instid0(SALU_CYCLE_1)
	s_and_saveexec_b32 s26, s27
	s_cbranch_execz .LBB20_50
; %bb.45:                               ;   in Loop: Header=BB20_42 Depth=2
	s_mov_b32 s28, exec_lo
	s_brev_b32 s27, -2
.LBB20_46:                              ;   Parent Loop BB20_4 Depth=1
                                        ;     Parent Loop BB20_42 Depth=2
                                        ; =>    This Inner Loop Header: Depth=3
	s_ctz_i32_b32 s29, s28
	s_delay_alu instid0(SALU_CYCLE_1) | instskip(SKIP_1) | instid1(SALU_CYCLE_1)
	v_readlane_b32 s30, v20, s29
	s_lshl_b32 s29, 1, s29
	s_and_not1_b32 s28, s28, s29
	s_min_i32 s27, s27, s30
	s_cmp_lg_u32 s28, 0
	s_cbranch_scc1 .LBB20_46
; %bb.47:                               ;   in Loop: Header=BB20_42 Depth=2
	v_mbcnt_lo_u32_b32 v10, exec_lo, 0
	s_mov_b32 s28, exec_lo
	s_delay_alu instid0(VALU_DEP_1)
	v_cmpx_eq_u32_e32 0, v10
	s_xor_b32 s28, exec_lo, s28
	s_cbranch_execz .LBB20_49
; %bb.48:                               ;   in Loop: Header=BB20_42 Depth=2
	v_mov_b32_e32 v10, s27
	global_atomic_min_i32 v22, v10, s[14:15] scope:SCOPE_DEV
.LBB20_49:                              ;   in Loop: Header=BB20_42 Depth=2
	s_wait_xcnt 0x0
	s_or_b32 exec_lo, exec_lo, s28
	v_mov_b64_e32 v[10:11], 1.0
.LBB20_50:                              ;   in Loop: Header=BB20_42 Depth=2
	s_or_b32 exec_lo, exec_lo, s26
	s_delay_alu instid0(SALU_CYCLE_1)
	s_mov_b32 s26, exec_lo
	v_cmpx_lt_i32_e64 s5, v5
	s_cbranch_execz .LBB20_41
; %bb.51:                               ;   in Loop: Header=BB20_42 Depth=2
	v_dual_add_nc_u32 v12, v28, v5 :: v_dual_add_nc_u32 v13, s5, v26
	v_mov_b64_e32 v[14:15], 0
	s_delay_alu instid0(VALU_DEP_2)
	v_cndmask_b32_e64 v16, v12, v13, s1
	global_load_b64 v[12:13], v16, s[12:13] scale_offset
	s_wait_xcnt 0x0
	s_and_saveexec_b32 s27, s2
	s_cbranch_execz .LBB20_61
; %bb.52:                               ;   in Loop: Header=BB20_42 Depth=2
	v_mov_b64_e32 v[14:15], 0
	v_dual_mov_b32 v17, v27 :: v_dual_mov_b32 v29, v24
	v_mov_b32_e32 v30, v18
	s_mov_b32 s28, 0
	s_branch .LBB20_54
.LBB20_53:                              ;   in Loop: Header=BB20_54 Depth=3
	v_dual_add_nc_u32 v30, 1, v30 :: v_dual_add_nc_u32 v29, s23, v29
	v_add_nc_u32_e32 v17, s23, v17
	s_delay_alu instid0(VALU_DEP_2)
	v_cmp_ge_i32_e32 vcc_lo, v30, v1
	s_or_b32 s28, vcc_lo, s28
	s_wait_xcnt 0x0
	s_and_not1_b32 exec_lo, exec_lo, s28
	s_cbranch_execz .LBB20_60
.LBB20_54:                              ;   Parent Loop BB20_4 Depth=1
                                        ;     Parent Loop BB20_42 Depth=2
                                        ; =>    This Loop Header: Depth=3
                                        ;         Child Loop BB20_56 Depth 4
	s_delay_alu instid0(VALU_DEP_1) | instskip(SKIP_3) | instid1(VALU_DEP_1)
	v_mul_lo_u32 v32, v30, s23
	s_mov_b32 s29, s21
	s_mov_b32 s30, 0
	;; [unrolled: 1-line block ×3, first 2 shown]
	v_dual_add_nc_u32 v31, s6, v32 :: v_dual_add_nc_u32 v32, v32, v25
	s_branch .LBB20_56
.LBB20_55:                              ;   in Loop: Header=BB20_56 Depth=4
	s_clause 0x1
	global_load_b64 v[36:37], v33, s[12:13] scale_offset
	global_load_b64 v[38:39], v34, s[12:13] scale_offset
	s_add_co_i32 s29, s29, -1
	s_add_co_i32 s31, s31, 1
	s_add_co_i32 s30, s30, s21
	s_cmp_eq_u32 s29, 0
	s_wait_loadcnt 0x0
	v_fmac_f64_e32 v[14:15], v[36:37], v[38:39]
	s_cbranch_scc1 .LBB20_53
.LBB20_56:                              ;   Parent Loop BB20_4 Depth=1
                                        ;     Parent Loop BB20_42 Depth=2
                                        ;       Parent Loop BB20_54 Depth=3
                                        ; =>      This Inner Loop Header: Depth=4
	s_and_b32 vcc_lo, exec_lo, s25
	s_mov_b32 s33, -1
                                        ; implicit-def: $vgpr33
                                        ; implicit-def: $vgpr34
	s_cbranch_vccz .LBB20_58
; %bb.57:                               ;   in Loop: Header=BB20_56 Depth=4
	s_wait_xcnt 0x1
	v_add_nc_u32_e32 v33, s30, v17
	s_wait_xcnt 0x0
	v_add_nc_u32_e32 v34, s30, v29
	s_mov_b32 s33, 0
.LBB20_58:                              ;   in Loop: Header=BB20_56 Depth=4
	s_delay_alu instid0(SALU_CYCLE_1)
	s_and_not1_b32 vcc_lo, exec_lo, s33
	s_cbranch_vccnz .LBB20_55
; %bb.59:                               ;   in Loop: Header=BB20_56 Depth=4
	s_wait_xcnt 0x0
	v_dual_add_nc_u32 v33, s31, v31 :: v_dual_add_nc_u32 v34, s31, v32
	s_branch .LBB20_55
.LBB20_60:                              ;   in Loop: Header=BB20_42 Depth=2
	s_or_b32 exec_lo, exec_lo, s28
.LBB20_61:                              ;   in Loop: Header=BB20_42 Depth=2
	s_delay_alu instid0(SALU_CYCLE_1) | instskip(SKIP_2) | instid1(VALU_DEP_1)
	s_or_b32 exec_lo, exec_lo, s27
	v_ashrrev_i32_e32 v17, 31, v16
	s_cmp_eq_u32 s5, 0
	v_lshl_add_u64 v[16:17], v[16:17], 3, s[12:13]
	s_cbranch_scc1 .LBB20_40
; %bb.62:                               ;   in Loop: Header=BB20_42 Depth=2
	v_mov_b32_e32 v29, v23
	s_mov_b32 s6, 0
	s_branch .LBB20_64
.LBB20_63:                              ;   in Loop: Header=BB20_64 Depth=3
	s_clause 0x1
	global_load_b64 v[32:33], v30, s[12:13] scale_offset
	global_load_b64 v[34:35], v31, s[12:13] scale_offset
	v_add_nc_u32_e32 v29, s21, v29
	s_add_co_i32 s6, s6, 1
	s_delay_alu instid0(SALU_CYCLE_1)
	s_cmp_eq_u32 s5, s6
	s_wait_loadcnt 0x0
	v_fmac_f64_e32 v[14:15], v[32:33], v[34:35]
	s_cbranch_scc1 .LBB20_40
.LBB20_64:                              ;   Parent Loop BB20_4 Depth=1
                                        ;     Parent Loop BB20_42 Depth=2
                                        ; =>    This Inner Loop Header: Depth=3
	s_and_b32 vcc_lo, exec_lo, s25
	s_mov_b32 s27, -1
                                        ; implicit-def: $vgpr30
                                        ; implicit-def: $vgpr31
	s_cbranch_vccz .LBB20_66
; %bb.65:                               ;   in Loop: Header=BB20_64 Depth=3
	s_wait_xcnt 0x0
	v_dual_add_nc_u32 v30, s5, v29 :: v_dual_add_nc_u32 v31, v5, v29
	s_mov_b32 s27, 0
.LBB20_66:                              ;   in Loop: Header=BB20_64 Depth=3
	s_delay_alu instid0(SALU_CYCLE_1)
	s_and_not1_b32 vcc_lo, exec_lo, s27
	s_cbranch_vccnz .LBB20_63
; %bb.67:                               ;   in Loop: Header=BB20_64 Depth=3
	s_wait_xcnt 0x0
	v_dual_add_nc_u32 v30, s6, v28 :: v_dual_add_nc_u32 v31, s6, v26
	s_branch .LBB20_63
.LBB20_68:
	s_or_b32 exec_lo, exec_lo, s22
	s_delay_alu instid0(SALU_CYCLE_1)
	s_mov_b32 s0, exec_lo
	v_cmpx_eq_u32_e32 63, v0
	s_cbranch_execz .LBB20_70
; %bb.69:
	v_lshl_add_u64 v[0:1], v[2:3], 2, s[10:11]
	v_mov_b32_e32 v2, 1
	global_wb scope:SCOPE_DEV
	s_wait_loadcnt 0x0
	s_wait_storecnt 0x0
	global_store_b32 v[0:1], v2, off scope:SCOPE_DEV
.LBB20_70:
	s_wait_xcnt 0x0
	s_or_b32 exec_lo, exec_lo, s0
                                        ; implicit-def: $vgpr0
                                        ; implicit-def: $vgpr2_vgpr3
.LBB20_71:
	s_and_not1_saveexec_b32 s0, s20
	s_cbranch_execz .LBB20_78
; %bb.72:
	s_mov_b32 s0, exec_lo
	v_cmpx_eq_u32_e32 63, v0
	s_cbranch_execz .LBB20_78
; %bb.73:
	v_add_nc_u32_e32 v0, s7, v2
	s_mov_b32 s1, exec_lo
	s_brev_b32 s0, -2
.LBB20_74:                              ; =>This Inner Loop Header: Depth=1
	s_ctz_i32_b32 s2, s1
	s_delay_alu instid0(VALU_DEP_1) | instid1(SALU_CYCLE_1)
	v_readlane_b32 s3, v0, s2
	s_lshl_b32 s2, 1, s2
	s_delay_alu instid0(SALU_CYCLE_1)
	s_and_not1_b32 s1, s1, s2
	s_min_i32 s0, s0, s3
	s_cmp_lg_u32 s1, 0
	s_cbranch_scc1 .LBB20_74
; %bb.75:
	v_mbcnt_lo_u32_b32 v0, exec_lo, 0
	s_mov_b32 s1, exec_lo
	s_delay_alu instid0(VALU_DEP_1)
	v_cmpx_eq_u32_e32 0, v0
	s_xor_b32 s1, exec_lo, s1
	s_cbranch_execz .LBB20_77
; %bb.76:
	v_dual_mov_b32 v0, 0 :: v_dual_mov_b32 v1, s0
	global_atomic_min_i32 v0, v1, s[14:15] scope:SCOPE_DEV
.LBB20_77:
	s_wait_xcnt 0x0
	s_or_b32 exec_lo, exec_lo, s1
	v_lshl_add_u64 v[0:1], v[2:3], 2, s[10:11]
	v_mov_b32_e32 v2, 1
	global_wb scope:SCOPE_DEV
	s_wait_loadcnt 0x0
	s_wait_storecnt 0x0
	global_store_b32 v[0:1], v2, off scope:SCOPE_DEV
.LBB20_78:
	s_endpgm
	.section	.rodata,"a",@progbits
	.p2align	6, 0x0
	.amdhsa_kernel _ZN9rocsparseL23bsric0_binsearch_kernelILj64ELj64ELb1EdEEv20rocsparse_direction_iiPKiS3_PT2_S3_PiS3_S6_21rocsparse_index_base_
		.amdhsa_group_segment_fixed_size 0
		.amdhsa_private_segment_fixed_size 0
		.amdhsa_kernarg_size 76
		.amdhsa_user_sgpr_count 2
		.amdhsa_user_sgpr_dispatch_ptr 0
		.amdhsa_user_sgpr_queue_ptr 0
		.amdhsa_user_sgpr_kernarg_segment_ptr 1
		.amdhsa_user_sgpr_dispatch_id 0
		.amdhsa_user_sgpr_kernarg_preload_length 0
		.amdhsa_user_sgpr_kernarg_preload_offset 0
		.amdhsa_user_sgpr_private_segment_size 0
		.amdhsa_wavefront_size32 1
		.amdhsa_uses_dynamic_stack 0
		.amdhsa_enable_private_segment 0
		.amdhsa_system_sgpr_workgroup_id_x 1
		.amdhsa_system_sgpr_workgroup_id_y 0
		.amdhsa_system_sgpr_workgroup_id_z 0
		.amdhsa_system_sgpr_workgroup_info 0
		.amdhsa_system_vgpr_workitem_id 0
		.amdhsa_next_free_vgpr 50
		.amdhsa_next_free_sgpr 37
		.amdhsa_named_barrier_count 0
		.amdhsa_reserve_vcc 1
		.amdhsa_float_round_mode_32 0
		.amdhsa_float_round_mode_16_64 0
		.amdhsa_float_denorm_mode_32 3
		.amdhsa_float_denorm_mode_16_64 3
		.amdhsa_fp16_overflow 0
		.amdhsa_memory_ordered 1
		.amdhsa_forward_progress 1
		.amdhsa_inst_pref_size 24
		.amdhsa_round_robin_scheduling 0
		.amdhsa_exception_fp_ieee_invalid_op 0
		.amdhsa_exception_fp_denorm_src 0
		.amdhsa_exception_fp_ieee_div_zero 0
		.amdhsa_exception_fp_ieee_overflow 0
		.amdhsa_exception_fp_ieee_underflow 0
		.amdhsa_exception_fp_ieee_inexact 0
		.amdhsa_exception_int_div_zero 0
	.end_amdhsa_kernel
	.section	.text._ZN9rocsparseL23bsric0_binsearch_kernelILj64ELj64ELb1EdEEv20rocsparse_direction_iiPKiS3_PT2_S3_PiS3_S6_21rocsparse_index_base_,"axG",@progbits,_ZN9rocsparseL23bsric0_binsearch_kernelILj64ELj64ELb1EdEEv20rocsparse_direction_iiPKiS3_PT2_S3_PiS3_S6_21rocsparse_index_base_,comdat
.Lfunc_end20:
	.size	_ZN9rocsparseL23bsric0_binsearch_kernelILj64ELj64ELb1EdEEv20rocsparse_direction_iiPKiS3_PT2_S3_PiS3_S6_21rocsparse_index_base_, .Lfunc_end20-_ZN9rocsparseL23bsric0_binsearch_kernelILj64ELj64ELb1EdEEv20rocsparse_direction_iiPKiS3_PT2_S3_PiS3_S6_21rocsparse_index_base_
                                        ; -- End function
	.set _ZN9rocsparseL23bsric0_binsearch_kernelILj64ELj64ELb1EdEEv20rocsparse_direction_iiPKiS3_PT2_S3_PiS3_S6_21rocsparse_index_base_.num_vgpr, 50
	.set _ZN9rocsparseL23bsric0_binsearch_kernelILj64ELj64ELb1EdEEv20rocsparse_direction_iiPKiS3_PT2_S3_PiS3_S6_21rocsparse_index_base_.num_agpr, 0
	.set _ZN9rocsparseL23bsric0_binsearch_kernelILj64ELj64ELb1EdEEv20rocsparse_direction_iiPKiS3_PT2_S3_PiS3_S6_21rocsparse_index_base_.numbered_sgpr, 37
	.set _ZN9rocsparseL23bsric0_binsearch_kernelILj64ELj64ELb1EdEEv20rocsparse_direction_iiPKiS3_PT2_S3_PiS3_S6_21rocsparse_index_base_.num_named_barrier, 0
	.set _ZN9rocsparseL23bsric0_binsearch_kernelILj64ELj64ELb1EdEEv20rocsparse_direction_iiPKiS3_PT2_S3_PiS3_S6_21rocsparse_index_base_.private_seg_size, 0
	.set _ZN9rocsparseL23bsric0_binsearch_kernelILj64ELj64ELb1EdEEv20rocsparse_direction_iiPKiS3_PT2_S3_PiS3_S6_21rocsparse_index_base_.uses_vcc, 1
	.set _ZN9rocsparseL23bsric0_binsearch_kernelILj64ELj64ELb1EdEEv20rocsparse_direction_iiPKiS3_PT2_S3_PiS3_S6_21rocsparse_index_base_.uses_flat_scratch, 0
	.set _ZN9rocsparseL23bsric0_binsearch_kernelILj64ELj64ELb1EdEEv20rocsparse_direction_iiPKiS3_PT2_S3_PiS3_S6_21rocsparse_index_base_.has_dyn_sized_stack, 0
	.set _ZN9rocsparseL23bsric0_binsearch_kernelILj64ELj64ELb1EdEEv20rocsparse_direction_iiPKiS3_PT2_S3_PiS3_S6_21rocsparse_index_base_.has_recursion, 0
	.set _ZN9rocsparseL23bsric0_binsearch_kernelILj64ELj64ELb1EdEEv20rocsparse_direction_iiPKiS3_PT2_S3_PiS3_S6_21rocsparse_index_base_.has_indirect_call, 0
	.section	.AMDGPU.csdata,"",@progbits
; Kernel info:
; codeLenInByte = 2968
; TotalNumSgprs: 39
; NumVgprs: 50
; ScratchSize: 0
; MemoryBound: 0
; FloatMode: 240
; IeeeMode: 1
; LDSByteSize: 0 bytes/workgroup (compile time only)
; SGPRBlocks: 0
; VGPRBlocks: 3
; NumSGPRsForWavesPerEU: 39
; NumVGPRsForWavesPerEU: 50
; NamedBarCnt: 0
; Occupancy: 16
; WaveLimiterHint : 1
; COMPUTE_PGM_RSRC2:SCRATCH_EN: 0
; COMPUTE_PGM_RSRC2:USER_SGPR: 2
; COMPUTE_PGM_RSRC2:TRAP_HANDLER: 0
; COMPUTE_PGM_RSRC2:TGID_X_EN: 1
; COMPUTE_PGM_RSRC2:TGID_Y_EN: 0
; COMPUTE_PGM_RSRC2:TGID_Z_EN: 0
; COMPUTE_PGM_RSRC2:TIDIG_COMP_CNT: 0
	.section	.text._ZN9rocsparseL26bsric0_2_8_unrolled_kernelILi1ELi32ELi1EdEEv20rocsparse_direction_iiPKiS3_PT2_S3_PiS3_S6_21rocsparse_index_base_,"axG",@progbits,_ZN9rocsparseL26bsric0_2_8_unrolled_kernelILi1ELi32ELi1EdEEv20rocsparse_direction_iiPKiS3_PT2_S3_PiS3_S6_21rocsparse_index_base_,comdat
	.globl	_ZN9rocsparseL26bsric0_2_8_unrolled_kernelILi1ELi32ELi1EdEEv20rocsparse_direction_iiPKiS3_PT2_S3_PiS3_S6_21rocsparse_index_base_ ; -- Begin function _ZN9rocsparseL26bsric0_2_8_unrolled_kernelILi1ELi32ELi1EdEEv20rocsparse_direction_iiPKiS3_PT2_S3_PiS3_S6_21rocsparse_index_base_
	.p2align	8
	.type	_ZN9rocsparseL26bsric0_2_8_unrolled_kernelILi1ELi32ELi1EdEEv20rocsparse_direction_iiPKiS3_PT2_S3_PiS3_S6_21rocsparse_index_base_,@function
_ZN9rocsparseL26bsric0_2_8_unrolled_kernelILi1ELi32ELi1EdEEv20rocsparse_direction_iiPKiS3_PT2_S3_PiS3_S6_21rocsparse_index_base_: ; @_ZN9rocsparseL26bsric0_2_8_unrolled_kernelILi1ELi32ELi1EdEEv20rocsparse_direction_iiPKiS3_PT2_S3_PiS3_S6_21rocsparse_index_base_
; %bb.0:
	s_load_b256 s[4:11], s[0:1], 0x28
	s_bfe_u32 s2, ttmp6, 0x4000c
	s_and_b32 s3, ttmp6, 15
	s_add_co_i32 s2, s2, 1
	s_getreg_b32 s12, hwreg(HW_REG_IB_STS2, 6, 4)
	s_mul_i32 s2, ttmp9, s2
	s_delay_alu instid0(SALU_CYCLE_1)
	s_add_co_i32 s3, s3, s2
	s_cmp_eq_u32 s12, 0
	s_cselect_b32 s2, ttmp9, s3
	s_wait_kmcnt 0x0
	s_load_b32 s8, s[8:9], s2 offset:0x0 scale_offset
	s_wait_kmcnt 0x0
	s_ashr_i32 s9, s8, 31
	s_delay_alu instid0(SALU_CYCLE_1) | instskip(NEXT) | instid1(SALU_CYCLE_1)
	s_lshl_b64 s[2:3], s[8:9], 2
	s_add_nc_u64 s[12:13], s[4:5], s[2:3]
	s_load_b32 s16, s[12:13], 0x0
	s_load_b32 s9, s[0:1], 0x48
	s_wait_xcnt 0x0
	s_mov_b32 s12, 0
	s_wait_kmcnt 0x0
	s_cmp_lg_u32 s16, -1
	s_cbranch_scc0 .LBB21_15
; %bb.1:
	s_load_b128 s[12:15], s[0:1], 0x10
	s_wait_kmcnt 0x0
	s_add_nc_u64 s[18:19], s[12:13], s[2:3]
	s_load_b32 s20, s[18:19], 0x0
	s_wait_kmcnt 0x0
	s_sub_co_i32 s17, s20, s9
	s_delay_alu instid0(SALU_CYCLE_1)
	s_cmp_gt_i32 s17, s16
	s_cbranch_scc1 .LBB21_13
; %bb.2:
	s_add_co_i32 s18, s16, s9
	s_mov_b32 s19, -1
	s_sub_co_i32 s21, s18, s20
	s_mov_b32 s18, s17
	s_add_co_i32 s21, s21, 1
	s_delay_alu instid0(SALU_CYCLE_1)
	s_cmp_lt_u32 s21, 2
	s_cbranch_scc1 .LBB21_10
; %bb.3:
	s_add_co_i32 s18, s21, -2
	s_mov_b32 s22, 0
	s_lshr_b32 s23, s18, 1
	s_delay_alu instid0(SALU_CYCLE_1)
	s_add_co_i32 s23, s23, 1
	s_cmp_lt_u32 s18, 14
	s_cbranch_scc1 .LBB21_6
; %bb.4:
	s_and_b32 s24, s23, -8
	s_movk_i32 s25, 0x100
.LBB21_5:                               ; =>This Inner Loop Header: Depth=1
	s_add_co_i32 s18, s17, s22
	s_add_co_i32 s24, s24, -8
	s_ashr_i32 s19, s18, 31
	s_add_co_i32 s26, s18, 2
	s_add_co_i32 s28, s18, 4
	;; [unrolled: 1-line block ×7, first 2 shown]
	s_lshl_b64 s[18:19], s[18:19], 2
	s_ashr_i32 s27, s26, 31
	s_add_nc_u64 s[18:19], s[14:15], s[18:19]
	s_ashr_i32 s29, s28, 31
	s_load_b64 s[42:43], s[18:19], 0x0
	s_ashr_i32 s31, s30, 31
	s_ashr_i32 s35, s34, 31
	;; [unrolled: 1-line block ×5, first 2 shown]
	s_lshl_b64 s[26:27], s[26:27], 2
	s_lshl_b64 s[28:29], s[28:29], 2
	;; [unrolled: 1-line block ×7, first 2 shown]
	s_wait_xcnt 0x0
	s_add_nc_u64 s[18:19], s[14:15], s[26:27]
	s_add_nc_u64 s[26:27], s[14:15], s[28:29]
	;; [unrolled: 1-line block ×7, first 2 shown]
	s_clause 0x5
	s_load_b64 s[40:41], s[18:19], 0x0
	s_load_b64 s[44:45], s[26:27], 0x0
	;; [unrolled: 1-line block ×6, first 2 shown]
                                        ; kill: killed $sgpr34_sgpr35
                                        ; kill: killed $sgpr26_sgpr27
                                        ; kill: killed $sgpr30_sgpr31
                                        ; kill: killed $sgpr36_sgpr37
                                        ; kill: killed $sgpr18_sgpr19
                                        ; kill: killed $sgpr28_sgpr29
	s_wait_xcnt 0x0
	s_load_b64 s[18:19], s[38:39], 0x0
	s_wait_kmcnt 0x0
	s_sub_co_i32 s26, s42, s9
	s_sub_co_i32 s27, s43, s9
	v_dual_mov_b32 v0, s25 :: v_dual_mov_b32 v1, s26
	v_mov_b32_e32 v2, s27
	s_add_co_i32 s22, s22, 16
	s_add_co_i32 s25, s25, 64
	s_sub_co_i32 s26, s41, s9
	s_sub_co_i32 s27, s40, s9
	;; [unrolled: 1-line block ×6, first 2 shown]
	v_dual_mov_b32 v3, s27 :: v_dual_mov_b32 v4, s26
	v_mov_b32_e32 v5, s29
	s_sub_co_i32 s33, s49, s9
	s_sub_co_i32 s34, s48, s9
	;; [unrolled: 1-line block ×5, first 2 shown]
	s_wait_xcnt 0x0
	s_sub_co_i32 s38, s52, s9
	s_sub_co_i32 s19, s19, s9
	;; [unrolled: 1-line block ×3, first 2 shown]
	v_dual_mov_b32 v6, s28 :: v_dual_mov_b32 v7, s31
	s_cmp_lg_u32 s24, 0
	v_dual_mov_b32 v8, s30 :: v_dual_mov_b32 v9, s34
	v_dual_mov_b32 v10, s33 :: v_dual_mov_b32 v11, s36
	;; [unrolled: 1-line block ×4, first 2 shown]
	v_mov_b32_e32 v16, s19
	ds_store_2addr_b32 v0, v1, v2 offset1:1
	ds_store_2addr_b32 v0, v3, v4 offset0:2 offset1:3
	ds_store_2addr_b32 v0, v5, v6 offset0:4 offset1:5
	;; [unrolled: 1-line block ×7, first 2 shown]
	s_cbranch_scc1 .LBB21_5
.LBB21_6:
	s_and_b32 s23, s23, 7
	s_delay_alu instid0(SALU_CYCLE_1)
	s_cmp_eq_u32 s23, 0
	s_cbranch_scc1 .LBB21_9
; %bb.7:
	s_lshl_b32 s18, s22, 2
	s_add_co_i32 s19, s22, s20
	s_add_co_i32 s22, s18, 0x100
	s_sub_co_i32 s18, s19, s9
.LBB21_8:                               ; =>This Inner Loop Header: Depth=1
	s_delay_alu instid0(SALU_CYCLE_1)
	s_ashr_i32 s19, s18, 31
	s_add_co_i32 s23, s23, -1
	s_lshl_b64 s[24:25], s[18:19], 2
	s_add_co_i32 s18, s18, 2
	s_add_nc_u64 s[24:25], s[14:15], s[24:25]
	s_load_b64 s[26:27], s[24:25], 0x0
	s_wait_kmcnt 0x0
	s_sub_co_i32 s19, s26, s9
	s_sub_co_i32 s24, s27, s9
	v_dual_mov_b32 v0, s22 :: v_dual_mov_b32 v1, s19
	v_mov_b32_e32 v2, s24
	s_add_co_i32 s22, s22, 8
	s_cmp_lg_u32 s23, 0
	ds_store_2addr_b32 v0, v1, v2 offset1:1
	s_cbranch_scc1 .LBB21_8
.LBB21_9:
	s_and_b32 s19, s21, -2
	s_delay_alu instid0(SALU_CYCLE_1)
	s_add_co_i32 s18, s17, s19
	s_cmp_lg_u32 s21, s19
	s_cselect_b32 s19, -1, 0
.LBB21_10:
	s_delay_alu instid0(SALU_CYCLE_1)
	s_and_b32 vcc_lo, exec_lo, s19
	s_cbranch_vccz .LBB21_13
; %bb.11:
	s_add_co_i32 s19, s18, s9
	s_add_co_i32 s21, s18, -1
	s_sub_co_i32 s20, s19, s20
	s_ashr_i32 s19, s18, 31
	s_lshl_b32 s20, s20, 2
	s_lshl_b64 s[18:19], s[18:19], 2
	s_addk_co_i32 s20, 0x100
	s_add_nc_u64 s[18:19], s[14:15], s[18:19]
.LBB21_12:                              ; =>This Inner Loop Header: Depth=1
	s_load_b32 s22, s[18:19], 0x0
	s_add_co_i32 s21, s21, 1
	s_wait_xcnt 0x0
	s_add_nc_u64 s[18:19], s[18:19], 4
	s_wait_kmcnt 0x0
	s_sub_co_i32 s22, s22, s9
	s_delay_alu instid0(SALU_CYCLE_1)
	v_dual_mov_b32 v0, s20 :: v_dual_mov_b32 v1, s22
	s_add_co_i32 s20, s20, 4
	s_cmp_ge_i32 s21, s16
	ds_store_b32 v0, v1
	s_cbranch_scc0 .LBB21_12
.LBB21_13:
	s_load_b64 s[18:19], s[0:1], 0x20
	v_mov_b64_e32 v[0:1], 0
	v_mov_b32_e32 v2, 0
	s_cmp_lt_i32 s17, s16
	ds_store_b64 v2, v[0:1] offset:432
	s_wait_dscnt 0x0
	s_cbranch_scc1 .LBB21_16
; %bb.14:
	s_wait_xcnt 0x0
	s_mov_b32 s26, 0
	s_cbranch_execz .LBB21_17
	s_branch .LBB21_48
.LBB21_15:
	s_cbranch_execnz .LBB21_60
	s_branch .LBB21_61
.LBB21_16:
	s_wait_xcnt 0x0
                                        ; implicit-def: $sgpr26
.LBB21_17:
	v_dual_mov_b32 v4, 0 :: v_dual_mov_b32 v5, 0x1a0
	v_mov_b32_e32 v6, 0x190
	v_mov_b32_e32 v7, 0x180
	;; [unrolled: 1-line block ×3, first 2 shown]
	s_mov_b32 s26, 0
	s_mov_b32 s0, s17
	s_branch .LBB21_21
.LBB21_18:                              ;   in Loop: Header=BB21_21 Depth=1
	v_cmp_neq_f64_e32 vcc_lo, 0, v[2:3]
	v_cndmask_b32_e32 v3, 0x3ff00000, v3, vcc_lo
	v_cndmask_b32_e32 v2, 0, v2, vcc_lo
.LBB21_19:                              ;   in Loop: Header=BB21_21 Depth=1
	ds_load_b64 v[10:11], v6
	s_add_co_i32 s0, s0, 1
	s_delay_alu instid0(SALU_CYCLE_1) | instskip(SKIP_3) | instid1(VALU_DEP_1)
	s_cmp_ge_i32 s0, s16
	s_cselect_b32 s24, -1, 0
	s_wait_dscnt 0x0
	v_add_f64_e64 v[0:1], v[0:1], -v[10:11]
	v_div_scale_f64 v[10:11], null, v[2:3], v[2:3], v[0:1]
	v_div_scale_f64 v[16:17], vcc_lo, v[0:1], v[2:3], v[0:1]
	s_delay_alu instid0(VALU_DEP_2) | instskip(SKIP_1) | instid1(TRANS32_DEP_1)
	v_rcp_f64_e32 v[12:13], v[10:11]
	v_nop
	v_fma_f64 v[14:15], -v[10:11], v[12:13], 1.0
	s_delay_alu instid0(VALU_DEP_1) | instskip(NEXT) | instid1(VALU_DEP_1)
	v_fmac_f64_e32 v[12:13], v[12:13], v[14:15]
	v_fma_f64 v[14:15], -v[10:11], v[12:13], 1.0
	s_delay_alu instid0(VALU_DEP_1) | instskip(NEXT) | instid1(VALU_DEP_1)
	v_fmac_f64_e32 v[12:13], v[12:13], v[14:15]
	v_mul_f64_e32 v[14:15], v[16:17], v[12:13]
	s_delay_alu instid0(VALU_DEP_1) | instskip(NEXT) | instid1(VALU_DEP_1)
	v_fma_f64 v[10:11], -v[10:11], v[14:15], v[16:17]
	v_div_fmas_f64 v[10:11], v[10:11], v[12:13], v[14:15]
	s_delay_alu instid0(VALU_DEP_1)
	v_div_fixup_f64 v[0:1], v[10:11], v[2:3], v[0:1]
	ds_store_b64 v5, v[0:1]
	s_wait_storecnt_dscnt 0x0
	ds_load_b64 v[2:3], v5
	ds_load_b64 v[10:11], v8
	s_wait_dscnt 0x0
	v_fmac_f64_e32 v[10:11], v[0:1], v[2:3]
	ds_store_b64 v8, v[10:11]
	s_wait_dscnt 0x0
	ds_load_b64 v[0:1], v5
	s_wait_dscnt 0x0
	global_store_b64 v4, v[0:1], s[20:21]
	global_wb scope:SCOPE_DEV
	s_wait_storecnt 0x0
	global_inv scope:SCOPE_DEV
.LBB21_20:                              ;   in Loop: Header=BB21_21 Depth=1
	s_and_b32 vcc_lo, exec_lo, s24
	s_cbranch_vccnz .LBB21_48
.LBB21_21:                              ; =>This Loop Header: Depth=1
                                        ;     Child Loop BB21_24 Depth 2
                                        ;     Child Loop BB21_35 Depth 2
	;; [unrolled: 1-line block ×4, first 2 shown]
	s_ashr_i32 s1, s0, 31
	s_wait_xcnt 0x0
	s_lshl_b64 s[20:21], s[0:1], 2
	s_delay_alu instid0(SALU_CYCLE_1) | instskip(SKIP_4) | instid1(SALU_CYCLE_1)
	s_add_nc_u64 s[20:21], s[14:15], s[20:21]
	s_load_b32 s27, s[20:21], 0x0
	s_wait_kmcnt 0x0
	s_wait_xcnt 0x0
	s_sub_co_i32 s20, s27, s9
	s_ashr_i32 s21, s20, 31
	s_delay_alu instid0(SALU_CYCLE_1) | instskip(NEXT) | instid1(SALU_CYCLE_1)
	s_lshl_b64 s[22:23], s[20:21], 2
	s_add_nc_u64 s[24:25], s[4:5], s[22:23]
	s_load_b32 s28, s[24:25], 0x0
	s_wait_xcnt 0x0
	s_mov_b32 s24, -1
	s_wait_kmcnt 0x0
	s_cmp_eq_u32 s28, -1
	s_cbranch_scc1 .LBB21_20
; %bb.22:                               ;   in Loop: Header=BB21_21 Depth=1
	v_mov_b32_e32 v0, s0
	s_add_nc_u64 s[24:25], s[12:13], s[22:23]
	ds_load_b32 v2, v4 offset:256
	s_load_b32 s21, s[24:25], 0x0
	s_wait_xcnt 0x0
	s_mov_b32 s25, 0
	global_load_b64 v[0:1], v0, s[18:19] scale_offset
	s_wait_dscnt 0x0
	v_cmp_ge_i32_e32 vcc_lo, s20, v2
	s_wait_kmcnt 0x0
	s_sub_co_i32 s24, s21, s9
	s_delay_alu instid0(SALU_CYCLE_1) | instskip(SKIP_1) | instid1(SALU_CYCLE_1)
	s_cmp_le_i32 s24, s28
	s_cselect_b32 s21, -1, 0
	s_and_b32 s21, s21, vcc_lo
	s_delay_alu instid0(SALU_CYCLE_1)
	s_and_not1_b32 vcc_lo, exec_lo, s21
	s_wait_loadcnt 0x0
	ds_store_b64 v5, v[0:1]
	s_cbranch_vccnz .LBB21_34
; %bb.23:                               ;   in Loop: Header=BB21_21 Depth=1
	s_mov_b32 s21, 0
	s_mov_b32 s29, 0
.LBB21_24:                              ;   Parent Loop BB21_21 Depth=1
                                        ; =>  This Inner Loop Header: Depth=2
	s_ashr_i32 s25, s24, 31
	s_lshl_b32 s33, s29, 2
	s_lshl_b64 s[30:31], s[24:25], 2
	s_wait_xcnt 0x0
	v_mov_b32_e32 v0, s33
	s_add_nc_u64 s[30:31], s[14:15], s[30:31]
	s_mov_b32 s34, -1
	s_load_b32 s25, s[30:31], 0x0
                                        ; implicit-def: $sgpr33
                                        ; implicit-def: $sgpr31
	ds_load_b32 v0, v0 offset:256
	s_wait_kmcnt 0x0
	s_sub_co_i32 s35, s25, s9
                                        ; implicit-def: $sgpr25
	s_wait_dscnt 0x0
	s_wait_xcnt 0x0
	v_readfirstlane_b32 s30, v0
	v_cmp_ge_i32_e32 vcc_lo, s35, v0
	s_cbranch_vccz .LBB21_30
; %bb.25:                               ;   in Loop: Header=BB21_24 Depth=2
	s_cmp_le_i32 s35, s30
                                        ; implicit-def: $sgpr25
                                        ; implicit-def: $sgpr33
                                        ; implicit-def: $sgpr31
	s_cbranch_scc0 .LBB21_27
; %bb.26:                               ;   in Loop: Header=BB21_24 Depth=2
	s_lshl_b32 s25, s21, 2
	s_add_co_i32 s31, s29, s17
	s_delay_alu instid0(SALU_CYCLE_1)
	v_dual_mov_b32 v0, s25 :: v_dual_mov_b32 v1, s31
	v_mov_b32_e32 v2, s24
	s_add_co_i32 s31, s29, 1
	s_add_co_i32 s33, s24, 1
	;; [unrolled: 1-line block ×3, first 2 shown]
	s_mov_b32 s34, 0
	ds_store_2addr_b32 v0, v2, v1 offset1:32
.LBB21_27:                              ;   in Loop: Header=BB21_24 Depth=2
	s_and_not1_b32 vcc_lo, exec_lo, s34
	s_cbranch_vccnz .LBB21_29
; %bb.28:                               ;   in Loop: Header=BB21_24 Depth=2
	s_add_co_i32 s31, s29, 1
	s_mov_b32 s25, s21
	s_mov_b32 s33, s24
.LBB21_29:                              ;   in Loop: Header=BB21_24 Depth=2
	s_mov_b32 s34, 0
.LBB21_30:                              ;   in Loop: Header=BB21_24 Depth=2
	s_delay_alu instid0(SALU_CYCLE_1)
	s_and_not1_b32 vcc_lo, exec_lo, s34
	s_cbranch_vccnz .LBB21_32
; %bb.31:                               ;   in Loop: Header=BB21_24 Depth=2
	s_add_co_i32 s33, s24, 1
	s_mov_b32 s31, s29
	s_mov_b32 s25, s21
.LBB21_32:                              ;   in Loop: Header=BB21_24 Depth=2
	s_cmp_le_i32 s33, s28
	s_cselect_b32 s21, -1, 0
	s_cmp_le_i32 s30, s20
	s_cselect_b32 s24, -1, 0
	s_delay_alu instid0(SALU_CYCLE_1) | instskip(NEXT) | instid1(SALU_CYCLE_1)
	s_and_b32 s21, s21, s24
	s_and_b32 vcc_lo, exec_lo, s21
	s_cbranch_vccz .LBB21_34
; %bb.33:                               ;   in Loop: Header=BB21_24 Depth=2
	s_mov_b32 s21, s25
	s_mov_b32 s24, s33
	;; [unrolled: 1-line block ×3, first 2 shown]
	s_branch .LBB21_24
.LBB21_34:                              ;   in Loop: Header=BB21_21 Depth=1
	s_lshl_b64 s[20:21], s[0:1], 3
	s_add_nc_u64 s[22:23], s[6:7], s[22:23]
	s_add_nc_u64 s[20:21], s[18:19], s[20:21]
	s_wait_dscnt 0x0
.LBB21_35:                              ;   Parent Loop BB21_21 Depth=1
                                        ; =>  This Inner Loop Header: Depth=2
	global_load_b32 v0, v4, s[22:23] scope:SCOPE_DEV
	s_wait_loadcnt 0x0
	v_cmp_eq_u32_e32 vcc_lo, 0, v0
	s_cbranch_vccnz .LBB21_35
; %bb.36:                               ;   in Loop: Header=BB21_21 Depth=1
	v_mov_b32_e32 v0, s28
	global_inv scope:SCOPE_DEV
	s_cmp_lt_i32 s25, 2
	global_load_b64 v[2:3], v0, s[18:19] scale_offset
	s_wait_xcnt 0x0
	v_mov_b64_e32 v[0:1], 0
	s_wait_loadcnt 0x0
	ds_store_b64 v7, v[2:3]
	s_wait_dscnt 0x0
	s_cbranch_scc1 .LBB21_44
; %bb.37:                               ;   in Loop: Header=BB21_21 Depth=1
	v_mov_b64_e32 v[0:1], 0
	s_add_co_i32 s22, s25, -2
	s_add_co_i32 s1, s25, -1
	s_cmp_lt_u32 s22, 7
	s_cbranch_scc1 .LBB21_41
; %bb.38:                               ;   in Loop: Header=BB21_21 Depth=1
	s_and_b32 s22, s1, -8
	s_mov_b32 s23, 0
	s_mov_b32 s24, 0
.LBB21_39:                              ;   Parent Loop BB21_21 Depth=1
                                        ; =>  This Inner Loop Header: Depth=2
	v_mov_b32_e32 v2, s23
	s_add_co_i32 s24, s24, 8
	s_add_co_i32 s23, s23, 32
	s_cmp_eq_u32 s22, s24
	ds_load_b128 v[10:13], v2 offset:128
	ds_load_b128 v[14:17], v2
	ds_load_b128 v[18:21], v2 offset:16
	ds_load_b128 v[22:25], v2 offset:144
	s_wait_dscnt 0x3
	global_load_b64 v[2:3], v10, s[18:19] scale_offset
	s_wait_dscnt 0x2
	s_clause 0x6
	global_load_b64 v[26:27], v14, s[18:19] scale_offset
	global_load_b64 v[28:29], v15, s[18:19] scale_offset
	;; [unrolled: 1-line block ×7, first 2 shown]
	s_wait_dscnt 0x0
	s_clause 0x7
	global_load_b64 v[40:41], v22, s[18:19] scale_offset
	global_load_b64 v[42:43], v18, s[18:19] scale_offset
	;; [unrolled: 1-line block ×7, first 2 shown]
	; meta instruction
	; meta instruction
	; meta instruction
	; meta instruction
	global_load_b64 v[10:11], v25, s[18:19] scale_offset
	s_wait_loadcnt 0xe
	v_fmac_f64_e32 v[0:1], v[26:27], v[2:3]
	s_wait_loadcnt 0xc
	s_delay_alu instid0(VALU_DEP_1) | instskip(SKIP_1) | instid1(VALU_DEP_1)
	v_fmac_f64_e32 v[0:1], v[28:29], v[30:31]
	s_wait_loadcnt 0xa
	v_fmac_f64_e32 v[0:1], v[34:35], v[32:33]
	s_wait_loadcnt 0x8
	s_delay_alu instid0(VALU_DEP_1) | instskip(SKIP_1) | instid1(VALU_DEP_1)
	v_fmac_f64_e32 v[0:1], v[36:37], v[38:39]
	s_wait_loadcnt 0x6
	v_fmac_f64_e32 v[0:1], v[42:43], v[40:41]
	s_wait_loadcnt 0x4
	s_delay_alu instid0(VALU_DEP_1) | instskip(SKIP_1) | instid1(VALU_DEP_1)
	v_fmac_f64_e32 v[0:1], v[44:45], v[46:47]
	s_wait_loadcnt 0x2
	v_fmac_f64_e32 v[0:1], v[50:51], v[48:49]
	s_wait_loadcnt 0x0
	s_delay_alu instid0(VALU_DEP_1)
	v_fmac_f64_e32 v[0:1], v[52:53], v[10:11]
	s_cbranch_scc0 .LBB21_39
; %bb.40:                               ;   in Loop: Header=BB21_21 Depth=1
	s_and_b32 s1, s1, 7
	s_delay_alu instid0(SALU_CYCLE_1)
	s_cmp_eq_u32 s1, 0
	s_cbranch_scc0 .LBB21_42
	s_branch .LBB21_44
.LBB21_41:                              ;   in Loop: Header=BB21_21 Depth=1
	s_mov_b32 s22, 0
	s_and_b32 s1, s1, 7
	s_delay_alu instid0(SALU_CYCLE_1)
	s_cmp_eq_u32 s1, 0
	s_cbranch_scc1 .LBB21_44
.LBB21_42:                              ;   in Loop: Header=BB21_21 Depth=1
	s_lshl_b32 s22, s22, 2
.LBB21_43:                              ;   Parent Loop BB21_21 Depth=1
                                        ; =>  This Inner Loop Header: Depth=2
	s_delay_alu instid0(SALU_CYCLE_1)
	v_mov_b32_e32 v2, s22
	s_add_co_i32 s1, s1, -1
	s_add_co_i32 s22, s22, 4
	s_cmp_lg_u32 s1, 0
	ds_load_2addr_b32 v[2:3], v2 offset1:32
	s_wait_dscnt 0x0
	s_clause 0x1
	global_load_b64 v[10:11], v2, s[18:19] scale_offset
	global_load_b64 v[12:13], v3, s[18:19] scale_offset
	s_wait_loadcnt 0x0
	v_fmac_f64_e32 v[0:1], v[10:11], v[12:13]
	s_cbranch_scc1 .LBB21_43
.LBB21_44:                              ;   in Loop: Header=BB21_21 Depth=1
	ds_store_b64 v6, v[0:1]
	s_wait_dscnt 0x0
	ds_load_b64 v[2:3], v4 offset:384
	ds_load_b64 v[0:1], v5
	s_wait_dscnt 0x1
	v_cmp_eq_f64_e32 vcc_lo, 0, v[2:3]
	s_cbranch_vccz .LBB21_18
; %bb.45:                               ;   in Loop: Header=BB21_21 Depth=1
	v_mbcnt_lo_u32_b32 v2, exec_lo, 0
	s_delay_alu instid0(VALU_DEP_1)
	v_cmp_ne_u32_e32 vcc_lo, 0, v2
	s_and_b32 s1, vcc_lo, exec_lo
	s_cbranch_scc1 .LBB21_47
; %bb.46:                               ;   in Loop: Header=BB21_21 Depth=1
	v_mov_b32_e32 v2, s27
	global_atomic_min_i32 v4, v2, s[10:11] scope:SCOPE_DEV
.LBB21_47:                              ;   in Loop: Header=BB21_21 Depth=1
	s_wait_xcnt 0x0
	v_mov_b64_e32 v[2:3], 1.0
	s_branch .LBB21_19
.LBB21_48:
	s_wait_xcnt 0x0
	v_mov_b32_e32 v0, s16
	s_ashr_i32 s17, s16, 31
	s_mov_b32 vcc_lo, 0
	s_lshl_b64 s[4:5], s[16:17], 3
	s_cmp_lg_u32 s26, 0
	s_wait_kmcnt 0x0
	global_load_b64 v[2:3], v0, s[18:19] scale_offset
	s_wait_xcnt 0x0
	v_mov_b32_e32 v0, 0
	s_cselect_b32 s13, -1, 0
	s_add_co_i32 s12, s8, s9
	s_wait_loadcnt 0x0
	ds_store_b64 v0, v[2:3] offset:416
	s_wait_dscnt 0x0
	s_cbranch_vccz .LBB21_53
; %bb.49:
	ds_load_b64 v[0:1], v0 offset:416
	s_wait_dscnt 0x0
	v_cmp_neq_f64_e64 s0, 0, v[0:1]
	s_or_b32 s1, s0, s13
	s_delay_alu instid0(SALU_CYCLE_1)
	s_and_b32 vcc_lo, exec_lo, s1
	s_cbranch_vccnz .LBB21_54
; %bb.50:
	v_mbcnt_lo_u32_b32 v0, exec_lo, 0
	s_delay_alu instid0(VALU_DEP_1)
	v_cmp_ne_u32_e32 vcc_lo, 0, v0
	s_and_b32 s0, vcc_lo, exec_lo
	s_cbranch_scc1 .LBB21_52
; %bb.51:
	v_dual_mov_b32 v0, 0 :: v_dual_mov_b32 v1, s12
	global_atomic_min_i32 v0, v1, s[10:11] scope:SCOPE_DEV
.LBB21_52:
	s_wait_xcnt 0x0
	v_mov_b64_e32 v[0:1], 1.0
	s_branch .LBB21_55
.LBB21_53:
	s_add_nc_u64 s[0:1], s[18:19], s[4:5]
	s_cbranch_execnz .LBB21_56
	s_branch .LBB21_59
.LBB21_54:
	v_cndmask_b32_e64 v1, 0x3ff00000, v1, s0
	v_cndmask_b32_e64 v0, 0, v0, s0
.LBB21_55:
	v_mov_b32_e32 v12, 0x1a0
	v_mov_b32_e32 v13, 0x1b0
	ds_load_b64 v[2:3], v12
	ds_load_b64 v[4:5], v13
	s_wait_dscnt 0x0
	v_add_f64_e64 v[2:3], v[2:3], -v[4:5]
	s_delay_alu instid0(VALU_DEP_1) | instskip(SKIP_1) | instid1(VALU_DEP_2)
	v_div_scale_f64 v[4:5], null, v[0:1], v[0:1], v[2:3]
	v_div_scale_f64 v[10:11], vcc_lo, v[2:3], v[0:1], v[2:3]
	v_rcp_f64_e32 v[6:7], v[4:5]
	v_nop
	s_delay_alu instid0(TRANS32_DEP_1) | instskip(NEXT) | instid1(VALU_DEP_1)
	v_fma_f64 v[8:9], -v[4:5], v[6:7], 1.0
	v_fmac_f64_e32 v[6:7], v[6:7], v[8:9]
	s_delay_alu instid0(VALU_DEP_1) | instskip(NEXT) | instid1(VALU_DEP_1)
	v_fma_f64 v[8:9], -v[4:5], v[6:7], 1.0
	v_fmac_f64_e32 v[6:7], v[6:7], v[8:9]
	s_delay_alu instid0(VALU_DEP_1) | instskip(NEXT) | instid1(VALU_DEP_1)
	v_mul_f64_e32 v[8:9], v[10:11], v[6:7]
	v_fma_f64 v[4:5], -v[4:5], v[8:9], v[10:11]
	s_delay_alu instid0(VALU_DEP_1) | instskip(NEXT) | instid1(VALU_DEP_1)
	v_div_fmas_f64 v[4:5], v[4:5], v[6:7], v[8:9]
	v_div_fixup_f64 v[0:1], v[4:5], v[0:1], v[2:3]
	v_mov_b32_e32 v2, 0
	ds_store_b64 v12, v[0:1]
	s_wait_storecnt_dscnt 0x0
	ds_load_b64 v[2:3], v2 offset:416
	ds_load_b64 v[4:5], v13
	s_wait_dscnt 0x0
	v_fmac_f64_e32 v[4:5], v[0:1], v[2:3]
	ds_store_b64 v13, v[4:5]
	s_add_nc_u64 s[0:1], s[18:19], s[4:5]
	s_branch .LBB21_59
.LBB21_56:
	v_mov_b32_e32 v8, 0
	ds_load_2addr_b64 v[0:3], v8 offset0:52 offset1:54
	s_wait_dscnt 0x0
	v_add_f64_e64 v[0:1], v[0:1], -v[2:3]
	s_delay_alu instid0(VALU_DEP_1) | instskip(SKIP_1) | instid1(VALU_DEP_1)
	v_cmp_gt_f64_e32 vcc_lo, 0, v[0:1]
	v_xor_b32_e32 v2, 0x80000000, v1
	v_cndmask_b32_e32 v1, v1, v2, vcc_lo
	s_delay_alu instid0(VALU_DEP_1) | instskip(SKIP_2) | instid1(SALU_CYCLE_1)
	v_cmp_gt_f64_e32 vcc_lo, 0x10000000, v[0:1]
	s_and_b32 s4, vcc_lo, exec_lo
	s_cselect_b32 s4, 0x100, 0
	v_ldexp_f64 v[0:1], v[0:1], s4
	s_cselect_b32 s4, 0xffffff80, 0
	s_delay_alu instid0(VALU_DEP_1) | instskip(SKIP_1) | instid1(TRANS32_DEP_1)
	v_rsq_f64_e32 v[2:3], v[0:1]
	v_cmp_class_f64_e64 vcc_lo, v[0:1], 0x260
	v_mul_f64_e32 v[4:5], v[0:1], v[2:3]
	v_mul_f64_e32 v[2:3], 0.5, v[2:3]
	s_delay_alu instid0(VALU_DEP_1) | instskip(NEXT) | instid1(VALU_DEP_1)
	v_fma_f64 v[6:7], -v[2:3], v[4:5], 0.5
	v_fmac_f64_e32 v[4:5], v[4:5], v[6:7]
	v_fmac_f64_e32 v[2:3], v[2:3], v[6:7]
	s_delay_alu instid0(VALU_DEP_2) | instskip(NEXT) | instid1(VALU_DEP_1)
	v_fma_f64 v[6:7], -v[4:5], v[4:5], v[0:1]
	v_fmac_f64_e32 v[4:5], v[6:7], v[2:3]
	s_delay_alu instid0(VALU_DEP_1) | instskip(NEXT) | instid1(VALU_DEP_1)
	v_fma_f64 v[6:7], -v[4:5], v[4:5], v[0:1]
	v_fmac_f64_e32 v[4:5], v[6:7], v[2:3]
	s_delay_alu instid0(VALU_DEP_1) | instskip(NEXT) | instid1(VALU_DEP_1)
	v_ldexp_f64 v[2:3], v[4:5], s4
	v_dual_cndmask_b32 v1, v3, v1 :: v_dual_cndmask_b32 v0, v2, v0
	ds_store_b64 v8, v[0:1] offset:416
	s_wait_dscnt 0x0
	ds_load_b64 v[0:1], v8 offset:416
	s_wait_dscnt 0x0
	v_cmp_neq_f64_e32 vcc_lo, 0, v[0:1]
	s_or_b32 s4, vcc_lo, s13
	s_delay_alu instid0(SALU_CYCLE_1)
	s_and_b32 vcc_lo, exec_lo, s4
	s_cbranch_vccnz .LBB21_59
; %bb.57:
	v_mbcnt_lo_u32_b32 v0, exec_lo, 0
	s_delay_alu instid0(VALU_DEP_1)
	v_cmp_ne_u32_e32 vcc_lo, 0, v0
	s_and_b32 s4, vcc_lo, exec_lo
	s_cbranch_scc1 .LBB21_59
; %bb.58:
	v_dual_mov_b32 v0, 0 :: v_dual_mov_b32 v1, s12
	global_atomic_min_i32 v0, v1, s[10:11] scope:SCOPE_DEV
.LBB21_59:
	s_wait_xcnt 0x0
	v_mov_b32_e32 v0, 0x1a0
	s_wait_storecnt_dscnt 0x0
	v_mov_b32_e32 v2, 0
	s_cmp_eq_u32 s26, 0
	ds_load_b64 v[0:1], v0
	s_cselect_b32 s12, -1, 0
	s_wait_dscnt 0x0
	global_store_b64 v2, v[0:1], s[0:1]
	s_branch .LBB21_61
.LBB21_60:
	s_mov_b32 vcc_lo, exec_lo
	s_cbranch_vccnz .LBB21_64
.LBB21_61:
	s_and_b32 vcc_lo, exec_lo, s12
	s_cbranch_vccz .LBB21_63
.LBB21_62:
	s_wait_xcnt 0x0
	v_dual_mov_b32 v0, 0 :: v_dual_mov_b32 v1, 1
	s_add_nc_u64 s[0:1], s[6:7], s[2:3]
	global_wb scope:SCOPE_DEV
	s_wait_storecnt 0x0
	global_store_b32 v0, v1, s[0:1] scope:SCOPE_DEV
.LBB21_63:
	s_endpgm
.LBB21_64:
	s_wait_xcnt 0x0
	v_mbcnt_lo_u32_b32 v0, exec_lo, 0
	s_delay_alu instid0(VALU_DEP_1)
	v_cmp_ne_u32_e32 vcc_lo, 0, v0
	s_and_b32 s0, vcc_lo, exec_lo
	s_cbranch_scc0 .LBB21_66
; %bb.65:
	s_cbranch_execnz .LBB21_62
	s_branch .LBB21_63
.LBB21_66:
	s_add_co_i32 s0, s8, s9
	s_delay_alu instid0(SALU_CYCLE_1)
	v_dual_mov_b32 v0, 0 :: v_dual_mov_b32 v1, s0
	global_atomic_min_i32 v0, v1, s[10:11] scope:SCOPE_DEV
	s_cbranch_execnz .LBB21_62
	s_branch .LBB21_63
	.section	.rodata,"a",@progbits
	.p2align	6, 0x0
	.amdhsa_kernel _ZN9rocsparseL26bsric0_2_8_unrolled_kernelILi1ELi32ELi1EdEEv20rocsparse_direction_iiPKiS3_PT2_S3_PiS3_S6_21rocsparse_index_base_
		.amdhsa_group_segment_fixed_size 448
		.amdhsa_private_segment_fixed_size 0
		.amdhsa_kernarg_size 76
		.amdhsa_user_sgpr_count 2
		.amdhsa_user_sgpr_dispatch_ptr 0
		.amdhsa_user_sgpr_queue_ptr 0
		.amdhsa_user_sgpr_kernarg_segment_ptr 1
		.amdhsa_user_sgpr_dispatch_id 0
		.amdhsa_user_sgpr_kernarg_preload_length 0
		.amdhsa_user_sgpr_kernarg_preload_offset 0
		.amdhsa_user_sgpr_private_segment_size 0
		.amdhsa_wavefront_size32 1
		.amdhsa_uses_dynamic_stack 0
		.amdhsa_enable_private_segment 0
		.amdhsa_system_sgpr_workgroup_id_x 1
		.amdhsa_system_sgpr_workgroup_id_y 0
		.amdhsa_system_sgpr_workgroup_id_z 0
		.amdhsa_system_sgpr_workgroup_info 0
		.amdhsa_system_vgpr_workitem_id 0
		.amdhsa_next_free_vgpr 54
		.amdhsa_next_free_sgpr 54
		.amdhsa_named_barrier_count 0
		.amdhsa_reserve_vcc 1
		.amdhsa_float_round_mode_32 0
		.amdhsa_float_round_mode_16_64 0
		.amdhsa_float_denorm_mode_32 3
		.amdhsa_float_denorm_mode_16_64 3
		.amdhsa_fp16_overflow 0
		.amdhsa_memory_ordered 1
		.amdhsa_forward_progress 1
		.amdhsa_inst_pref_size 26
		.amdhsa_round_robin_scheduling 0
		.amdhsa_exception_fp_ieee_invalid_op 0
		.amdhsa_exception_fp_denorm_src 0
		.amdhsa_exception_fp_ieee_div_zero 0
		.amdhsa_exception_fp_ieee_overflow 0
		.amdhsa_exception_fp_ieee_underflow 0
		.amdhsa_exception_fp_ieee_inexact 0
		.amdhsa_exception_int_div_zero 0
	.end_amdhsa_kernel
	.section	.text._ZN9rocsparseL26bsric0_2_8_unrolled_kernelILi1ELi32ELi1EdEEv20rocsparse_direction_iiPKiS3_PT2_S3_PiS3_S6_21rocsparse_index_base_,"axG",@progbits,_ZN9rocsparseL26bsric0_2_8_unrolled_kernelILi1ELi32ELi1EdEEv20rocsparse_direction_iiPKiS3_PT2_S3_PiS3_S6_21rocsparse_index_base_,comdat
.Lfunc_end21:
	.size	_ZN9rocsparseL26bsric0_2_8_unrolled_kernelILi1ELi32ELi1EdEEv20rocsparse_direction_iiPKiS3_PT2_S3_PiS3_S6_21rocsparse_index_base_, .Lfunc_end21-_ZN9rocsparseL26bsric0_2_8_unrolled_kernelILi1ELi32ELi1EdEEv20rocsparse_direction_iiPKiS3_PT2_S3_PiS3_S6_21rocsparse_index_base_
                                        ; -- End function
	.set _ZN9rocsparseL26bsric0_2_8_unrolled_kernelILi1ELi32ELi1EdEEv20rocsparse_direction_iiPKiS3_PT2_S3_PiS3_S6_21rocsparse_index_base_.num_vgpr, 54
	.set _ZN9rocsparseL26bsric0_2_8_unrolled_kernelILi1ELi32ELi1EdEEv20rocsparse_direction_iiPKiS3_PT2_S3_PiS3_S6_21rocsparse_index_base_.num_agpr, 0
	.set _ZN9rocsparseL26bsric0_2_8_unrolled_kernelILi1ELi32ELi1EdEEv20rocsparse_direction_iiPKiS3_PT2_S3_PiS3_S6_21rocsparse_index_base_.numbered_sgpr, 54
	.set _ZN9rocsparseL26bsric0_2_8_unrolled_kernelILi1ELi32ELi1EdEEv20rocsparse_direction_iiPKiS3_PT2_S3_PiS3_S6_21rocsparse_index_base_.num_named_barrier, 0
	.set _ZN9rocsparseL26bsric0_2_8_unrolled_kernelILi1ELi32ELi1EdEEv20rocsparse_direction_iiPKiS3_PT2_S3_PiS3_S6_21rocsparse_index_base_.private_seg_size, 0
	.set _ZN9rocsparseL26bsric0_2_8_unrolled_kernelILi1ELi32ELi1EdEEv20rocsparse_direction_iiPKiS3_PT2_S3_PiS3_S6_21rocsparse_index_base_.uses_vcc, 1
	.set _ZN9rocsparseL26bsric0_2_8_unrolled_kernelILi1ELi32ELi1EdEEv20rocsparse_direction_iiPKiS3_PT2_S3_PiS3_S6_21rocsparse_index_base_.uses_flat_scratch, 0
	.set _ZN9rocsparseL26bsric0_2_8_unrolled_kernelILi1ELi32ELi1EdEEv20rocsparse_direction_iiPKiS3_PT2_S3_PiS3_S6_21rocsparse_index_base_.has_dyn_sized_stack, 0
	.set _ZN9rocsparseL26bsric0_2_8_unrolled_kernelILi1ELi32ELi1EdEEv20rocsparse_direction_iiPKiS3_PT2_S3_PiS3_S6_21rocsparse_index_base_.has_recursion, 0
	.set _ZN9rocsparseL26bsric0_2_8_unrolled_kernelILi1ELi32ELi1EdEEv20rocsparse_direction_iiPKiS3_PT2_S3_PiS3_S6_21rocsparse_index_base_.has_indirect_call, 0
	.section	.AMDGPU.csdata,"",@progbits
; Kernel info:
; codeLenInByte = 3220
; TotalNumSgprs: 56
; NumVgprs: 54
; ScratchSize: 0
; MemoryBound: 0
; FloatMode: 240
; IeeeMode: 1
; LDSByteSize: 448 bytes/workgroup (compile time only)
; SGPRBlocks: 0
; VGPRBlocks: 3
; NumSGPRsForWavesPerEU: 56
; NumVGPRsForWavesPerEU: 54
; NamedBarCnt: 0
; Occupancy: 16
; WaveLimiterHint : 1
; COMPUTE_PGM_RSRC2:SCRATCH_EN: 0
; COMPUTE_PGM_RSRC2:USER_SGPR: 2
; COMPUTE_PGM_RSRC2:TRAP_HANDLER: 0
; COMPUTE_PGM_RSRC2:TGID_X_EN: 1
; COMPUTE_PGM_RSRC2:TGID_Y_EN: 0
; COMPUTE_PGM_RSRC2:TGID_Z_EN: 0
; COMPUTE_PGM_RSRC2:TIDIG_COMP_CNT: 0
	.section	.text._ZN9rocsparseL26bsric0_2_8_unrolled_kernelILi4ELi32ELi2EdEEv20rocsparse_direction_iiPKiS3_PT2_S3_PiS3_S6_21rocsparse_index_base_,"axG",@progbits,_ZN9rocsparseL26bsric0_2_8_unrolled_kernelILi4ELi32ELi2EdEEv20rocsparse_direction_iiPKiS3_PT2_S3_PiS3_S6_21rocsparse_index_base_,comdat
	.globl	_ZN9rocsparseL26bsric0_2_8_unrolled_kernelILi4ELi32ELi2EdEEv20rocsparse_direction_iiPKiS3_PT2_S3_PiS3_S6_21rocsparse_index_base_ ; -- Begin function _ZN9rocsparseL26bsric0_2_8_unrolled_kernelILi4ELi32ELi2EdEEv20rocsparse_direction_iiPKiS3_PT2_S3_PiS3_S6_21rocsparse_index_base_
	.p2align	8
	.type	_ZN9rocsparseL26bsric0_2_8_unrolled_kernelILi4ELi32ELi2EdEEv20rocsparse_direction_iiPKiS3_PT2_S3_PiS3_S6_21rocsparse_index_base_,@function
_ZN9rocsparseL26bsric0_2_8_unrolled_kernelILi4ELi32ELi2EdEEv20rocsparse_direction_iiPKiS3_PT2_S3_PiS3_S6_21rocsparse_index_base_: ; @_ZN9rocsparseL26bsric0_2_8_unrolled_kernelILi4ELi32ELi2EdEEv20rocsparse_direction_iiPKiS3_PT2_S3_PiS3_S6_21rocsparse_index_base_
; %bb.0:
	s_load_b256 s[4:11], s[0:1], 0x28
	s_bfe_u32 s2, ttmp6, 0x4000c
	s_and_b32 s3, ttmp6, 15
	s_add_co_i32 s2, s2, 1
	s_getreg_b32 s12, hwreg(HW_REG_IB_STS2, 6, 4)
	s_mul_i32 s2, ttmp9, s2
	v_and_b32_e32 v8, 0x3ff, v0
	s_add_co_i32 s3, s3, s2
	s_cmp_eq_u32 s12, 0
	v_bfe_u32 v9, v0, 10, 10
	s_cselect_b32 s2, ttmp9, s3
	s_wait_kmcnt 0x0
	s_load_b32 s8, s[8:9], s2 offset:0x0 scale_offset
	s_wait_kmcnt 0x0
	s_ashr_i32 s9, s8, 31
	s_delay_alu instid0(SALU_CYCLE_1) | instskip(NEXT) | instid1(SALU_CYCLE_1)
	s_lshl_b64 s[2:3], s[8:9], 2
	s_add_nc_u64 s[12:13], s[4:5], s[2:3]
	s_load_b32 s26, s[12:13], 0x0
	s_load_b32 s9, s[0:1], 0x48
	s_wait_kmcnt 0x0
	s_cmp_lg_u32 s26, -1
	s_cbranch_scc0 .LBB22_15
; %bb.1:
	s_load_b128 s[12:15], s[0:1], 0x10
	s_wait_kmcnt 0x0
	s_add_nc_u64 s[16:17], s[12:13], s[2:3]
	s_load_b32 s17, s[16:17], 0x0
	s_wait_xcnt 0x0
	s_mov_b32 s16, exec_lo
	s_wait_kmcnt 0x0
	s_sub_co_i32 s27, s17, s9
	v_lshlrev_b32_e32 v11, 1, v9
	s_delay_alu instid0(VALU_DEP_1) | instskip(NEXT) | instid1(VALU_DEP_1)
	v_add_nc_u32_e32 v10, v11, v8
	v_add_nc_u32_e32 v0, s27, v10
	s_delay_alu instid0(VALU_DEP_1)
	v_cmpx_ge_i32_e64 s26, v0
	s_cbranch_execz .LBB22_13
; %bb.2:
	v_add_nc_u32_e32 v1, s17, v10
	s_add_co_i32 s18, s26, 1
	v_not_b32_e32 v2, v8
	s_mov_b32 s19, -1
	s_delay_alu instid0(VALU_DEP_2) | instskip(NEXT) | instid1(VALU_DEP_1)
	v_subrev_nc_u32_e32 v1, s9, v1
	v_add_max_i32_e64 v1, v1, 4, s18
	s_mov_b32 s18, exec_lo
	s_delay_alu instid0(VALU_DEP_1) | instskip(SKIP_1) | instid1(VALU_DEP_1)
	v_add3_u32 v1, s9, v1, v2
	v_add_nc_u32_e32 v2, s17, v11
	v_sub_nc_u32_e32 v1, v1, v2
	s_delay_alu instid0(VALU_DEP_1)
	v_cmpx_lt_u32_e32 3, v1
	s_cbranch_execz .LBB22_10
; %bb.3:
	v_dual_lshrrev_b32 v4, 2, v1 :: v_dual_add_nc_u32 v1, 4, v0
	s_delay_alu instid0(VALU_DEP_1) | instskip(NEXT) | instid1(VALU_DEP_1)
	v_add_nc_u32_e32 v2, -1, v4
	v_lshrrev_b32_e32 v3, 1, v2
	s_delay_alu instid0(VALU_DEP_1)
	v_add_nc_u32_e32 v5, 1, v3
	v_cmp_lt_u32_e32 vcc_lo, 13, v2
	v_mov_b64_e32 v[2:3], v[0:1]
	s_and_saveexec_b32 s19, vcc_lo
	s_cbranch_execz .LBB22_7
; %bb.4:
	v_mov_b64_e32 v[2:3], v[0:1]
	v_and_b32_e32 v6, -8, v5
	s_mov_b32 s20, 0
.LBB22_5:                               ; =>This Inner Loop Header: Depth=1
	s_clause 0x1
	global_load_b32 v1, v2, s[14:15] scale_offset
	global_load_b32 v7, v3, s[14:15] scale_offset
	v_dual_add_nc_u32 v18, 32, v3 :: v_dual_add_nc_u32 v19, 32, v2
	v_dual_add_nc_u32 v16, 24, v3 :: v_dual_add_nc_u32 v17, 24, v2
	;; [unrolled: 1-line block ×7, first 2 shown]
	s_clause 0xd
	global_load_b32 v26, v18, s[14:15] scale_offset
	global_load_b32 v27, v16, s[14:15] scale_offset
	;; [unrolled: 1-line block ×14, first 2 shown]
	v_subrev_nc_u32_e32 v40, s27, v2
	v_subrev_nc_u32_e32 v41, s27, v3
	s_wait_xcnt 0xe
	v_dual_add_nc_u32 v3, 64, v3 :: v_dual_add_nc_u32 v6, -8, v6
	s_wait_xcnt 0x9
	v_subrev_nc_u32_e32 v13, s27, v13
	v_dual_lshlrev_b32 v40, 2, v40 :: v_dual_lshlrev_b32 v41, 2, v41
	v_subrev_nc_u32_e32 v12, s27, v12
	s_wait_xcnt 0x8
	v_subrev_nc_u32_e32 v15, s27, v15
	v_subrev_nc_u32_e32 v14, s27, v14
	v_cmp_eq_u32_e32 vcc_lo, 0, v6
	s_wait_xcnt 0x7
	v_subrev_nc_u32_e32 v17, s27, v17
	v_subrev_nc_u32_e32 v16, s27, v16
	;; [unrolled: 1-line block ×3, first 2 shown]
	s_wait_xcnt 0x6
	v_subrev_nc_u32_e32 v19, s27, v19
	s_wait_xcnt 0x3
	v_subrev_nc_u32_e32 v20, s27, v20
	;; [unrolled: 2-line block ×3, first 2 shown]
	v_subrev_nc_u32_e32 v22, s27, v22
	s_wait_xcnt 0x1
	v_subrev_nc_u32_e32 v23, s27, v23
	v_subrev_nc_u32_e32 v24, s27, v24
	s_wait_xcnt 0x0
	v_subrev_nc_u32_e32 v25, s27, v25
	v_dual_add_nc_u32 v2, 64, v2 :: v_dual_lshlrev_b32 v13, 2, v13
	v_dual_lshlrev_b32 v12, 2, v12 :: v_dual_lshlrev_b32 v15, 2, v15
	v_dual_lshlrev_b32 v14, 2, v14 :: v_dual_lshlrev_b32 v17, 2, v17
	s_or_b32 s20, vcc_lo, s20
	v_dual_lshlrev_b32 v16, 2, v16 :: v_dual_lshlrev_b32 v19, 2, v19
	v_dual_lshlrev_b32 v18, 2, v18 :: v_dual_lshlrev_b32 v21, 2, v21
	;; [unrolled: 1-line block ×4, first 2 shown]
	v_lshlrev_b32_e32 v24, 2, v24
	s_wait_loadcnt 0xf
	v_subrev_nc_u32_e32 v1, s9, v1
	s_wait_loadcnt 0xe
	v_subrev_nc_u32_e32 v7, s9, v7
	ds_store_b32 v40, v1 offset:256
	ds_store_b32 v41, v7 offset:256
	s_wait_loadcnt 0xa
	v_subrev_nc_u32_e32 v1, s9, v29
	s_wait_loadcnt 0x9
	v_subrev_nc_u32_e32 v7, s9, v30
	;; [unrolled: 2-line block ×3, first 2 shown]
	v_subrev_nc_u32_e32 v28, s9, v28
	s_wait_loadcnt 0x7
	v_subrev_nc_u32_e32 v30, s9, v32
	v_subrev_nc_u32_e32 v27, s9, v27
	;; [unrolled: 1-line block ×3, first 2 shown]
	s_wait_loadcnt 0x6
	v_subrev_nc_u32_e32 v31, s9, v33
	s_wait_loadcnt 0x3
	v_subrev_nc_u32_e32 v32, s9, v36
	;; [unrolled: 2-line block ×3, first 2 shown]
	v_subrev_nc_u32_e32 v35, s9, v35
	s_wait_loadcnt 0x1
	v_subrev_nc_u32_e32 v36, s9, v38
	v_subrev_nc_u32_e32 v34, s9, v34
	s_wait_loadcnt 0x0
	v_subrev_nc_u32_e32 v37, s9, v39
	ds_store_b32 v13, v7 offset:256
	ds_store_b32 v12, v1 offset:256
	;; [unrolled: 1-line block ×14, first 2 shown]
	s_and_not1_b32 exec_lo, exec_lo, s20
	s_cbranch_execnz .LBB22_5
; %bb.6:
	s_or_b32 exec_lo, exec_lo, s20
.LBB22_7:
	s_delay_alu instid0(SALU_CYCLE_1) | instskip(SKIP_3) | instid1(VALU_DEP_1)
	s_or_b32 exec_lo, exec_lo, s19
	v_and_b32_e32 v1, 7, v5
	s_mov_b32 s20, 0
	s_mov_b32 s19, exec_lo
	v_cmpx_ne_u32_e32 0, v1
	s_cbranch_execz .LBB22_9
.LBB22_8:                               ; =>This Inner Loop Header: Depth=1
	s_clause 0x1
	global_load_b32 v5, v2, s[14:15] scale_offset
	global_load_b32 v6, v3, s[14:15] scale_offset
	v_add_nc_u32_e32 v1, -1, v1
	v_subrev_nc_u32_e32 v7, s27, v2
	v_subrev_nc_u32_e32 v12, s27, v3
	s_wait_xcnt 0x0
	v_dual_add_nc_u32 v3, 8, v3 :: v_dual_add_nc_u32 v2, 8, v2
	v_cmp_eq_u32_e32 vcc_lo, 0, v1
	s_delay_alu instid0(VALU_DEP_3)
	v_dual_lshlrev_b32 v7, 2, v7 :: v_dual_lshlrev_b32 v12, 2, v12
	s_or_b32 s20, vcc_lo, s20
	s_wait_loadcnt 0x1
	v_subrev_nc_u32_e32 v5, s9, v5
	s_wait_loadcnt 0x0
	v_subrev_nc_u32_e32 v6, s9, v6
	ds_store_b32 v7, v5 offset:256
	ds_store_b32 v12, v6 offset:256
	s_and_not1_b32 exec_lo, exec_lo, s20
	s_cbranch_execnz .LBB22_8
.LBB22_9:
	s_or_b32 exec_lo, exec_lo, s19
	v_add_nc_u32_e32 v1, 1, v4
	s_delay_alu instid0(VALU_DEP_1) | instskip(NEXT) | instid1(VALU_DEP_1)
	v_and_b32_e32 v2, 0x7ffffffe, v1
	v_cmp_ne_u32_e32 vcc_lo, v1, v2
	v_lshl_add_u32 v0, v2, 2, v0
	s_or_not1_b32 s19, vcc_lo, exec_lo
.LBB22_10:
	s_or_b32 exec_lo, exec_lo, s18
	s_delay_alu instid0(SALU_CYCLE_1)
	s_and_b32 exec_lo, exec_lo, s19
	s_cbranch_execz .LBB22_13
; %bb.11:
	v_add_nc_u32_e32 v1, s9, v0
	s_delay_alu instid0(VALU_DEP_1) | instskip(SKIP_2) | instid1(VALU_DEP_2)
	v_subrev_nc_u32_e32 v2, s17, v1
	v_ashrrev_i32_e32 v1, 31, v0
	s_mov_b32 s17, 0
	v_lshl_add_u32 v4, v2, 2, 0x100
	s_delay_alu instid0(VALU_DEP_2)
	v_lshl_add_u64 v[2:3], v[0:1], 2, s[14:15]
.LBB22_12:                              ; =>This Inner Loop Header: Depth=1
	global_load_b32 v1, v[2:3], off
	v_add_nc_u32_e32 v0, 4, v0
	s_wait_xcnt 0x0
	v_add_nc_u64_e32 v[2:3], 16, v[2:3]
	s_delay_alu instid0(VALU_DEP_2)
	v_cmp_lt_i32_e32 vcc_lo, s26, v0
	s_or_b32 s17, vcc_lo, s17
	s_wait_loadcnt 0x0
	v_subrev_nc_u32_e32 v1, s9, v1
	ds_store_b32 v4, v1
	v_add_nc_u32_e32 v4, 16, v4
	s_and_not1_b32 exec_lo, exec_lo, s17
	s_cbranch_execnz .LBB22_12
.LBB22_13:
	s_or_b32 exec_lo, exec_lo, s16
	s_load_b64 s[16:17], s[0:1], 0x20
	v_mad_u32_u24 v13, v9, 24, 0x210
	v_mov_b64_e32 v[0:1], 0
	s_cmp_lt_i32 s27, s26
	s_delay_alu instid0(VALU_DEP_2)
	v_lshl_add_u32 v12, v8, 3, v13
	ds_store_b64 v12, v[0:1]
	s_wait_dscnt 0x0
	s_cbranch_scc1 .LBB22_17
; %bb.14:
	v_lshl_add_u32 v17, v8, 1, v9
	v_or_b32_e32 v14, v8, v9
	s_mov_b32 s18, 0
	s_branch .LBB22_18
.LBB22_15:
	s_cbranch_execnz .LBB22_83
.LBB22_16:
	s_endpgm
.LBB22_17:
	s_mov_b32 s18, -1
                                        ; implicit-def: $vgpr17
                                        ; implicit-def: $vgpr14
.LBB22_18:
	s_wait_xcnt 0x0
	s_load_b32 s1, s[0:1], 0x0
	v_mad_u32_u24 v16, v9, 24, 0x1e0
	v_mad_u32_u24 v15, v8, 24, 0x1e0
	s_and_not1_b32 vcc_lo, exec_lo, s18
	s_cbranch_vccnz .LBB22_64
; %bb.19:
	v_dual_lshlrev_b32 v18, 1, v8 :: v_dual_lshlrev_b32 v0, 3, v8
	s_wait_kmcnt 0x0
	s_cmp_lg_u32 s1, 0
	v_mul_u32_u24_e32 v1, 24, v9
	v_mad_u32_u24 v20, v9, 24, 0x1b0
	v_dual_add_nc_u32 v17, v18, v9 :: v_dual_add_nc_u32 v19, v16, v0
	v_dual_add_nc_u32 v22, 2, v8 :: v_dual_bitop2_b32 v14, v8, v9 bitop3:0x54
	s_cselect_b32 s28, -1, 0
	s_cmp_eq_u32 s1, 0
	v_add3_u32 v21, v1, v0, 0x180
	s_cselect_b32 vcc_lo, -1, 0
	v_dual_add_nc_u32 v23, 2, v9 :: v_dual_add_nc_u32 v24, v20, v0
	v_cmp_ne_u32_e64 s0, 0, v14
	v_dual_cndmask_b32 v25, v17, v10 :: v_dual_mov_b32 v26, 0
	s_mov_b32 s18, s27
	s_branch .LBB22_23
.LBB22_20:                              ;   in Loop: Header=BB22_23 Depth=1
	s_wait_xcnt 0x0
	s_or_b32 exec_lo, exec_lo, s21
	v_mov_b64_e32 v[4:5], 1.0
.LBB22_21:                              ;   in Loop: Header=BB22_23 Depth=1
	s_or_b32 exec_lo, exec_lo, s20
	ds_load_b64 v[6:7], v26 offset:408
	ds_load_b64 v[28:29], v16
	ds_load_b64 v[30:31], v20 offset:8
	s_add_co_i32 s18, s18, 1
	s_delay_alu instid0(SALU_CYCLE_1) | instskip(SKIP_3) | instid1(VALU_DEP_1)
	s_cmp_ge_i32 s18, s26
	s_cselect_b32 s24, -1, 0
	s_wait_dscnt 0x0
	v_fmac_f64_e32 v[30:31], v[6:7], v[28:29]
	v_add_f64_e64 v[2:3], v[2:3], -v[30:31]
	s_delay_alu instid0(VALU_DEP_1) | instskip(SKIP_1) | instid1(VALU_DEP_2)
	v_div_scale_f64 v[6:7], null, v[4:5], v[4:5], v[2:3]
	v_div_scale_f64 v[32:33], vcc_lo, v[2:3], v[4:5], v[2:3]
	v_rcp_f64_e32 v[28:29], v[6:7]
	v_nop
	s_delay_alu instid0(TRANS32_DEP_1) | instskip(NEXT) | instid1(VALU_DEP_1)
	v_fma_f64 v[30:31], -v[6:7], v[28:29], 1.0
	v_fmac_f64_e32 v[28:29], v[28:29], v[30:31]
	s_delay_alu instid0(VALU_DEP_1) | instskip(NEXT) | instid1(VALU_DEP_1)
	v_fma_f64 v[30:31], -v[6:7], v[28:29], 1.0
	v_fmac_f64_e32 v[28:29], v[28:29], v[30:31]
	s_delay_alu instid0(VALU_DEP_1) | instskip(NEXT) | instid1(VALU_DEP_1)
	v_mul_f64_e32 v[30:31], v[32:33], v[28:29]
	v_fma_f64 v[6:7], -v[6:7], v[30:31], v[32:33]
	s_delay_alu instid0(VALU_DEP_1) | instskip(NEXT) | instid1(VALU_DEP_1)
	v_div_fmas_f64 v[6:7], v[6:7], v[28:29], v[30:31]
	v_div_fixup_f64 v[2:3], v[6:7], v[4:5], v[2:3]
	ds_store_b64 v16, v[2:3] offset:8
	s_wait_storecnt_dscnt 0x0
	ds_load_b64 v[4:5], v15 offset:8
	ds_load_b64 v[6:7], v12
	s_wait_dscnt 0x0
	v_fmac_f64_e32 v[6:7], v[2:3], v[4:5]
	ds_store_b64 v12, v[6:7]
	s_wait_dscnt 0x0
	ds_load_b64 v[2:3], v19
	s_wait_dscnt 0x0
	global_store_b64 v[0:1], v[2:3], off
	global_wb scope:SCOPE_DEV
	s_wait_storecnt 0x0
	global_inv scope:SCOPE_DEV
.LBB22_22:                              ;   in Loop: Header=BB22_23 Depth=1
	s_and_b32 vcc_lo, exec_lo, s24
	s_cbranch_vccnz .LBB22_64
.LBB22_23:                              ; =>This Loop Header: Depth=1
                                        ;     Child Loop BB22_26 Depth 2
                                        ;     Child Loop BB22_37 Depth 2
	;; [unrolled: 1-line block ×3, first 2 shown]
	s_ashr_i32 s19, s18, 31
	s_delay_alu instid0(SALU_CYCLE_1) | instskip(NEXT) | instid1(SALU_CYCLE_1)
	s_lshl_b64 s[20:21], s[18:19], 2
	s_add_nc_u64 s[20:21], s[14:15], s[20:21]
	s_load_b32 s19, s[20:21], 0x0
	s_wait_kmcnt 0x0
	s_sub_co_i32 s22, s19, s9
	s_delay_alu instid0(SALU_CYCLE_1) | instskip(SKIP_2) | instid1(SALU_CYCLE_1)
	s_ashr_i32 s23, s22, 31
	s_wait_xcnt 0x0
	s_lshl_b64 s[20:21], s[22:23], 2
	s_add_nc_u64 s[24:25], s[4:5], s[20:21]
	s_load_b32 s23, s[24:25], 0x0
	s_wait_xcnt 0x0
	s_mov_b32 s24, -1
	s_wait_kmcnt 0x0
	s_cmp_eq_u32 s23, -1
	s_cbranch_scc1 .LBB22_22
; %bb.24:                               ;   in Loop: Header=BB22_23 Depth=1
	v_lshl_add_u32 v0, s18, 2, v25
	s_add_nc_u64 s[24:25], s[12:13], s[20:21]
	ds_load_b32 v1, v26 offset:256
	s_load_b32 s24, s[24:25], 0x0
	global_load_b64 v[2:3], v0, s[16:17] scale_offset
	s_wait_dscnt 0x0
	v_cmp_ge_i32_e32 vcc_lo, s22, v1
	s_wait_kmcnt 0x0
	s_sub_co_i32 s24, s24, s9
	s_delay_alu instid0(SALU_CYCLE_1) | instskip(SKIP_1) | instid1(SALU_CYCLE_1)
	s_cmp_le_i32 s24, s23
	s_cselect_b32 s25, -1, 0
	s_and_b32 s25, s25, vcc_lo
	s_delay_alu instid0(SALU_CYCLE_1)
	s_and_not1_b32 vcc_lo, exec_lo, s25
	s_mov_b32 s25, 0
	s_wait_loadcnt 0x0
	ds_store_b64 v19, v[2:3]
	s_cbranch_vccnz .LBB22_36
; %bb.25:                               ;   in Loop: Header=BB22_23 Depth=1
	s_mov_b32 s29, 0
	s_mov_b32 s30, 0
.LBB22_26:                              ;   Parent Loop BB22_23 Depth=1
                                        ; =>  This Inner Loop Header: Depth=2
	s_ashr_i32 s25, s24, 31
	s_lshl_b32 s31, s30, 2
	s_lshl_b64 s[34:35], s[24:25], 2
	v_mov_b32_e32 v1, s31
	s_add_nc_u64 s[34:35], s[14:15], s[34:35]
                                        ; implicit-def: $sgpr33
	s_load_b32 s25, s[34:35], 0x0
	s_wait_xcnt 0x0
	s_mov_b32 s35, -1
	ds_load_b32 v1, v1 offset:256
                                        ; implicit-def: $sgpr34
	s_wait_kmcnt 0x0
	s_sub_co_i32 s36, s25, s9
                                        ; implicit-def: $sgpr25
	s_wait_dscnt 0x0
	v_readfirstlane_b32 s31, v1
	v_cmp_ge_i32_e32 vcc_lo, s36, v1
	s_cbranch_vccz .LBB22_32
; %bb.27:                               ;   in Loop: Header=BB22_26 Depth=2
	s_cmp_le_i32 s36, s31
                                        ; implicit-def: $sgpr25
                                        ; implicit-def: $sgpr34
                                        ; implicit-def: $sgpr33
	s_cbranch_scc0 .LBB22_29
; %bb.28:                               ;   in Loop: Header=BB22_26 Depth=2
	s_add_co_i32 s25, s30, s27
	s_lshl_b32 s33, s29, 2
	s_lshl_b32 s25, s25, 2
	s_delay_alu instid0(SALU_CYCLE_1)
	v_dual_mov_b32 v1, s33 :: v_dual_mov_b32 v2, s25
	s_lshl_b32 s33, s24, 2
	s_add_co_i32 s34, s24, 1
	v_mov_b32_e32 v3, s33
	s_add_co_i32 s33, s30, 1
	s_add_co_i32 s25, s29, 1
	s_mov_b32 s35, 0
	ds_store_2addr_b32 v1, v3, v2 offset1:32
.LBB22_29:                              ;   in Loop: Header=BB22_26 Depth=2
	s_and_not1_b32 vcc_lo, exec_lo, s35
	s_cbranch_vccnz .LBB22_31
; %bb.30:                               ;   in Loop: Header=BB22_26 Depth=2
	s_add_co_i32 s33, s30, 1
	s_mov_b32 s25, s29
	s_mov_b32 s34, s24
.LBB22_31:                              ;   in Loop: Header=BB22_26 Depth=2
	s_mov_b32 s35, 0
.LBB22_32:                              ;   in Loop: Header=BB22_26 Depth=2
	s_delay_alu instid0(SALU_CYCLE_1)
	s_and_not1_b32 vcc_lo, exec_lo, s35
	s_cbranch_vccnz .LBB22_34
; %bb.33:                               ;   in Loop: Header=BB22_26 Depth=2
	s_add_co_i32 s34, s24, 1
	s_mov_b32 s33, s30
	s_mov_b32 s25, s29
.LBB22_34:                              ;   in Loop: Header=BB22_26 Depth=2
	s_cmp_le_i32 s34, s23
	s_cselect_b32 s24, -1, 0
	s_cmp_le_i32 s31, s22
	s_cselect_b32 s29, -1, 0
	s_delay_alu instid0(SALU_CYCLE_1) | instskip(NEXT) | instid1(SALU_CYCLE_1)
	s_and_b32 s24, s24, s29
	s_and_b32 vcc_lo, exec_lo, s24
	s_cbranch_vccz .LBB22_36
; %bb.35:                               ;   in Loop: Header=BB22_26 Depth=2
	s_mov_b32 s29, s25
	s_mov_b32 s24, s34
	;; [unrolled: 1-line block ×3, first 2 shown]
	s_branch .LBB22_26
.LBB22_36:                              ;   in Loop: Header=BB22_23 Depth=1
	v_ashrrev_i32_e32 v1, 31, v0
	s_add_nc_u64 s[20:21], s[6:7], s[20:21]
	s_wait_dscnt 0x0
	s_wait_xcnt 0x0
	s_delay_alu instid0(VALU_DEP_1)
	v_lshl_add_u64 v[0:1], v[0:1], 3, s[16:17]
.LBB22_37:                              ;   Parent Loop BB22_23 Depth=1
                                        ; =>  This Inner Loop Header: Depth=2
	global_load_b32 v2, v26, s[20:21] scope:SCOPE_DEV
	s_wait_loadcnt 0x0
	v_cmp_eq_u32_e32 vcc_lo, 0, v2
	s_cbranch_vccnz .LBB22_37
; %bb.38:                               ;   in Loop: Header=BB22_23 Depth=1
	v_lshl_add_u32 v2, s23, 2, v25
	global_inv scope:SCOPE_DEV
	s_cmp_lt_i32 s25, 2
	global_load_b64 v[4:5], v2, s[16:17] scale_offset
	s_wait_xcnt 0x0
	v_mov_b64_e32 v[2:3], 0
	s_wait_loadcnt 0x0
	ds_store_b64 v21, v[4:5]
	s_wait_dscnt 0x0
	s_cbranch_scc1 .LBB22_57
; %bb.39:                               ;   in Loop: Header=BB22_23 Depth=1
	v_mov_b64_e32 v[2:3], 0
	s_add_co_i32 s20, s25, -1
	s_cmp_eq_u32 s25, 2
	s_cbranch_scc1 .LBB22_50
; %bb.40:                               ;   in Loop: Header=BB22_23 Depth=1
	s_and_b32 s21, s20, -2
	s_mov_b32 s22, 0
	s_mov_b32 s23, 0
	s_branch .LBB22_42
.LBB22_41:                              ;   in Loop: Header=BB22_42 Depth=2
	s_add_co_i32 s23, s23, 2
	s_add_co_i32 s22, s22, 8
	s_cmp_eq_u32 s21, s23
	s_cbranch_scc1 .LBB22_51
.LBB22_42:                              ;   Parent Loop BB22_23 Depth=1
                                        ; =>  This Inner Loop Header: Depth=2
	v_mov_b32_e32 v4, s22
	s_and_b32 vcc_lo, exec_lo, s28
	s_mov_b32 s24, -1
	s_wait_dscnt 0x0
	ds_load_2addr_b32 v[6:7], v4 offset1:32
                                        ; implicit-def: $vgpr4_vgpr5
	s_cbranch_vccz .LBB22_44
; %bb.43:                               ;   in Loop: Header=BB22_42 Depth=2
	s_wait_dscnt 0x0
	v_dual_add_nc_u32 v27, v6, v8 :: v_dual_add_nc_u32 v30, v7, v9
	s_mov_b32 s24, 0
	s_clause 0x1
	global_load_b64 v[4:5], v27, s[16:17] scale_offset
	global_load_b64 v[28:29], v30, s[16:17] scale_offset
	s_wait_xcnt 0x1
	v_dual_add_nc_u32 v27, v22, v6 :: v_dual_add_nc_u32 v34, v23, v7
	s_clause 0x1
	global_load_b64 v[30:31], v27, s[16:17] scale_offset
	global_load_b64 v[32:33], v34, s[16:17] scale_offset
	s_wait_loadcnt 0x2
	v_fma_f64 v[4:5], v[4:5], v[28:29], v[2:3]
	s_wait_loadcnt 0x0
	s_delay_alu instid0(VALU_DEP_1)
	v_fmac_f64_e32 v[4:5], v[30:31], v[32:33]
.LBB22_44:                              ;   in Loop: Header=BB22_42 Depth=2
	s_and_not1_b32 vcc_lo, exec_lo, s24
	s_cbranch_vccnz .LBB22_46
; %bb.45:                               ;   in Loop: Header=BB22_42 Depth=2
	s_wait_dscnt 0x0
	v_dual_add_nc_u32 v4, v6, v18 :: v_dual_add_nc_u32 v6, v7, v11
	s_delay_alu instid0(VALU_DEP_1) | instskip(NEXT) | instid1(VALU_DEP_1)
	v_dual_ashrrev_i32 v5, 31, v4 :: v_dual_ashrrev_i32 v7, 31, v6
	v_lshl_add_u64 v[32:33], v[4:5], 3, s[16:17]
	s_delay_alu instid0(VALU_DEP_2)
	v_lshl_add_u64 v[34:35], v[6:7], 3, s[16:17]
	s_clause 0x1
	global_load_b128 v[4:7], v[32:33], off
	global_load_b128 v[28:31], v[34:35], off
	s_wait_loadcnt 0x0
	v_fmac_f64_e32 v[2:3], v[4:5], v[28:29]
	s_delay_alu instid0(VALU_DEP_1) | instskip(NEXT) | instid1(VALU_DEP_1)
	v_fmac_f64_e32 v[2:3], v[6:7], v[30:31]
	v_mov_b64_e32 v[4:5], v[2:3]
.LBB22_46:                              ;   in Loop: Header=BB22_42 Depth=2
	v_mov_b32_e32 v2, s22
	s_and_not1_b32 vcc_lo, exec_lo, s28
	s_mov_b32 s24, -1
	s_wait_dscnt 0x0
	ds_load_2addr_b32 v[6:7], v2 offset0:1 offset1:33
                                        ; implicit-def: $vgpr2_vgpr3
	s_cbranch_vccnz .LBB22_48
; %bb.47:                               ;   in Loop: Header=BB22_42 Depth=2
	s_wait_dscnt 0x0
	v_dual_add_nc_u32 v27, v6, v8 :: v_dual_add_nc_u32 v30, v7, v9
	s_mov_b32 s24, 0
	s_clause 0x1
	global_load_b64 v[2:3], v27, s[16:17] scale_offset
	global_load_b64 v[28:29], v30, s[16:17] scale_offset
	s_wait_xcnt 0x1
	v_dual_add_nc_u32 v27, v22, v6 :: v_dual_add_nc_u32 v34, v23, v7
	s_clause 0x1
	global_load_b64 v[30:31], v27, s[16:17] scale_offset
	global_load_b64 v[32:33], v34, s[16:17] scale_offset
	s_wait_loadcnt 0x2
	v_fma_f64 v[2:3], v[2:3], v[28:29], v[4:5]
	s_wait_loadcnt 0x0
	s_delay_alu instid0(VALU_DEP_1)
	v_fmac_f64_e32 v[2:3], v[30:31], v[32:33]
.LBB22_48:                              ;   in Loop: Header=BB22_42 Depth=2
	s_and_not1_b32 vcc_lo, exec_lo, s24
	s_cbranch_vccnz .LBB22_41
; %bb.49:                               ;   in Loop: Header=BB22_42 Depth=2
	s_wait_dscnt 0x0
	v_dual_add_nc_u32 v2, v6, v18 :: v_dual_add_nc_u32 v6, v7, v11
	s_delay_alu instid0(VALU_DEP_1) | instskip(NEXT) | instid1(VALU_DEP_2)
	v_ashrrev_i32_e32 v3, 31, v2
	v_ashrrev_i32_e32 v7, 31, v6
	s_delay_alu instid0(VALU_DEP_2) | instskip(NEXT) | instid1(VALU_DEP_2)
	v_lshl_add_u64 v[2:3], v[2:3], 3, s[16:17]
	v_lshl_add_u64 v[6:7], v[6:7], 3, s[16:17]
	s_clause 0x1
	global_load_b128 v[28:31], v[2:3], off
	global_load_b128 v[32:35], v[6:7], off
	s_wait_loadcnt 0x0
	v_fmac_f64_e32 v[4:5], v[28:29], v[32:33]
	s_delay_alu instid0(VALU_DEP_1) | instskip(NEXT) | instid1(VALU_DEP_1)
	v_fmac_f64_e32 v[4:5], v[30:31], v[34:35]
	v_mov_b64_e32 v[2:3], v[4:5]
	s_branch .LBB22_41
.LBB22_50:                              ;   in Loop: Header=BB22_23 Depth=1
	s_mov_b32 s21, 0
.LBB22_51:                              ;   in Loop: Header=BB22_23 Depth=1
	s_bitcmp0_b32 s20, 0
	s_cbranch_scc1 .LBB22_57
; %bb.52:                               ;   in Loop: Header=BB22_23 Depth=1
	s_lshl_b32 s20, s21, 2
	s_and_not1_b32 vcc_lo, exec_lo, s28
	v_mov_b32_e32 v4, s20
	s_mov_b32 s20, -1
                                        ; implicit-def: $vgpr6_vgpr7
	ds_load_2addr_b32 v[4:5], v4 offset1:32
	s_cbranch_vccnz .LBB22_54
; %bb.53:                               ;   in Loop: Header=BB22_23 Depth=1
	s_wait_dscnt 0x0
	v_dual_add_nc_u32 v27, v4, v8 :: v_dual_add_nc_u32 v30, v5, v9
	s_mov_b32 s20, 0
	s_clause 0x1
	global_load_b64 v[6:7], v27, s[16:17] scale_offset
	global_load_b64 v[28:29], v30, s[16:17] scale_offset
	s_wait_xcnt 0x1
	v_dual_add_nc_u32 v27, v22, v4 :: v_dual_add_nc_u32 v34, v23, v5
	s_clause 0x1
	global_load_b64 v[30:31], v27, s[16:17] scale_offset
	global_load_b64 v[32:33], v34, s[16:17] scale_offset
	s_wait_loadcnt 0x2
	v_fma_f64 v[6:7], v[6:7], v[28:29], v[2:3]
	s_wait_loadcnt 0x0
	s_delay_alu instid0(VALU_DEP_1)
	v_fmac_f64_e32 v[6:7], v[30:31], v[32:33]
.LBB22_54:                              ;   in Loop: Header=BB22_23 Depth=1
	s_and_not1_b32 vcc_lo, exec_lo, s20
	s_cbranch_vccnz .LBB22_56
; %bb.55:                               ;   in Loop: Header=BB22_23 Depth=1
	s_wait_dscnt 0x0
	v_dual_add_nc_u32 v4, v4, v18 :: v_dual_add_nc_u32 v6, v5, v11
	s_delay_alu instid0(VALU_DEP_1) | instskip(NEXT) | instid1(VALU_DEP_1)
	v_dual_ashrrev_i32 v5, 31, v4 :: v_dual_ashrrev_i32 v7, 31, v6
	v_lshl_add_u64 v[32:33], v[4:5], 3, s[16:17]
	s_delay_alu instid0(VALU_DEP_2)
	v_lshl_add_u64 v[34:35], v[6:7], 3, s[16:17]
	s_clause 0x1
	global_load_b128 v[4:7], v[32:33], off
	global_load_b128 v[28:31], v[34:35], off
	s_wait_loadcnt 0x0
	v_fmac_f64_e32 v[2:3], v[4:5], v[28:29]
	s_delay_alu instid0(VALU_DEP_1) | instskip(NEXT) | instid1(VALU_DEP_1)
	v_fmac_f64_e32 v[2:3], v[6:7], v[30:31]
	v_mov_b64_e32 v[6:7], v[2:3]
.LBB22_56:                              ;   in Loop: Header=BB22_23 Depth=1
	s_wait_dscnt 0x1
	s_delay_alu instid0(VALU_DEP_1)
	v_mov_b64_e32 v[2:3], v[6:7]
.LBB22_57:                              ;   in Loop: Header=BB22_23 Depth=1
	ds_store_b64 v24, v[2:3]
	s_wait_dscnt 0x0
	ds_load_b64 v[4:5], v26 offset:384
	ds_load_b64 v[2:3], v16
	s_wait_dscnt 0x1
	v_cmp_neq_f64_e32 vcc_lo, 0, v[4:5]
	v_cndmask_b32_e32 v5, 0x3ff00000, v5, vcc_lo
	v_cndmask_b32_e32 v4, 0, v4, vcc_lo
	s_nor_b32 s21, vcc_lo, s0
	s_delay_alu instid0(SALU_CYCLE_1)
	s_and_saveexec_b32 s20, s21
	s_cbranch_execz .LBB22_61
; %bb.58:                               ;   in Loop: Header=BB22_23 Depth=1
	v_mbcnt_lo_u32_b32 v4, exec_lo, 0
	s_mov_b32 s21, exec_lo
	s_delay_alu instid0(VALU_DEP_1)
	v_cmpx_eq_u32_e32 0, v4
	s_cbranch_execz .LBB22_60
; %bb.59:                               ;   in Loop: Header=BB22_23 Depth=1
	v_mov_b32_e32 v4, s19
	global_atomic_min_i32 v26, v4, s[10:11] scope:SCOPE_DEV
.LBB22_60:                              ;   in Loop: Header=BB22_23 Depth=1
	s_wait_xcnt 0x0
	s_or_b32 exec_lo, exec_lo, s21
	v_mov_b64_e32 v[4:5], 1.0
.LBB22_61:                              ;   in Loop: Header=BB22_23 Depth=1
	s_or_b32 exec_lo, exec_lo, s20
	ds_load_b64 v[6:7], v20
	s_wait_dscnt 0x0
	v_add_f64_e64 v[2:3], v[2:3], -v[6:7]
	s_delay_alu instid0(VALU_DEP_1) | instskip(SKIP_1) | instid1(VALU_DEP_2)
	v_div_scale_f64 v[6:7], null, v[4:5], v[4:5], v[2:3]
	v_div_scale_f64 v[32:33], vcc_lo, v[2:3], v[4:5], v[2:3]
	v_rcp_f64_e32 v[28:29], v[6:7]
	v_nop
	s_delay_alu instid0(TRANS32_DEP_1) | instskip(NEXT) | instid1(VALU_DEP_1)
	v_fma_f64 v[30:31], -v[6:7], v[28:29], 1.0
	v_fmac_f64_e32 v[28:29], v[28:29], v[30:31]
	s_delay_alu instid0(VALU_DEP_1) | instskip(NEXT) | instid1(VALU_DEP_1)
	v_fma_f64 v[30:31], -v[6:7], v[28:29], 1.0
	v_fmac_f64_e32 v[28:29], v[28:29], v[30:31]
	s_delay_alu instid0(VALU_DEP_1) | instskip(NEXT) | instid1(VALU_DEP_1)
	v_mul_f64_e32 v[30:31], v[32:33], v[28:29]
	v_fma_f64 v[6:7], -v[6:7], v[30:31], v[32:33]
	s_delay_alu instid0(VALU_DEP_1) | instskip(NEXT) | instid1(VALU_DEP_1)
	v_div_fmas_f64 v[6:7], v[6:7], v[28:29], v[30:31]
	v_div_fixup_f64 v[2:3], v[6:7], v[4:5], v[2:3]
	ds_store_b64 v16, v[2:3]
	s_wait_storecnt_dscnt 0x0
	ds_load_b64 v[4:5], v15
	ds_load_b64 v[6:7], v12
	s_wait_dscnt 0x0
	v_fmac_f64_e32 v[6:7], v[2:3], v[4:5]
	ds_store_b64 v12, v[6:7]
	s_wait_dscnt 0x0
	ds_load_b64 v[4:5], v26 offset:416
	ds_load_b64 v[2:3], v16 offset:8
	s_wait_dscnt 0x1
	v_cmp_neq_f64_e32 vcc_lo, 0, v[4:5]
	v_cndmask_b32_e32 v5, 0x3ff00000, v5, vcc_lo
	v_cndmask_b32_e32 v4, 0, v4, vcc_lo
	s_nor_b32 s21, vcc_lo, s0
	s_delay_alu instid0(SALU_CYCLE_1)
	s_and_saveexec_b32 s20, s21
	s_cbranch_execz .LBB22_21
; %bb.62:                               ;   in Loop: Header=BB22_23 Depth=1
	v_mbcnt_lo_u32_b32 v4, exec_lo, 0
	s_mov_b32 s21, exec_lo
	s_delay_alu instid0(VALU_DEP_1)
	v_cmpx_eq_u32_e32 0, v4
	s_cbranch_execz .LBB22_20
; %bb.63:                               ;   in Loop: Header=BB22_23 Depth=1
	v_mov_b32_e32 v4, s19
	global_atomic_min_i32 v26, v4, s[10:11] scope:SCOPE_DEV
	s_branch .LBB22_20
.LBB22_64:
	s_wait_kmcnt 0x0
	s_cmp_eq_u32 s1, 0
	v_lshl_add_u32 v4, v8, 3, v16
	s_cselect_b32 vcc_lo, -1, 0
	s_mov_b32 s1, exec_lo
	v_cndmask_b32_e32 v0, v17, v10, vcc_lo
	v_cmp_ne_u32_e32 vcc_lo, 0, v9
	s_delay_alu instid0(VALU_DEP_2)
	v_lshl_add_u32 v0, s26, 2, v0
	global_load_b64 v[2:3], v0, s[16:17] scale_offset
	s_wait_loadcnt 0x0
	ds_store_b64 v4, v[2:3]
	s_wait_dscnt 0x0
	v_cmpx_eq_u32_e32 0, v9
	s_cbranch_execz .LBB22_66
; %bb.65:
	v_mov_b32_e32 v1, 0
	ds_load_2addr_b64 v[18:21], v1 offset0:60 offset1:66
	s_wait_dscnt 0x0
	v_add_f64_e64 v[2:3], v[18:19], -v[20:21]
	s_delay_alu instid0(VALU_DEP_1) | instskip(SKIP_1) | instid1(VALU_DEP_1)
	v_cmp_gt_f64_e64 s0, 0, v[2:3]
	v_xor_b32_e32 v5, 0x80000000, v3
	v_cndmask_b32_e64 v3, v3, v5, s0
	s_delay_alu instid0(VALU_DEP_1) | instskip(SKIP_2) | instid1(SALU_CYCLE_1)
	v_cmp_gt_f64_e64 s0, 0x10000000, v[2:3]
	s_and_b32 s0, s0, exec_lo
	s_cselect_b32 s0, 0x100, 0
	v_ldexp_f64 v[2:3], v[2:3], s0
	s_cselect_b32 s0, 0xffffff80, 0
	s_delay_alu instid0(VALU_DEP_1) | instskip(SKIP_1) | instid1(TRANS32_DEP_1)
	v_rsq_f64_e32 v[6:7], v[2:3]
	v_nop
	v_mul_f64_e32 v[10:11], v[2:3], v[6:7]
	v_mul_f64_e32 v[6:7], 0.5, v[6:7]
	s_delay_alu instid0(VALU_DEP_1) | instskip(NEXT) | instid1(VALU_DEP_1)
	v_fma_f64 v[18:19], -v[6:7], v[10:11], 0.5
	v_fmac_f64_e32 v[10:11], v[10:11], v[18:19]
	v_fmac_f64_e32 v[6:7], v[6:7], v[18:19]
	s_delay_alu instid0(VALU_DEP_2) | instskip(NEXT) | instid1(VALU_DEP_1)
	v_fma_f64 v[18:19], -v[10:11], v[10:11], v[2:3]
	v_fmac_f64_e32 v[10:11], v[18:19], v[6:7]
	s_delay_alu instid0(VALU_DEP_1) | instskip(NEXT) | instid1(VALU_DEP_1)
	v_fma_f64 v[18:19], -v[10:11], v[10:11], v[2:3]
	v_fmac_f64_e32 v[10:11], v[18:19], v[6:7]
	s_delay_alu instid0(VALU_DEP_1) | instskip(SKIP_1) | instid1(VALU_DEP_1)
	v_ldexp_f64 v[6:7], v[10:11], s0
	v_cmp_class_f64_e64 s0, v[2:3], 0x260
	v_dual_cndmask_b32 v3, v7, v3, s0 :: v_dual_cndmask_b32 v2, v6, v2, s0
	ds_store_b64 v1, v[2:3] offset:480
.LBB22_66:
	s_or_b32 exec_lo, exec_lo, s1
	v_mov_b32_e32 v1, 0
	s_wait_dscnt 0x0
	v_cmp_ne_u32_e64 s0, 0, v14
	s_add_co_i32 s4, s8, s9
	ds_load_b64 v[2:3], v1 offset:480
	s_wait_dscnt 0x0
	v_cmp_neq_f64_e64 s1, 0, v[2:3]
	s_delay_alu instid0(VALU_DEP_1) | instskip(SKIP_2) | instid1(SALU_CYCLE_1)
	v_cndmask_b32_e64 v3, 0x3ff00000, v3, s1
	v_cndmask_b32_e64 v2, 0, v2, s1
	s_nor_b32 s1, s1, s0
	s_and_saveexec_b32 s5, s1
	s_cbranch_execz .LBB22_70
; %bb.67:
	v_mbcnt_lo_u32_b32 v1, exec_lo, 0
	s_mov_b32 s12, exec_lo
	s_delay_alu instid0(VALU_DEP_1)
	v_cmpx_eq_u32_e32 0, v1
	s_cbranch_execz .LBB22_69
; %bb.68:
	v_dual_mov_b32 v1, 0 :: v_dual_mov_b32 v2, s4
	global_atomic_min_i32 v1, v2, s[10:11] scope:SCOPE_DEV
.LBB22_69:
	s_wait_xcnt 0x0
	s_or_b32 exec_lo, exec_lo, s12
	v_mov_b64_e32 v[2:3], 1.0
.LBB22_70:
	s_or_b32 exec_lo, exec_lo, s5
	s_and_saveexec_b32 s1, vcc_lo
	s_cbranch_execz .LBB22_72
; %bb.71:
	ds_load_b64 v[6:7], v16
	ds_load_b64 v[10:11], v13
	s_wait_dscnt 0x0
	v_add_f64_e64 v[6:7], v[6:7], -v[10:11]
	s_delay_alu instid0(VALU_DEP_1) | instskip(SKIP_1) | instid1(VALU_DEP_2)
	v_div_scale_f64 v[10:11], null, v[2:3], v[2:3], v[6:7]
	v_div_scale_f64 v[22:23], vcc_lo, v[6:7], v[2:3], v[6:7]
	v_rcp_f64_e32 v[18:19], v[10:11]
	v_nop
	s_delay_alu instid0(TRANS32_DEP_1) | instskip(NEXT) | instid1(VALU_DEP_1)
	v_fma_f64 v[20:21], -v[10:11], v[18:19], 1.0
	v_fmac_f64_e32 v[18:19], v[18:19], v[20:21]
	s_delay_alu instid0(VALU_DEP_1) | instskip(NEXT) | instid1(VALU_DEP_1)
	v_fma_f64 v[20:21], -v[10:11], v[18:19], 1.0
	v_fmac_f64_e32 v[18:19], v[18:19], v[20:21]
	s_delay_alu instid0(VALU_DEP_1) | instskip(NEXT) | instid1(VALU_DEP_1)
	v_mul_f64_e32 v[20:21], v[22:23], v[18:19]
	v_fma_f64 v[10:11], -v[10:11], v[20:21], v[22:23]
	s_delay_alu instid0(VALU_DEP_1) | instskip(NEXT) | instid1(VALU_DEP_1)
	v_div_fmas_f64 v[10:11], v[10:11], v[18:19], v[20:21]
	v_div_fixup_f64 v[2:3], v[10:11], v[2:3], v[6:7]
	ds_store_b64 v16, v[2:3]
	s_wait_storecnt_dscnt 0x0
	ds_load_b64 v[6:7], v15
	ds_load_b64 v[10:11], v12
	s_wait_dscnt 0x0
	v_fmac_f64_e32 v[10:11], v[2:3], v[6:7]
	ds_store_b64 v12, v[10:11]
.LBB22_72:
	s_or_b32 exec_lo, exec_lo, s1
	v_ashrrev_i32_e32 v1, 31, v0
	s_mov_b32 s1, exec_lo
	s_wait_storecnt_dscnt 0x0
	v_cmpx_eq_u32_e32 1, v9
	s_cbranch_execz .LBB22_74
; %bb.73:
	v_mov_b32_e32 v5, 0
	ds_load_2addr_b64 v[18:21], v5 offset0:64 offset1:70
	s_wait_dscnt 0x0
	v_add_f64_e64 v[2:3], v[18:19], -v[20:21]
	s_delay_alu instid0(VALU_DEP_1) | instskip(SKIP_1) | instid1(VALU_DEP_1)
	v_cmp_gt_f64_e32 vcc_lo, 0, v[2:3]
	v_xor_b32_e32 v6, 0x80000000, v3
	v_cndmask_b32_e32 v3, v3, v6, vcc_lo
	s_delay_alu instid0(VALU_DEP_1) | instskip(SKIP_2) | instid1(SALU_CYCLE_1)
	v_cmp_gt_f64_e32 vcc_lo, 0x10000000, v[2:3]
	s_and_b32 s5, vcc_lo, exec_lo
	s_cselect_b32 s5, 0x100, 0
	v_ldexp_f64 v[2:3], v[2:3], s5
	s_cselect_b32 s5, 0xffffff80, 0
	s_delay_alu instid0(VALU_DEP_1) | instskip(SKIP_1) | instid1(TRANS32_DEP_1)
	v_rsq_f64_e32 v[6:7], v[2:3]
	v_cmp_class_f64_e64 vcc_lo, v[2:3], 0x260
	v_mul_f64_e32 v[10:11], v[2:3], v[6:7]
	v_mul_f64_e32 v[6:7], 0.5, v[6:7]
	s_delay_alu instid0(VALU_DEP_1) | instskip(NEXT) | instid1(VALU_DEP_1)
	v_fma_f64 v[18:19], -v[6:7], v[10:11], 0.5
	v_fmac_f64_e32 v[10:11], v[10:11], v[18:19]
	v_fmac_f64_e32 v[6:7], v[6:7], v[18:19]
	s_delay_alu instid0(VALU_DEP_2) | instskip(NEXT) | instid1(VALU_DEP_1)
	v_fma_f64 v[18:19], -v[10:11], v[10:11], v[2:3]
	v_fmac_f64_e32 v[10:11], v[18:19], v[6:7]
	s_delay_alu instid0(VALU_DEP_1) | instskip(NEXT) | instid1(VALU_DEP_1)
	v_fma_f64 v[18:19], -v[10:11], v[10:11], v[2:3]
	v_fmac_f64_e32 v[10:11], v[18:19], v[6:7]
	s_delay_alu instid0(VALU_DEP_1) | instskip(NEXT) | instid1(VALU_DEP_1)
	v_ldexp_f64 v[6:7], v[10:11], s5
	v_dual_cndmask_b32 v3, v7, v3 :: v_dual_cndmask_b32 v2, v6, v2
	ds_store_b64 v5, v[2:3] offset:512
.LBB22_74:
	s_or_b32 exec_lo, exec_lo, s1
	v_mov_b32_e32 v2, 0
	s_wait_dscnt 0x0
	ds_load_b64 v[2:3], v2 offset:512
	s_wait_dscnt 0x0
	v_cmp_neq_f64_e32 vcc_lo, 0, v[2:3]
	v_cndmask_b32_e32 v3, 0x3ff00000, v3, vcc_lo
	v_cndmask_b32_e32 v2, 0, v2, vcc_lo
	s_nor_b32 s1, vcc_lo, s0
	s_delay_alu instid0(SALU_CYCLE_1)
	s_and_saveexec_b32 s0, s1
	s_cbranch_execz .LBB22_78
; %bb.75:
	v_mbcnt_lo_u32_b32 v2, exec_lo, 0
	s_mov_b32 s1, exec_lo
	s_delay_alu instid0(VALU_DEP_1)
	v_cmpx_eq_u32_e32 0, v2
	s_cbranch_execz .LBB22_77
; %bb.76:
	v_dual_mov_b32 v2, 0 :: v_dual_mov_b32 v3, s4
	global_atomic_min_i32 v2, v3, s[10:11] scope:SCOPE_DEV
.LBB22_77:
	s_wait_xcnt 0x0
	s_or_b32 exec_lo, exec_lo, s1
	v_mov_b64_e32 v[2:3], 1.0
.LBB22_78:
	s_or_b32 exec_lo, exec_lo, s0
	v_lshl_add_u64 v[0:1], v[0:1], 3, s[16:17]
	s_mov_b32 s0, exec_lo
	v_cmpx_lt_u32_e32 1, v9
	s_cbranch_execz .LBB22_80
; %bb.79:
	ds_load_b64 v[6:7], v16 offset:8
	ds_load_b64 v[10:11], v13 offset:8
	s_wait_dscnt 0x0
	v_add_f64_e64 v[6:7], v[6:7], -v[10:11]
	s_delay_alu instid0(VALU_DEP_1) | instskip(SKIP_1) | instid1(VALU_DEP_2)
	v_div_scale_f64 v[10:11], null, v[2:3], v[2:3], v[6:7]
	v_div_scale_f64 v[22:23], vcc_lo, v[6:7], v[2:3], v[6:7]
	v_rcp_f64_e32 v[18:19], v[10:11]
	v_nop
	s_delay_alu instid0(TRANS32_DEP_1) | instskip(NEXT) | instid1(VALU_DEP_1)
	v_fma_f64 v[20:21], -v[10:11], v[18:19], 1.0
	v_fmac_f64_e32 v[18:19], v[18:19], v[20:21]
	s_delay_alu instid0(VALU_DEP_1) | instskip(NEXT) | instid1(VALU_DEP_1)
	v_fma_f64 v[20:21], -v[10:11], v[18:19], 1.0
	v_fmac_f64_e32 v[18:19], v[18:19], v[20:21]
	s_delay_alu instid0(VALU_DEP_1) | instskip(NEXT) | instid1(VALU_DEP_1)
	v_mul_f64_e32 v[20:21], v[22:23], v[18:19]
	v_fma_f64 v[10:11], -v[10:11], v[20:21], v[22:23]
	s_delay_alu instid0(VALU_DEP_1) | instskip(NEXT) | instid1(VALU_DEP_1)
	v_div_fmas_f64 v[10:11], v[10:11], v[18:19], v[20:21]
	v_div_fixup_f64 v[2:3], v[10:11], v[2:3], v[6:7]
	ds_store_b64 v16, v[2:3] offset:8
	s_wait_storecnt_dscnt 0x0
	ds_load_b64 v[6:7], v15 offset:8
	ds_load_b64 v[10:11], v12
	s_wait_dscnt 0x0
	v_fmac_f64_e32 v[10:11], v[2:3], v[6:7]
	ds_store_b64 v12, v[10:11]
.LBB22_80:
	s_or_b32 exec_lo, exec_lo, s0
	s_wait_storecnt_dscnt 0x0
	ds_load_b64 v[2:3], v4
	s_mov_b32 s0, 0
	s_mov_b32 s1, exec_lo
	s_wait_dscnt 0x0
	global_store_b64 v[0:1], v[2:3], off
	s_wait_xcnt 0x0
	v_cmpx_eq_u32_e32 0, v14
	s_cbranch_execz .LBB22_82
; %bb.81:
	v_dual_mov_b32 v0, 0 :: v_dual_mov_b32 v1, 1
	s_add_nc_u64 s[4:5], s[6:7], s[2:3]
	global_wb scope:SCOPE_DEV
	s_wait_storecnt 0x0
	global_store_b32 v0, v1, s[4:5] scope:SCOPE_DEV
.LBB22_82:
	s_wait_xcnt 0x0
	s_or_b32 exec_lo, exec_lo, s1
	s_delay_alu instid0(SALU_CYCLE_1)
	s_and_b32 vcc_lo, exec_lo, s0
	s_cbranch_vccz .LBB22_16
.LBB22_83:
	v_or_b32_e32 v0, v8, v9
	s_mov_b32 s0, exec_lo
	s_delay_alu instid0(VALU_DEP_1)
	v_cmpx_eq_u32_e32 0, v0
	s_cbranch_execz .LBB22_16
; %bb.84:
	v_mbcnt_lo_u32_b32 v0, exec_lo, 0
	s_mov_b32 s0, exec_lo
	s_delay_alu instid0(VALU_DEP_1)
	v_cmpx_eq_u32_e32 0, v0
	s_cbranch_execz .LBB22_86
; %bb.85:
	s_add_co_i32 s1, s8, s9
	s_delay_alu instid0(SALU_CYCLE_1)
	v_dual_mov_b32 v0, 0 :: v_dual_mov_b32 v1, s1
	global_atomic_min_i32 v0, v1, s[10:11] scope:SCOPE_DEV
.LBB22_86:
	s_wait_xcnt 0x0
	s_or_b32 exec_lo, exec_lo, s0
	v_dual_mov_b32 v0, 0 :: v_dual_mov_b32 v1, 1
	s_add_nc_u64 s[0:1], s[6:7], s[2:3]
	global_wb scope:SCOPE_DEV
	s_wait_storecnt 0x0
	global_store_b32 v0, v1, s[0:1] scope:SCOPE_DEV
	s_endpgm
	.section	.rodata,"a",@progbits
	.p2align	6, 0x0
	.amdhsa_kernel _ZN9rocsparseL26bsric0_2_8_unrolled_kernelILi4ELi32ELi2EdEEv20rocsparse_direction_iiPKiS3_PT2_S3_PiS3_S6_21rocsparse_index_base_
		.amdhsa_group_segment_fixed_size 576
		.amdhsa_private_segment_fixed_size 0
		.amdhsa_kernarg_size 76
		.amdhsa_user_sgpr_count 2
		.amdhsa_user_sgpr_dispatch_ptr 0
		.amdhsa_user_sgpr_queue_ptr 0
		.amdhsa_user_sgpr_kernarg_segment_ptr 1
		.amdhsa_user_sgpr_dispatch_id 0
		.amdhsa_user_sgpr_kernarg_preload_length 0
		.amdhsa_user_sgpr_kernarg_preload_offset 0
		.amdhsa_user_sgpr_private_segment_size 0
		.amdhsa_wavefront_size32 1
		.amdhsa_uses_dynamic_stack 0
		.amdhsa_enable_private_segment 0
		.amdhsa_system_sgpr_workgroup_id_x 1
		.amdhsa_system_sgpr_workgroup_id_y 0
		.amdhsa_system_sgpr_workgroup_id_z 0
		.amdhsa_system_sgpr_workgroup_info 0
		.amdhsa_system_vgpr_workitem_id 1
		.amdhsa_next_free_vgpr 42
		.amdhsa_next_free_sgpr 37
		.amdhsa_named_barrier_count 0
		.amdhsa_reserve_vcc 1
		.amdhsa_float_round_mode_32 0
		.amdhsa_float_round_mode_16_64 0
		.amdhsa_float_denorm_mode_32 3
		.amdhsa_float_denorm_mode_16_64 3
		.amdhsa_fp16_overflow 0
		.amdhsa_memory_ordered 1
		.amdhsa_forward_progress 1
		.amdhsa_inst_pref_size 40
		.amdhsa_round_robin_scheduling 0
		.amdhsa_exception_fp_ieee_invalid_op 0
		.amdhsa_exception_fp_denorm_src 0
		.amdhsa_exception_fp_ieee_div_zero 0
		.amdhsa_exception_fp_ieee_overflow 0
		.amdhsa_exception_fp_ieee_underflow 0
		.amdhsa_exception_fp_ieee_inexact 0
		.amdhsa_exception_int_div_zero 0
	.end_amdhsa_kernel
	.section	.text._ZN9rocsparseL26bsric0_2_8_unrolled_kernelILi4ELi32ELi2EdEEv20rocsparse_direction_iiPKiS3_PT2_S3_PiS3_S6_21rocsparse_index_base_,"axG",@progbits,_ZN9rocsparseL26bsric0_2_8_unrolled_kernelILi4ELi32ELi2EdEEv20rocsparse_direction_iiPKiS3_PT2_S3_PiS3_S6_21rocsparse_index_base_,comdat
.Lfunc_end22:
	.size	_ZN9rocsparseL26bsric0_2_8_unrolled_kernelILi4ELi32ELi2EdEEv20rocsparse_direction_iiPKiS3_PT2_S3_PiS3_S6_21rocsparse_index_base_, .Lfunc_end22-_ZN9rocsparseL26bsric0_2_8_unrolled_kernelILi4ELi32ELi2EdEEv20rocsparse_direction_iiPKiS3_PT2_S3_PiS3_S6_21rocsparse_index_base_
                                        ; -- End function
	.set _ZN9rocsparseL26bsric0_2_8_unrolled_kernelILi4ELi32ELi2EdEEv20rocsparse_direction_iiPKiS3_PT2_S3_PiS3_S6_21rocsparse_index_base_.num_vgpr, 42
	.set _ZN9rocsparseL26bsric0_2_8_unrolled_kernelILi4ELi32ELi2EdEEv20rocsparse_direction_iiPKiS3_PT2_S3_PiS3_S6_21rocsparse_index_base_.num_agpr, 0
	.set _ZN9rocsparseL26bsric0_2_8_unrolled_kernelILi4ELi32ELi2EdEEv20rocsparse_direction_iiPKiS3_PT2_S3_PiS3_S6_21rocsparse_index_base_.numbered_sgpr, 37
	.set _ZN9rocsparseL26bsric0_2_8_unrolled_kernelILi4ELi32ELi2EdEEv20rocsparse_direction_iiPKiS3_PT2_S3_PiS3_S6_21rocsparse_index_base_.num_named_barrier, 0
	.set _ZN9rocsparseL26bsric0_2_8_unrolled_kernelILi4ELi32ELi2EdEEv20rocsparse_direction_iiPKiS3_PT2_S3_PiS3_S6_21rocsparse_index_base_.private_seg_size, 0
	.set _ZN9rocsparseL26bsric0_2_8_unrolled_kernelILi4ELi32ELi2EdEEv20rocsparse_direction_iiPKiS3_PT2_S3_PiS3_S6_21rocsparse_index_base_.uses_vcc, 1
	.set _ZN9rocsparseL26bsric0_2_8_unrolled_kernelILi4ELi32ELi2EdEEv20rocsparse_direction_iiPKiS3_PT2_S3_PiS3_S6_21rocsparse_index_base_.uses_flat_scratch, 0
	.set _ZN9rocsparseL26bsric0_2_8_unrolled_kernelILi4ELi32ELi2EdEEv20rocsparse_direction_iiPKiS3_PT2_S3_PiS3_S6_21rocsparse_index_base_.has_dyn_sized_stack, 0
	.set _ZN9rocsparseL26bsric0_2_8_unrolled_kernelILi4ELi32ELi2EdEEv20rocsparse_direction_iiPKiS3_PT2_S3_PiS3_S6_21rocsparse_index_base_.has_recursion, 0
	.set _ZN9rocsparseL26bsric0_2_8_unrolled_kernelILi4ELi32ELi2EdEEv20rocsparse_direction_iiPKiS3_PT2_S3_PiS3_S6_21rocsparse_index_base_.has_indirect_call, 0
	.section	.AMDGPU.csdata,"",@progbits
; Kernel info:
; codeLenInByte = 5016
; TotalNumSgprs: 39
; NumVgprs: 42
; ScratchSize: 0
; MemoryBound: 1
; FloatMode: 240
; IeeeMode: 1
; LDSByteSize: 576 bytes/workgroup (compile time only)
; SGPRBlocks: 0
; VGPRBlocks: 2
; NumSGPRsForWavesPerEU: 39
; NumVGPRsForWavesPerEU: 42
; NamedBarCnt: 0
; Occupancy: 16
; WaveLimiterHint : 1
; COMPUTE_PGM_RSRC2:SCRATCH_EN: 0
; COMPUTE_PGM_RSRC2:USER_SGPR: 2
; COMPUTE_PGM_RSRC2:TRAP_HANDLER: 0
; COMPUTE_PGM_RSRC2:TGID_X_EN: 1
; COMPUTE_PGM_RSRC2:TGID_Y_EN: 0
; COMPUTE_PGM_RSRC2:TGID_Z_EN: 0
; COMPUTE_PGM_RSRC2:TIDIG_COMP_CNT: 1
	.section	.text._ZN9rocsparseL26bsric0_2_8_unrolled_kernelILi9ELi32ELi3EdEEv20rocsparse_direction_iiPKiS3_PT2_S3_PiS3_S6_21rocsparse_index_base_,"axG",@progbits,_ZN9rocsparseL26bsric0_2_8_unrolled_kernelILi9ELi32ELi3EdEEv20rocsparse_direction_iiPKiS3_PT2_S3_PiS3_S6_21rocsparse_index_base_,comdat
	.globl	_ZN9rocsparseL26bsric0_2_8_unrolled_kernelILi9ELi32ELi3EdEEv20rocsparse_direction_iiPKiS3_PT2_S3_PiS3_S6_21rocsparse_index_base_ ; -- Begin function _ZN9rocsparseL26bsric0_2_8_unrolled_kernelILi9ELi32ELi3EdEEv20rocsparse_direction_iiPKiS3_PT2_S3_PiS3_S6_21rocsparse_index_base_
	.p2align	8
	.type	_ZN9rocsparseL26bsric0_2_8_unrolled_kernelILi9ELi32ELi3EdEEv20rocsparse_direction_iiPKiS3_PT2_S3_PiS3_S6_21rocsparse_index_base_,@function
_ZN9rocsparseL26bsric0_2_8_unrolled_kernelILi9ELi32ELi3EdEEv20rocsparse_direction_iiPKiS3_PT2_S3_PiS3_S6_21rocsparse_index_base_: ; @_ZN9rocsparseL26bsric0_2_8_unrolled_kernelILi9ELi32ELi3EdEEv20rocsparse_direction_iiPKiS3_PT2_S3_PiS3_S6_21rocsparse_index_base_
; %bb.0:
	s_load_b256 s[4:11], s[0:1], 0x28
	s_bfe_u32 s2, ttmp6, 0x4000c
	s_and_b32 s3, ttmp6, 15
	s_add_co_i32 s2, s2, 1
	s_getreg_b32 s12, hwreg(HW_REG_IB_STS2, 6, 4)
	s_mul_i32 s2, ttmp9, s2
	v_and_b32_e32 v8, 0x3ff, v0
	s_add_co_i32 s3, s3, s2
	s_cmp_eq_u32 s12, 0
	v_bfe_u32 v9, v0, 10, 10
	s_cselect_b32 s2, ttmp9, s3
	s_wait_kmcnt 0x0
	s_load_b32 s8, s[8:9], s2 offset:0x0 scale_offset
	s_wait_kmcnt 0x0
	s_ashr_i32 s9, s8, 31
	s_delay_alu instid0(SALU_CYCLE_1) | instskip(NEXT) | instid1(SALU_CYCLE_1)
	s_lshl_b64 s[2:3], s[8:9], 2
	s_add_nc_u64 s[12:13], s[4:5], s[2:3]
	s_load_b32 s26, s[12:13], 0x0
	s_load_b32 s9, s[0:1], 0x48
	s_wait_kmcnt 0x0
	s_cmp_lg_u32 s26, -1
	s_cbranch_scc0 .LBB23_96
; %bb.1:
	s_clause 0x1
	s_load_b128 s[12:15], s[0:1], 0x10
	s_load_b64 s[16:17], s[0:1], 0x20
	v_mad_u32_u24 v10, v9, 3, v8
	v_mul_u32_u24_e32 v14, 3, v9
	s_wait_kmcnt 0x0
	s_add_nc_u64 s[18:19], s[12:13], s[2:3]
	s_load_b32 s19, s[18:19], 0x0
	s_wait_xcnt 0x0
	s_mov_b32 s18, exec_lo
	s_wait_kmcnt 0x0
	s_sub_co_i32 s27, s19, s9
	s_delay_alu instid0(SALU_CYCLE_1) | instskip(NEXT) | instid1(VALU_DEP_1)
	v_add_nc_u32_e32 v0, s27, v10
	v_cmpx_ge_i32_e64 s26, v0
	s_cbranch_execz .LBB23_14
; %bb.2:
	v_add_nc_u32_e32 v1, s19, v8
	s_add_co_i32 s20, s26, 1
	s_mov_b32 s21, -1
	s_delay_alu instid0(VALU_DEP_1) | instskip(NEXT) | instid1(VALU_DEP_1)
	v_add_nc_u32_e32 v2, v1, v14
	v_subrev_nc_u32_e32 v2, s9, v2
	s_delay_alu instid0(VALU_DEP_1) | instskip(SKIP_1) | instid1(VALU_DEP_1)
	v_add_max_i32_e64 v2, v2, 9, s20
	s_mov_b32 s20, exec_lo
	v_add_nc_u32_e32 v2, s9, v2
	s_delay_alu instid0(VALU_DEP_1) | instskip(NEXT) | instid1(VALU_DEP_1)
	v_sub_nc_u32_e32 v1, v2, v1
	v_add_nc_u32_e32 v1, -9, v1
	s_delay_alu instid0(VALU_DEP_1) | instskip(SKIP_1) | instid1(VALU_DEP_1)
	v_cmp_ne_u32_e32 vcc_lo, v1, v14
	v_add_co_ci_u32_e64 v2, null, 0, v14, vcc_lo
	v_sub_nc_u32_e32 v1, v1, v2
	s_delay_alu instid0(VALU_DEP_1) | instskip(NEXT) | instid1(VALU_DEP_1)
	v_mul_hi_u32 v1, 0x38e38e39, v1
	v_lshrrev_b32_e32 v1, 1, v1
	s_delay_alu instid0(VALU_DEP_1) | instskip(NEXT) | instid1(VALU_DEP_1)
	v_add_co_ci_u32_e64 v4, null, 0, v1, vcc_lo
	v_cmpx_ne_u32_e32 0, v4
	s_cbranch_execz .LBB23_11
; %bb.3:
	v_add_nc_u32_e32 v1, -1, v4
	s_mov_b32 s21, exec_lo
	s_delay_alu instid0(VALU_DEP_1) | instskip(NEXT) | instid1(VALU_DEP_1)
	v_dual_lshrrev_b32 v2, 1, v1 :: v_dual_add_nc_u32 v1, 9, v0
	v_add_nc_u32_e32 v5, 1, v2
	s_delay_alu instid0(VALU_DEP_2)
	v_mov_b64_e32 v[2:3], v[0:1]
	v_cmpx_lt_u32_e32 14, v4
	s_cbranch_execz .LBB23_7
; %bb.4:
	v_mov_b64_e32 v[2:3], v[0:1]
	v_and_b32_e32 v6, -8, v5
	s_mov_b32 s22, 0
.LBB23_5:                               ; =>This Inner Loop Header: Depth=1
	s_clause 0x1
	global_load_b32 v1, v2, s[14:15] scale_offset
	global_load_b32 v7, v3, s[14:15] scale_offset
	v_add_nc_u32_e32 v18, 0x48, v3
	v_dual_add_nc_u32 v16, 54, v3 :: v_dual_add_nc_u32 v17, 54, v2
	v_dual_add_nc_u32 v13, 36, v3 :: v_dual_add_nc_u32 v15, 36, v2
	;; [unrolled: 1-line block ×3, first 2 shown]
	v_add_nc_u32_e32 v19, 0x48, v2
	v_add_nc_u32_e32 v20, 0x5a, v3
	;; [unrolled: 1-line block ×7, first 2 shown]
	s_clause 0xd
	global_load_b32 v26, v18, s[14:15] scale_offset
	global_load_b32 v27, v16, s[14:15] scale_offset
	;; [unrolled: 1-line block ×14, first 2 shown]
	v_subrev_nc_u32_e32 v40, s27, v2
	v_subrev_nc_u32_e32 v41, s27, v3
	v_add_nc_u32_e32 v6, -8, v6
	s_wait_xcnt 0x9
	v_subrev_nc_u32_e32 v12, s27, v12
	v_subrev_nc_u32_e32 v11, s27, v11
	v_dual_lshlrev_b32 v40, 2, v40 :: v_dual_lshlrev_b32 v41, 2, v41
	s_wait_xcnt 0x8
	v_subrev_nc_u32_e32 v15, s27, v15
	v_subrev_nc_u32_e32 v13, s27, v13
	v_cmp_eq_u32_e32 vcc_lo, 0, v6
	s_wait_xcnt 0x7
	v_subrev_nc_u32_e32 v17, s27, v17
	v_add_nc_u32_e32 v3, 0x90, v3
	v_subrev_nc_u32_e32 v16, s27, v16
	v_subrev_nc_u32_e32 v18, s27, v18
	s_wait_xcnt 0x6
	v_subrev_nc_u32_e32 v19, s27, v19
	s_wait_xcnt 0x3
	;; [unrolled: 2-line block ×3, first 2 shown]
	v_subrev_nc_u32_e32 v21, s27, v21
	v_subrev_nc_u32_e32 v22, s27, v22
	s_wait_xcnt 0x1
	v_subrev_nc_u32_e32 v23, s27, v23
	v_subrev_nc_u32_e32 v24, s27, v24
	s_wait_xcnt 0x0
	v_subrev_nc_u32_e32 v25, s27, v25
	v_add_nc_u32_e32 v2, 0x90, v2
	v_dual_lshlrev_b32 v12, 2, v12 :: v_dual_lshlrev_b32 v11, 2, v11
	v_dual_lshlrev_b32 v13, 2, v13 :: v_dual_lshlrev_b32 v15, 2, v15
	v_lshlrev_b32_e32 v17, 2, v17
	s_or_b32 s22, vcc_lo, s22
	v_dual_lshlrev_b32 v16, 2, v16 :: v_dual_lshlrev_b32 v19, 2, v19
	v_dual_lshlrev_b32 v18, 2, v18 :: v_dual_lshlrev_b32 v21, 2, v21
	;; [unrolled: 1-line block ×4, first 2 shown]
	v_lshlrev_b32_e32 v24, 2, v24
	s_wait_loadcnt 0xf
	v_subrev_nc_u32_e32 v1, s9, v1
	s_wait_loadcnt 0xe
	v_subrev_nc_u32_e32 v7, s9, v7
	ds_store_b32 v40, v1 offset:256
	ds_store_b32 v41, v7 offset:256
	s_wait_loadcnt 0xa
	v_subrev_nc_u32_e32 v1, s9, v29
	s_wait_loadcnt 0x9
	v_subrev_nc_u32_e32 v7, s9, v30
	;; [unrolled: 2-line block ×3, first 2 shown]
	v_subrev_nc_u32_e32 v28, s9, v28
	s_wait_loadcnt 0x7
	v_subrev_nc_u32_e32 v30, s9, v32
	v_subrev_nc_u32_e32 v27, s9, v27
	;; [unrolled: 1-line block ×3, first 2 shown]
	s_wait_loadcnt 0x6
	v_subrev_nc_u32_e32 v31, s9, v33
	s_wait_loadcnt 0x3
	v_subrev_nc_u32_e32 v32, s9, v36
	;; [unrolled: 2-line block ×3, first 2 shown]
	v_subrev_nc_u32_e32 v35, s9, v35
	s_wait_loadcnt 0x1
	v_subrev_nc_u32_e32 v36, s9, v38
	v_subrev_nc_u32_e32 v34, s9, v34
	s_wait_loadcnt 0x0
	v_subrev_nc_u32_e32 v37, s9, v39
	ds_store_b32 v12, v7 offset:256
	ds_store_b32 v11, v1 offset:256
	;; [unrolled: 1-line block ×14, first 2 shown]
	s_and_not1_b32 exec_lo, exec_lo, s22
	s_cbranch_execnz .LBB23_5
; %bb.6:
	s_or_b32 exec_lo, exec_lo, s22
.LBB23_7:
	s_delay_alu instid0(SALU_CYCLE_1) | instskip(SKIP_3) | instid1(VALU_DEP_1)
	s_or_b32 exec_lo, exec_lo, s21
	v_and_b32_e32 v1, 7, v5
	s_mov_b32 s22, 0
	s_mov_b32 s21, exec_lo
	v_cmpx_ne_u32_e32 0, v1
	s_cbranch_execz .LBB23_10
; %bb.8:
	v_sub_nc_u32_e32 v1, 0, v1
.LBB23_9:                               ; =>This Inner Loop Header: Depth=1
	s_clause 0x1
	global_load_b32 v5, v3, s[14:15] scale_offset
	global_load_b32 v6, v2, s[14:15] scale_offset
	v_subrev_nc_u32_e32 v7, s27, v2
	v_subrev_nc_u32_e32 v11, s27, v3
	s_wait_xcnt 0x0
	v_dual_add_nc_u32 v3, 18, v3 :: v_dual_add_nc_u32 v2, 18, v2
	v_add_co_u32 v1, s23, v1, 1
	v_lshlrev_b32_e32 v7, 2, v7
	v_lshlrev_b32_e32 v11, 2, v11
	s_or_b32 s22, s23, s22
	s_wait_loadcnt 0x1
	v_subrev_nc_u32_e32 v5, s9, v5
	s_wait_loadcnt 0x0
	v_subrev_nc_u32_e32 v6, s9, v6
	ds_store_b32 v7, v6 offset:256
	ds_store_b32 v11, v5 offset:256
	s_and_not1_b32 exec_lo, exec_lo, s22
	s_cbranch_execnz .LBB23_9
.LBB23_10:
	s_or_b32 exec_lo, exec_lo, s21
	v_add_nc_u32_e32 v1, 1, v4
	s_delay_alu instid0(VALU_DEP_1) | instskip(NEXT) | instid1(VALU_DEP_1)
	v_and_b32_e32 v2, 0x7ffffffe, v1
	v_mad_u32 v0, v2, 9, v0
	v_cmp_ne_u32_e32 vcc_lo, v1, v2
	s_or_not1_b32 s21, vcc_lo, exec_lo
.LBB23_11:
	s_or_b32 exec_lo, exec_lo, s20
	s_delay_alu instid0(SALU_CYCLE_1)
	s_and_b32 exec_lo, exec_lo, s21
	s_cbranch_execz .LBB23_14
; %bb.12:
	s_delay_alu instid0(VALU_DEP_2) | instskip(NEXT) | instid1(VALU_DEP_1)
	v_add_nc_u32_e32 v1, s9, v0
	v_subrev_nc_u32_e32 v2, s19, v1
	v_ashrrev_i32_e32 v1, 31, v0
	s_mov_b32 s19, 0
	s_delay_alu instid0(VALU_DEP_2) | instskip(NEXT) | instid1(VALU_DEP_2)
	v_lshl_add_u32 v4, v2, 2, 0x100
	v_lshl_add_u64 v[2:3], v[0:1], 2, s[14:15]
.LBB23_13:                              ; =>This Inner Loop Header: Depth=1
	global_load_b32 v1, v[2:3], off
	v_add_nc_u32_e32 v0, 9, v0
	s_wait_xcnt 0x0
	v_add_nc_u64_e32 v[2:3], 36, v[2:3]
	s_delay_alu instid0(VALU_DEP_2)
	v_cmp_lt_i32_e32 vcc_lo, s26, v0
	s_or_b32 s19, vcc_lo, s19
	s_wait_loadcnt 0x0
	v_subrev_nc_u32_e32 v1, s9, v1
	ds_store_b32 v4, v1
	v_add_nc_u32_e32 v4, 36, v4
	s_and_not1_b32 exec_lo, exec_lo, s19
	s_cbranch_execnz .LBB23_13
.LBB23_14:
	s_or_b32 exec_lo, exec_lo, s18
	s_load_b32 s1, s[0:1], 0x0
	v_lshl_add_u32 v15, v9, 5, 0x2a0
	v_mov_b64_e32 v[0:1], 0
	v_mad_u32_u24 v11, v8, 3, v9
	v_lshl_add_u32 v13, v8, 5, 0x240
	s_cmp_ge_i32 s27, s26
	v_lshl_add_u32 v12, v8, 3, v15
	ds_store_b64 v12, v[0:1]
	s_wait_dscnt 0x0
	s_cbranch_scc1 .LBB23_64
; %bb.15:
	v_dual_lshlrev_b32 v0, 5, v9 :: v_dual_lshlrev_b32 v2, 3, v8
	s_wait_kmcnt 0x0
	s_cmp_lg_u32 s1, 0
	v_mad_u32_u24 v1, v8, 3, v9
	s_cselect_b32 s28, -1, 0
	s_cmp_eq_u32 s1, 0
	v_add3_u32 v19, v0, v2, 0x180
	v_add_nc_u32_e32 v21, 0x1e0, v0
	s_cselect_b32 vcc_lo, -1, 0
	v_dual_cndmask_b32 v26, v1, v10 :: v_dual_add_nc_u32 v17, 0x240, v0
	v_dual_add_nc_u32 v22, 3, v9 :: v_dual_bitop2_b32 v0, v8, v9 bitop3:0x54
	v_mul_u32_u24_e32 v16, 3, v8
	s_delay_alu instid0(VALU_DEP_3)
	v_dual_add_nc_u32 v18, 3, v8 :: v_dual_add_nc_u32 v20, v17, v2
	v_dual_add_nc_u32 v23, 6, v8 :: v_dual_add_nc_u32 v24, 6, v9
	v_dual_add_nc_u32 v25, v21, v2 :: v_dual_mov_b32 v27, 0
	v_cmp_ne_u32_e64 s0, 0, v0
	s_mov_b32 s18, s27
	s_branch .LBB23_19
.LBB23_16:                              ;   in Loop: Header=BB23_19 Depth=1
	s_wait_xcnt 0x0
	s_or_b32 exec_lo, exec_lo, s21
	v_mov_b64_e32 v[4:5], 1.0
.LBB23_17:                              ;   in Loop: Header=BB23_19 Depth=1
	s_or_b32 exec_lo, exec_lo, s20
	ds_load_b128 v[28:31], v27 offset:448
	ds_load_b128 v[32:35], v17
	ds_load_b64 v[6:7], v21 offset:16
	s_add_co_i32 s18, s18, 1
	s_delay_alu instid0(SALU_CYCLE_1) | instskip(SKIP_3) | instid1(VALU_DEP_1)
	s_cmp_ge_i32 s18, s26
	s_cselect_b32 s24, -1, 0
	s_wait_dscnt 0x0
	v_fmac_f64_e32 v[6:7], v[28:29], v[32:33]
	v_fmac_f64_e32 v[6:7], v[30:31], v[34:35]
	s_delay_alu instid0(VALU_DEP_1) | instskip(NEXT) | instid1(VALU_DEP_1)
	v_add_f64_e64 v[2:3], v[2:3], -v[6:7]
	v_div_scale_f64 v[6:7], null, v[4:5], v[4:5], v[2:3]
	v_div_scale_f64 v[32:33], vcc_lo, v[2:3], v[4:5], v[2:3]
	s_delay_alu instid0(VALU_DEP_2) | instskip(SKIP_1) | instid1(TRANS32_DEP_1)
	v_rcp_f64_e32 v[28:29], v[6:7]
	v_nop
	v_fma_f64 v[30:31], -v[6:7], v[28:29], 1.0
	s_delay_alu instid0(VALU_DEP_1) | instskip(NEXT) | instid1(VALU_DEP_1)
	v_fmac_f64_e32 v[28:29], v[28:29], v[30:31]
	v_fma_f64 v[30:31], -v[6:7], v[28:29], 1.0
	s_delay_alu instid0(VALU_DEP_1) | instskip(NEXT) | instid1(VALU_DEP_1)
	v_fmac_f64_e32 v[28:29], v[28:29], v[30:31]
	v_mul_f64_e32 v[30:31], v[32:33], v[28:29]
	s_delay_alu instid0(VALU_DEP_1) | instskip(NEXT) | instid1(VALU_DEP_1)
	v_fma_f64 v[6:7], -v[6:7], v[30:31], v[32:33]
	v_div_fmas_f64 v[6:7], v[6:7], v[28:29], v[30:31]
	s_delay_alu instid0(VALU_DEP_1)
	v_div_fixup_f64 v[2:3], v[6:7], v[4:5], v[2:3]
	ds_store_b64 v17, v[2:3] offset:16
	s_wait_storecnt_dscnt 0x0
	ds_load_b64 v[4:5], v13 offset:16
	ds_load_b64 v[6:7], v12
	s_wait_dscnt 0x0
	v_fmac_f64_e32 v[6:7], v[2:3], v[4:5]
	ds_store_b64 v12, v[6:7]
	s_wait_dscnt 0x0
	ds_load_b64 v[2:3], v20
	s_wait_dscnt 0x0
	global_store_b64 v[0:1], v[2:3], off
	global_wb scope:SCOPE_DEV
	s_wait_storecnt 0x0
	global_inv scope:SCOPE_DEV
.LBB23_18:                              ;   in Loop: Header=BB23_19 Depth=1
	s_and_b32 vcc_lo, exec_lo, s24
	s_cbranch_vccnz .LBB23_64
.LBB23_19:                              ; =>This Loop Header: Depth=1
                                        ;     Child Loop BB23_22 Depth 2
                                        ;     Child Loop BB23_33 Depth 2
	;; [unrolled: 1-line block ×3, first 2 shown]
	s_ashr_i32 s19, s18, 31
	s_delay_alu instid0(SALU_CYCLE_1) | instskip(NEXT) | instid1(SALU_CYCLE_1)
	s_lshl_b64 s[20:21], s[18:19], 2
	s_add_nc_u64 s[20:21], s[14:15], s[20:21]
	s_load_b32 s19, s[20:21], 0x0
	s_wait_kmcnt 0x0
	s_sub_co_i32 s22, s19, s9
	s_delay_alu instid0(SALU_CYCLE_1) | instskip(SKIP_2) | instid1(SALU_CYCLE_1)
	s_ashr_i32 s23, s22, 31
	s_wait_xcnt 0x0
	s_lshl_b64 s[20:21], s[22:23], 2
	s_add_nc_u64 s[24:25], s[4:5], s[20:21]
	s_load_b32 s23, s[24:25], 0x0
	s_wait_xcnt 0x0
	s_mov_b32 s24, -1
	s_wait_kmcnt 0x0
	s_cmp_eq_u32 s23, -1
	s_cbranch_scc1 .LBB23_18
; %bb.20:                               ;   in Loop: Header=BB23_19 Depth=1
	v_mad_u32 v0, s18, 9, v26
	s_add_nc_u64 s[24:25], s[12:13], s[20:21]
	ds_load_b32 v1, v27 offset:256
	s_load_b32 s24, s[24:25], 0x0
	global_load_b64 v[2:3], v0, s[16:17] scale_offset
	s_wait_dscnt 0x0
	v_cmp_ge_i32_e32 vcc_lo, s22, v1
	s_wait_kmcnt 0x0
	s_sub_co_i32 s24, s24, s9
	s_delay_alu instid0(SALU_CYCLE_1) | instskip(SKIP_1) | instid1(SALU_CYCLE_1)
	s_cmp_le_i32 s24, s23
	s_cselect_b32 s25, -1, 0
	s_and_b32 s25, s25, vcc_lo
	s_delay_alu instid0(SALU_CYCLE_1)
	s_and_not1_b32 vcc_lo, exec_lo, s25
	s_mov_b32 s25, 0
	s_wait_loadcnt 0x0
	ds_store_b64 v20, v[2:3]
	s_cbranch_vccnz .LBB23_32
; %bb.21:                               ;   in Loop: Header=BB23_19 Depth=1
	s_mov_b32 s29, 0
	s_mov_b32 s30, 0
.LBB23_22:                              ;   Parent Loop BB23_19 Depth=1
                                        ; =>  This Inner Loop Header: Depth=2
	s_ashr_i32 s25, s24, 31
	s_lshl_b32 s31, s30, 2
	s_lshl_b64 s[34:35], s[24:25], 2
	v_mov_b32_e32 v1, s31
	s_add_nc_u64 s[34:35], s[14:15], s[34:35]
                                        ; implicit-def: $sgpr33
	s_load_b32 s25, s[34:35], 0x0
	s_wait_xcnt 0x0
	s_mov_b32 s35, -1
	ds_load_b32 v1, v1 offset:256
                                        ; implicit-def: $sgpr34
	s_wait_kmcnt 0x0
	s_sub_co_i32 s36, s25, s9
                                        ; implicit-def: $sgpr25
	s_wait_dscnt 0x0
	v_readfirstlane_b32 s31, v1
	v_cmp_ge_i32_e32 vcc_lo, s36, v1
	s_cbranch_vccz .LBB23_28
; %bb.23:                               ;   in Loop: Header=BB23_22 Depth=2
	s_cmp_le_i32 s36, s31
                                        ; implicit-def: $sgpr25
                                        ; implicit-def: $sgpr34
                                        ; implicit-def: $sgpr33
	s_cbranch_scc0 .LBB23_25
; %bb.24:                               ;   in Loop: Header=BB23_22 Depth=2
	s_add_co_i32 s25, s30, s27
	s_lshl_b32 s33, s29, 2
	s_mul_i32 s25, s25, 9
	s_delay_alu instid0(SALU_CYCLE_1)
	v_dual_mov_b32 v1, s33 :: v_dual_mov_b32 v2, s25
	s_mul_i32 s33, s24, 9
	s_add_co_i32 s34, s24, 1
	v_mov_b32_e32 v3, s33
	s_add_co_i32 s33, s30, 1
	s_add_co_i32 s25, s29, 1
	s_mov_b32 s35, 0
	ds_store_2addr_b32 v1, v3, v2 offset1:32
.LBB23_25:                              ;   in Loop: Header=BB23_22 Depth=2
	s_and_not1_b32 vcc_lo, exec_lo, s35
	s_cbranch_vccnz .LBB23_27
; %bb.26:                               ;   in Loop: Header=BB23_22 Depth=2
	s_add_co_i32 s33, s30, 1
	s_mov_b32 s25, s29
	s_mov_b32 s34, s24
.LBB23_27:                              ;   in Loop: Header=BB23_22 Depth=2
	s_mov_b32 s35, 0
.LBB23_28:                              ;   in Loop: Header=BB23_22 Depth=2
	s_delay_alu instid0(SALU_CYCLE_1)
	s_and_not1_b32 vcc_lo, exec_lo, s35
	s_cbranch_vccnz .LBB23_30
; %bb.29:                               ;   in Loop: Header=BB23_22 Depth=2
	s_add_co_i32 s34, s24, 1
	s_mov_b32 s33, s30
	s_mov_b32 s25, s29
.LBB23_30:                              ;   in Loop: Header=BB23_22 Depth=2
	s_cmp_le_i32 s34, s23
	s_cselect_b32 s24, -1, 0
	s_cmp_le_i32 s31, s22
	s_cselect_b32 s29, -1, 0
	s_delay_alu instid0(SALU_CYCLE_1) | instskip(NEXT) | instid1(SALU_CYCLE_1)
	s_and_b32 s24, s24, s29
	s_and_b32 vcc_lo, exec_lo, s24
	s_cbranch_vccz .LBB23_32
; %bb.31:                               ;   in Loop: Header=BB23_22 Depth=2
	s_mov_b32 s29, s25
	s_mov_b32 s24, s34
	;; [unrolled: 1-line block ×3, first 2 shown]
	s_branch .LBB23_22
.LBB23_32:                              ;   in Loop: Header=BB23_19 Depth=1
	v_ashrrev_i32_e32 v1, 31, v0
	s_add_nc_u64 s[20:21], s[6:7], s[20:21]
	s_wait_dscnt 0x0
	s_wait_xcnt 0x0
	s_delay_alu instid0(VALU_DEP_1)
	v_lshl_add_u64 v[0:1], v[0:1], 3, s[16:17]
.LBB23_33:                              ;   Parent Loop BB23_19 Depth=1
                                        ; =>  This Inner Loop Header: Depth=2
	global_load_b32 v2, v27, s[20:21] scope:SCOPE_DEV
	s_wait_loadcnt 0x0
	v_cmp_eq_u32_e32 vcc_lo, 0, v2
	s_cbranch_vccnz .LBB23_33
; %bb.34:                               ;   in Loop: Header=BB23_19 Depth=1
	v_mad_u32 v2, s23, 9, v26
	global_inv scope:SCOPE_DEV
	s_cmp_lt_i32 s25, 2
	global_load_b64 v[4:5], v2, s[16:17] scale_offset
	s_wait_xcnt 0x0
	v_mov_b64_e32 v[2:3], 0
	s_wait_loadcnt 0x0
	ds_store_b64 v19, v[4:5]
	s_wait_dscnt 0x0
	s_cbranch_scc1 .LBB23_53
; %bb.35:                               ;   in Loop: Header=BB23_19 Depth=1
	v_mov_b64_e32 v[2:3], 0
	s_add_co_i32 s20, s25, -1
	s_cmp_eq_u32 s25, 2
	s_cbranch_scc1 .LBB23_46
; %bb.36:                               ;   in Loop: Header=BB23_19 Depth=1
	s_and_b32 s21, s20, -2
	s_mov_b32 s22, 0
	s_mov_b32 s23, 0
	s_branch .LBB23_38
.LBB23_37:                              ;   in Loop: Header=BB23_38 Depth=2
	s_add_co_i32 s23, s23, 2
	s_add_co_i32 s22, s22, 8
	s_cmp_eq_u32 s21, s23
	s_cbranch_scc1 .LBB23_47
.LBB23_38:                              ;   Parent Loop BB23_19 Depth=1
                                        ; =>  This Inner Loop Header: Depth=2
	v_mov_b32_e32 v4, s22
	s_and_b32 vcc_lo, exec_lo, s28
	s_mov_b32 s24, -1
	s_wait_dscnt 0x0
	ds_load_2addr_b32 v[6:7], v4 offset1:32
                                        ; implicit-def: $vgpr4_vgpr5
	s_cbranch_vccz .LBB23_40
; %bb.39:                               ;   in Loop: Header=BB23_38 Depth=2
	s_wait_dscnt 0x0
	v_dual_add_nc_u32 v30, v6, v8 :: v_dual_add_nc_u32 v31, v7, v9
	v_dual_add_nc_u32 v34, v18, v6 :: v_dual_add_nc_u32 v38, v23, v6
	;; [unrolled: 1-line block ×3, first 2 shown]
	s_clause 0x5
	global_load_b64 v[4:5], v30, s[16:17] scale_offset
	global_load_b64 v[28:29], v31, s[16:17] scale_offset
	;; [unrolled: 1-line block ×6, first 2 shown]
	s_mov_b32 s24, 0
	s_wait_loadcnt 0x4
	v_fma_f64 v[4:5], v[4:5], v[28:29], v[2:3]
	s_wait_loadcnt 0x2
	s_delay_alu instid0(VALU_DEP_1) | instskip(SKIP_1) | instid1(VALU_DEP_1)
	v_fmac_f64_e32 v[4:5], v[30:31], v[32:33]
	s_wait_loadcnt 0x0
	v_fmac_f64_e32 v[4:5], v[34:35], v[36:37]
.LBB23_40:                              ;   in Loop: Header=BB23_38 Depth=2
	s_and_not1_b32 vcc_lo, exec_lo, s24
	s_cbranch_vccnz .LBB23_42
; %bb.41:                               ;   in Loop: Header=BB23_38 Depth=2
	s_wait_dscnt 0x0
	v_dual_add_nc_u32 v32, v7, v14 :: v_dual_add_nc_u32 v34, v6, v16
	s_delay_alu instid0(VALU_DEP_1) | instskip(NEXT) | instid1(VALU_DEP_1)
	v_dual_ashrrev_i32 v33, 31, v32 :: v_dual_ashrrev_i32 v35, 31, v34
	v_lshl_add_u64 v[36:37], v[32:33], 3, s[16:17]
	s_delay_alu instid0(VALU_DEP_2)
	v_lshl_add_u64 v[38:39], v[34:35], 3, s[16:17]
	s_clause 0x3
	global_load_b128 v[4:7], v[36:37], off
	global_load_b128 v[28:31], v[38:39], off
	global_load_b64 v[40:41], v34, s[16:17] offset:16 scale_offset
	global_load_b64 v[42:43], v32, s[16:17] offset:16 scale_offset
	s_wait_loadcnt 0x2
	v_fmac_f64_e32 v[2:3], v[28:29], v[4:5]
	s_delay_alu instid0(VALU_DEP_1) | instskip(SKIP_1) | instid1(VALU_DEP_1)
	v_fmac_f64_e32 v[2:3], v[30:31], v[6:7]
	s_wait_loadcnt 0x0
	v_fmac_f64_e32 v[2:3], v[40:41], v[42:43]
	s_delay_alu instid0(VALU_DEP_1)
	v_mov_b64_e32 v[4:5], v[2:3]
.LBB23_42:                              ;   in Loop: Header=BB23_38 Depth=2
	v_mov_b32_e32 v2, s22
	s_and_not1_b32 vcc_lo, exec_lo, s28
	s_mov_b32 s24, -1
	s_wait_dscnt 0x0
	ds_load_2addr_b32 v[6:7], v2 offset0:1 offset1:33
                                        ; implicit-def: $vgpr2_vgpr3
	s_cbranch_vccnz .LBB23_44
; %bb.43:                               ;   in Loop: Header=BB23_38 Depth=2
	s_wait_dscnt 0x0
	v_dual_add_nc_u32 v30, v6, v8 :: v_dual_add_nc_u32 v31, v7, v9
	v_dual_add_nc_u32 v34, v18, v6 :: v_dual_add_nc_u32 v38, v23, v6
	;; [unrolled: 1-line block ×3, first 2 shown]
	s_clause 0x5
	global_load_b64 v[2:3], v30, s[16:17] scale_offset
	global_load_b64 v[28:29], v31, s[16:17] scale_offset
	;; [unrolled: 1-line block ×6, first 2 shown]
	s_mov_b32 s24, 0
	s_wait_loadcnt 0x4
	v_fma_f64 v[2:3], v[2:3], v[28:29], v[4:5]
	s_wait_loadcnt 0x2
	s_delay_alu instid0(VALU_DEP_1) | instskip(SKIP_1) | instid1(VALU_DEP_1)
	v_fmac_f64_e32 v[2:3], v[30:31], v[32:33]
	s_wait_loadcnt 0x0
	v_fmac_f64_e32 v[2:3], v[34:35], v[36:37]
.LBB23_44:                              ;   in Loop: Header=BB23_38 Depth=2
	s_and_not1_b32 vcc_lo, exec_lo, s24
	s_cbranch_vccnz .LBB23_37
; %bb.45:                               ;   in Loop: Header=BB23_38 Depth=2
	s_wait_dscnt 0x0
	v_dual_add_nc_u32 v2, v7, v14 :: v_dual_add_nc_u32 v6, v6, v16
	s_delay_alu instid0(VALU_DEP_1) | instskip(NEXT) | instid1(VALU_DEP_2)
	v_ashrrev_i32_e32 v3, 31, v2
	v_ashrrev_i32_e32 v7, 31, v6
	s_delay_alu instid0(VALU_DEP_2) | instskip(NEXT) | instid1(VALU_DEP_2)
	v_lshl_add_u64 v[36:37], v[2:3], 3, s[16:17]
	v_lshl_add_u64 v[38:39], v[6:7], 3, s[16:17]
	s_clause 0x3
	global_load_b128 v[28:31], v[36:37], off
	global_load_b128 v[32:35], v[38:39], off
	global_load_b64 v[40:41], v6, s[16:17] offset:16 scale_offset
	global_load_b64 v[42:43], v2, s[16:17] offset:16 scale_offset
	s_wait_loadcnt 0x2
	v_fmac_f64_e32 v[4:5], v[32:33], v[28:29]
	s_delay_alu instid0(VALU_DEP_1) | instskip(SKIP_1) | instid1(VALU_DEP_1)
	v_fmac_f64_e32 v[4:5], v[34:35], v[30:31]
	s_wait_loadcnt 0x0
	v_fmac_f64_e32 v[4:5], v[40:41], v[42:43]
	s_delay_alu instid0(VALU_DEP_1)
	v_mov_b64_e32 v[2:3], v[4:5]
	s_branch .LBB23_37
.LBB23_46:                              ;   in Loop: Header=BB23_19 Depth=1
	s_mov_b32 s21, 0
.LBB23_47:                              ;   in Loop: Header=BB23_19 Depth=1
	s_bitcmp0_b32 s20, 0
	s_cbranch_scc1 .LBB23_53
; %bb.48:                               ;   in Loop: Header=BB23_19 Depth=1
	s_lshl_b32 s20, s21, 2
	s_and_not1_b32 vcc_lo, exec_lo, s28
	v_mov_b32_e32 v4, s20
	s_mov_b32 s20, -1
                                        ; implicit-def: $vgpr6_vgpr7
	ds_load_2addr_b32 v[4:5], v4 offset1:32
	s_cbranch_vccnz .LBB23_50
; %bb.49:                               ;   in Loop: Header=BB23_19 Depth=1
	s_wait_dscnt 0x0
	v_dual_add_nc_u32 v30, v4, v8 :: v_dual_add_nc_u32 v31, v5, v9
	v_dual_add_nc_u32 v34, v18, v4 :: v_dual_add_nc_u32 v38, v23, v4
	;; [unrolled: 1-line block ×3, first 2 shown]
	s_clause 0x5
	global_load_b64 v[6:7], v30, s[16:17] scale_offset
	global_load_b64 v[28:29], v31, s[16:17] scale_offset
	;; [unrolled: 1-line block ×6, first 2 shown]
	s_mov_b32 s20, 0
	s_wait_loadcnt 0x4
	v_fma_f64 v[6:7], v[6:7], v[28:29], v[2:3]
	s_wait_loadcnt 0x2
	s_delay_alu instid0(VALU_DEP_1) | instskip(SKIP_1) | instid1(VALU_DEP_1)
	v_fmac_f64_e32 v[6:7], v[30:31], v[32:33]
	s_wait_loadcnt 0x0
	v_fmac_f64_e32 v[6:7], v[34:35], v[36:37]
.LBB23_50:                              ;   in Loop: Header=BB23_19 Depth=1
	s_and_not1_b32 vcc_lo, exec_lo, s20
	s_cbranch_vccnz .LBB23_52
; %bb.51:                               ;   in Loop: Header=BB23_19 Depth=1
	s_wait_dscnt 0x0
	v_dual_add_nc_u32 v32, v5, v14 :: v_dual_add_nc_u32 v34, v4, v16
	s_delay_alu instid0(VALU_DEP_1) | instskip(NEXT) | instid1(VALU_DEP_1)
	v_dual_ashrrev_i32 v33, 31, v32 :: v_dual_ashrrev_i32 v35, 31, v34
	v_lshl_add_u64 v[36:37], v[32:33], 3, s[16:17]
	s_delay_alu instid0(VALU_DEP_2)
	v_lshl_add_u64 v[38:39], v[34:35], 3, s[16:17]
	s_clause 0x3
	global_load_b128 v[4:7], v[36:37], off
	global_load_b128 v[28:31], v[38:39], off
	global_load_b64 v[40:41], v34, s[16:17] offset:16 scale_offset
	global_load_b64 v[42:43], v32, s[16:17] offset:16 scale_offset
	s_wait_loadcnt 0x2
	v_fmac_f64_e32 v[2:3], v[28:29], v[4:5]
	s_delay_alu instid0(VALU_DEP_1) | instskip(SKIP_1) | instid1(VALU_DEP_1)
	v_fmac_f64_e32 v[2:3], v[30:31], v[6:7]
	s_wait_loadcnt 0x0
	v_fmac_f64_e32 v[2:3], v[40:41], v[42:43]
	s_delay_alu instid0(VALU_DEP_1)
	v_mov_b64_e32 v[6:7], v[2:3]
.LBB23_52:                              ;   in Loop: Header=BB23_19 Depth=1
	s_wait_dscnt 0x1
	s_delay_alu instid0(VALU_DEP_1)
	v_mov_b64_e32 v[2:3], v[6:7]
.LBB23_53:                              ;   in Loop: Header=BB23_19 Depth=1
	ds_store_b64 v25, v[2:3]
	s_wait_dscnt 0x0
	ds_load_b64 v[4:5], v27 offset:384
	ds_load_b64 v[2:3], v17
	s_wait_dscnt 0x1
	v_cmp_neq_f64_e32 vcc_lo, 0, v[4:5]
	v_cndmask_b32_e32 v5, 0x3ff00000, v5, vcc_lo
	v_cndmask_b32_e32 v4, 0, v4, vcc_lo
	s_nor_b32 s21, vcc_lo, s0
	s_delay_alu instid0(SALU_CYCLE_1)
	s_and_saveexec_b32 s20, s21
	s_cbranch_execz .LBB23_57
; %bb.54:                               ;   in Loop: Header=BB23_19 Depth=1
	v_mbcnt_lo_u32_b32 v4, exec_lo, 0
	s_mov_b32 s21, exec_lo
	s_delay_alu instid0(VALU_DEP_1)
	v_cmpx_eq_u32_e32 0, v4
	s_cbranch_execz .LBB23_56
; %bb.55:                               ;   in Loop: Header=BB23_19 Depth=1
	v_mov_b32_e32 v4, s19
	global_atomic_min_i32 v27, v4, s[10:11] scope:SCOPE_DEV
.LBB23_56:                              ;   in Loop: Header=BB23_19 Depth=1
	s_wait_xcnt 0x0
	s_or_b32 exec_lo, exec_lo, s21
	v_mov_b64_e32 v[4:5], 1.0
.LBB23_57:                              ;   in Loop: Header=BB23_19 Depth=1
	s_or_b32 exec_lo, exec_lo, s20
	ds_load_b64 v[6:7], v21
	s_wait_dscnt 0x0
	v_add_f64_e64 v[2:3], v[2:3], -v[6:7]
	s_delay_alu instid0(VALU_DEP_1) | instskip(SKIP_1) | instid1(VALU_DEP_2)
	v_div_scale_f64 v[6:7], null, v[4:5], v[4:5], v[2:3]
	v_div_scale_f64 v[32:33], vcc_lo, v[2:3], v[4:5], v[2:3]
	v_rcp_f64_e32 v[28:29], v[6:7]
	v_nop
	s_delay_alu instid0(TRANS32_DEP_1) | instskip(NEXT) | instid1(VALU_DEP_1)
	v_fma_f64 v[30:31], -v[6:7], v[28:29], 1.0
	v_fmac_f64_e32 v[28:29], v[28:29], v[30:31]
	s_delay_alu instid0(VALU_DEP_1) | instskip(NEXT) | instid1(VALU_DEP_1)
	v_fma_f64 v[30:31], -v[6:7], v[28:29], 1.0
	v_fmac_f64_e32 v[28:29], v[28:29], v[30:31]
	s_delay_alu instid0(VALU_DEP_1) | instskip(NEXT) | instid1(VALU_DEP_1)
	v_mul_f64_e32 v[30:31], v[32:33], v[28:29]
	v_fma_f64 v[6:7], -v[6:7], v[30:31], v[32:33]
	s_delay_alu instid0(VALU_DEP_1) | instskip(NEXT) | instid1(VALU_DEP_1)
	v_div_fmas_f64 v[6:7], v[6:7], v[28:29], v[30:31]
	v_div_fixup_f64 v[2:3], v[6:7], v[4:5], v[2:3]
	ds_store_b64 v17, v[2:3]
	s_wait_storecnt_dscnt 0x0
	ds_load_b64 v[4:5], v13
	ds_load_b64 v[6:7], v12
	s_wait_dscnt 0x0
	v_fmac_f64_e32 v[6:7], v[2:3], v[4:5]
	ds_store_b64 v12, v[6:7]
	s_wait_dscnt 0x0
	ds_load_b64 v[4:5], v27 offset:424
	ds_load_b64 v[2:3], v17 offset:8
	s_wait_dscnt 0x1
	v_cmp_neq_f64_e32 vcc_lo, 0, v[4:5]
	v_cndmask_b32_e32 v5, 0x3ff00000, v5, vcc_lo
	v_cndmask_b32_e32 v4, 0, v4, vcc_lo
	s_nor_b32 s21, vcc_lo, s0
	s_delay_alu instid0(SALU_CYCLE_1)
	s_and_saveexec_b32 s20, s21
	s_cbranch_execz .LBB23_61
; %bb.58:                               ;   in Loop: Header=BB23_19 Depth=1
	v_mbcnt_lo_u32_b32 v4, exec_lo, 0
	s_mov_b32 s21, exec_lo
	s_delay_alu instid0(VALU_DEP_1)
	v_cmpx_eq_u32_e32 0, v4
	s_cbranch_execz .LBB23_60
; %bb.59:                               ;   in Loop: Header=BB23_19 Depth=1
	v_mov_b32_e32 v4, s19
	global_atomic_min_i32 v27, v4, s[10:11] scope:SCOPE_DEV
.LBB23_60:                              ;   in Loop: Header=BB23_19 Depth=1
	s_wait_xcnt 0x0
	s_or_b32 exec_lo, exec_lo, s21
	v_mov_b64_e32 v[4:5], 1.0
.LBB23_61:                              ;   in Loop: Header=BB23_19 Depth=1
	s_or_b32 exec_lo, exec_lo, s20
	ds_load_b64 v[6:7], v27 offset:416
	ds_load_b64 v[28:29], v17
	ds_load_b64 v[30:31], v21 offset:8
	s_wait_dscnt 0x0
	v_fmac_f64_e32 v[30:31], v[6:7], v[28:29]
	s_delay_alu instid0(VALU_DEP_1) | instskip(NEXT) | instid1(VALU_DEP_1)
	v_add_f64_e64 v[2:3], v[2:3], -v[30:31]
	v_div_scale_f64 v[6:7], null, v[4:5], v[4:5], v[2:3]
	v_div_scale_f64 v[32:33], vcc_lo, v[2:3], v[4:5], v[2:3]
	s_delay_alu instid0(VALU_DEP_2) | instskip(SKIP_1) | instid1(TRANS32_DEP_1)
	v_rcp_f64_e32 v[28:29], v[6:7]
	v_nop
	v_fma_f64 v[30:31], -v[6:7], v[28:29], 1.0
	s_delay_alu instid0(VALU_DEP_1) | instskip(NEXT) | instid1(VALU_DEP_1)
	v_fmac_f64_e32 v[28:29], v[28:29], v[30:31]
	v_fma_f64 v[30:31], -v[6:7], v[28:29], 1.0
	s_delay_alu instid0(VALU_DEP_1) | instskip(NEXT) | instid1(VALU_DEP_1)
	v_fmac_f64_e32 v[28:29], v[28:29], v[30:31]
	v_mul_f64_e32 v[30:31], v[32:33], v[28:29]
	s_delay_alu instid0(VALU_DEP_1) | instskip(NEXT) | instid1(VALU_DEP_1)
	v_fma_f64 v[6:7], -v[6:7], v[30:31], v[32:33]
	v_div_fmas_f64 v[6:7], v[6:7], v[28:29], v[30:31]
	s_delay_alu instid0(VALU_DEP_1)
	v_div_fixup_f64 v[2:3], v[6:7], v[4:5], v[2:3]
	ds_store_b64 v17, v[2:3] offset:8
	s_wait_storecnt_dscnt 0x0
	ds_load_b64 v[4:5], v13 offset:8
	ds_load_b64 v[6:7], v12
	s_wait_dscnt 0x0
	v_fmac_f64_e32 v[6:7], v[2:3], v[4:5]
	ds_store_b64 v12, v[6:7]
	s_wait_dscnt 0x0
	ds_load_b64 v[4:5], v27 offset:464
	ds_load_b64 v[2:3], v17 offset:16
	s_wait_dscnt 0x1
	v_cmp_neq_f64_e32 vcc_lo, 0, v[4:5]
	v_cndmask_b32_e32 v5, 0x3ff00000, v5, vcc_lo
	v_cndmask_b32_e32 v4, 0, v4, vcc_lo
	s_nor_b32 s21, vcc_lo, s0
	s_delay_alu instid0(SALU_CYCLE_1)
	s_and_saveexec_b32 s20, s21
	s_cbranch_execz .LBB23_17
; %bb.62:                               ;   in Loop: Header=BB23_19 Depth=1
	v_mbcnt_lo_u32_b32 v4, exec_lo, 0
	s_mov_b32 s21, exec_lo
	s_delay_alu instid0(VALU_DEP_1)
	v_cmpx_eq_u32_e32 0, v4
	s_cbranch_execz .LBB23_16
; %bb.63:                               ;   in Loop: Header=BB23_19 Depth=1
	v_mov_b32_e32 v4, s19
	global_atomic_min_i32 v27, v4, s[10:11] scope:SCOPE_DEV
	s_branch .LBB23_16
.LBB23_64:
	s_wait_xcnt 0x0
	v_mov_b32_e32 v0, v10
	s_wait_kmcnt 0x0
	s_cmp_lg_u32 s1, 0
	s_cselect_b32 s4, -1, 0
	s_cmp_eq_u32 s1, 0
	s_cbranch_scc1 .LBB23_66
; %bb.65:
	v_mad_u32_u24 v0, v8, 3, v9
.LBB23_66:
	s_mul_i32 s26, s26, 9
	v_lshl_add_u32 v3, v9, 5, 0x240
	s_delay_alu instid0(VALU_DEP_2) | instskip(SKIP_2) | instid1(VALU_DEP_3)
	v_add_nc_u32_e32 v0, s26, v0
	s_mov_b32 s1, exec_lo
	v_cmp_ne_u32_e32 vcc_lo, 0, v9
	v_lshl_add_u32 v2, v8, 3, v3
	global_load_b64 v[0:1], v0, s[16:17] scale_offset
	s_wait_loadcnt 0x0
	ds_store_b64 v2, v[0:1]
	s_wait_dscnt 0x0
	v_cmpx_eq_u32_e32 0, v9
	s_cbranch_execz .LBB23_68
; %bb.67:
	v_mov_b32_e32 v14, 0
	ds_load_2addr_b64 v[4:7], v14 offset0:72 offset1:84
	s_wait_dscnt 0x0
	v_add_f64_e64 v[0:1], v[4:5], -v[6:7]
	s_delay_alu instid0(VALU_DEP_1) | instskip(SKIP_1) | instid1(VALU_DEP_1)
	v_cmp_gt_f64_e64 s0, 0, v[0:1]
	v_xor_b32_e32 v4, 0x80000000, v1
	v_cndmask_b32_e64 v1, v1, v4, s0
	s_delay_alu instid0(VALU_DEP_1) | instskip(SKIP_2) | instid1(SALU_CYCLE_1)
	v_cmp_gt_f64_e64 s0, 0x10000000, v[0:1]
	s_and_b32 s0, s0, exec_lo
	s_cselect_b32 s0, 0x100, 0
	v_ldexp_f64 v[0:1], v[0:1], s0
	s_cselect_b32 s0, 0xffffff80, 0
	s_delay_alu instid0(VALU_DEP_1) | instskip(SKIP_1) | instid1(TRANS32_DEP_1)
	v_rsq_f64_e32 v[4:5], v[0:1]
	v_nop
	v_mul_f64_e32 v[6:7], v[0:1], v[4:5]
	v_mul_f64_e32 v[4:5], 0.5, v[4:5]
	s_delay_alu instid0(VALU_DEP_1) | instskip(NEXT) | instid1(VALU_DEP_1)
	v_fma_f64 v[16:17], -v[4:5], v[6:7], 0.5
	v_fmac_f64_e32 v[6:7], v[6:7], v[16:17]
	v_fmac_f64_e32 v[4:5], v[4:5], v[16:17]
	s_delay_alu instid0(VALU_DEP_2) | instskip(NEXT) | instid1(VALU_DEP_1)
	v_fma_f64 v[16:17], -v[6:7], v[6:7], v[0:1]
	v_fmac_f64_e32 v[6:7], v[16:17], v[4:5]
	s_delay_alu instid0(VALU_DEP_1) | instskip(NEXT) | instid1(VALU_DEP_1)
	v_fma_f64 v[16:17], -v[6:7], v[6:7], v[0:1]
	v_fmac_f64_e32 v[6:7], v[16:17], v[4:5]
	s_delay_alu instid0(VALU_DEP_1) | instskip(SKIP_1) | instid1(VALU_DEP_1)
	v_ldexp_f64 v[4:5], v[6:7], s0
	v_cmp_class_f64_e64 s0, v[0:1], 0x260
	v_dual_cndmask_b32 v1, v5, v1, s0 :: v_dual_cndmask_b32 v0, v4, v0, s0
	ds_store_b64 v14, v[0:1] offset:576
.LBB23_68:
	s_or_b32 exec_lo, exec_lo, s1
	v_dual_mov_b32 v0, 0 :: v_dual_bitop2_b32 v4, v8, v9 bitop3:0x54
	s_wait_dscnt 0x0
	s_add_co_i32 s5, s8, s9
	ds_load_b64 v[0:1], v0 offset:576
	v_cmp_ne_u32_e64 s0, 0, v4
	s_wait_dscnt 0x0
	v_cmp_neq_f64_e64 s1, 0, v[0:1]
	s_delay_alu instid0(VALU_DEP_1) | instskip(SKIP_2) | instid1(SALU_CYCLE_1)
	v_cndmask_b32_e64 v1, 0x3ff00000, v1, s1
	v_cndmask_b32_e64 v0, 0, v0, s1
	s_nor_b32 s1, s1, s0
	s_and_saveexec_b32 s12, s1
	s_cbranch_execz .LBB23_72
; %bb.69:
	v_mbcnt_lo_u32_b32 v0, exec_lo, 0
	s_mov_b32 s13, exec_lo
	s_delay_alu instid0(VALU_DEP_1)
	v_cmpx_eq_u32_e32 0, v0
	s_cbranch_execz .LBB23_71
; %bb.70:
	v_dual_mov_b32 v0, 0 :: v_dual_mov_b32 v1, s5
	global_atomic_min_i32 v0, v1, s[10:11] scope:SCOPE_DEV
.LBB23_71:
	s_wait_xcnt 0x0
	s_or_b32 exec_lo, exec_lo, s13
	v_mov_b64_e32 v[0:1], 1.0
.LBB23_72:
	s_or_b32 exec_lo, exec_lo, s12
	s_and_saveexec_b32 s1, vcc_lo
	s_cbranch_execz .LBB23_74
; %bb.73:
	ds_load_b64 v[6:7], v3
	ds_load_b64 v[16:17], v15
	s_wait_dscnt 0x0
	v_add_f64_e64 v[6:7], v[6:7], -v[16:17]
	s_delay_alu instid0(VALU_DEP_1) | instskip(SKIP_1) | instid1(VALU_DEP_2)
	v_div_scale_f64 v[16:17], null, v[0:1], v[0:1], v[6:7]
	v_div_scale_f64 v[22:23], vcc_lo, v[6:7], v[0:1], v[6:7]
	v_rcp_f64_e32 v[18:19], v[16:17]
	v_nop
	s_delay_alu instid0(TRANS32_DEP_1) | instskip(NEXT) | instid1(VALU_DEP_1)
	v_fma_f64 v[20:21], -v[16:17], v[18:19], 1.0
	v_fmac_f64_e32 v[18:19], v[18:19], v[20:21]
	s_delay_alu instid0(VALU_DEP_1) | instskip(NEXT) | instid1(VALU_DEP_1)
	v_fma_f64 v[20:21], -v[16:17], v[18:19], 1.0
	v_fmac_f64_e32 v[18:19], v[18:19], v[20:21]
	s_delay_alu instid0(VALU_DEP_1) | instskip(NEXT) | instid1(VALU_DEP_1)
	v_mul_f64_e32 v[20:21], v[22:23], v[18:19]
	v_fma_f64 v[16:17], -v[16:17], v[20:21], v[22:23]
	s_delay_alu instid0(VALU_DEP_1) | instskip(NEXT) | instid1(VALU_DEP_1)
	v_div_fmas_f64 v[16:17], v[16:17], v[18:19], v[20:21]
	v_div_fixup_f64 v[0:1], v[16:17], v[0:1], v[6:7]
	ds_store_b64 v3, v[0:1]
	s_wait_storecnt_dscnt 0x0
	ds_load_b64 v[6:7], v13
	ds_load_b64 v[16:17], v12
	s_wait_dscnt 0x0
	v_fmac_f64_e32 v[16:17], v[0:1], v[6:7]
	ds_store_b64 v12, v[16:17]
.LBB23_74:
	s_or_b32 exec_lo, exec_lo, s1
	s_delay_alu instid0(SALU_CYCLE_1)
	s_mov_b32 s1, exec_lo
	s_wait_storecnt_dscnt 0x0
	v_cmpx_eq_u32_e32 1, v9
	s_cbranch_execz .LBB23_76
; %bb.75:
	v_mov_b32_e32 v5, 0
	ds_load_2addr_b64 v[16:19], v5 offset0:77 offset1:89
	s_wait_dscnt 0x0
	v_add_f64_e64 v[0:1], v[16:17], -v[18:19]
	s_delay_alu instid0(VALU_DEP_1) | instskip(SKIP_1) | instid1(VALU_DEP_1)
	v_cmp_gt_f64_e32 vcc_lo, 0, v[0:1]
	v_xor_b32_e32 v6, 0x80000000, v1
	v_cndmask_b32_e32 v1, v1, v6, vcc_lo
	s_delay_alu instid0(VALU_DEP_1) | instskip(SKIP_2) | instid1(SALU_CYCLE_1)
	v_cmp_gt_f64_e32 vcc_lo, 0x10000000, v[0:1]
	s_and_b32 s12, vcc_lo, exec_lo
	s_cselect_b32 s12, 0x100, 0
	v_ldexp_f64 v[0:1], v[0:1], s12
	s_cselect_b32 s12, 0xffffff80, 0
	s_delay_alu instid0(VALU_DEP_1) | instskip(SKIP_1) | instid1(TRANS32_DEP_1)
	v_rsq_f64_e32 v[6:7], v[0:1]
	v_cmp_class_f64_e64 vcc_lo, v[0:1], 0x260
	v_mul_f64_e32 v[16:17], v[0:1], v[6:7]
	v_mul_f64_e32 v[6:7], 0.5, v[6:7]
	s_delay_alu instid0(VALU_DEP_1) | instskip(NEXT) | instid1(VALU_DEP_1)
	v_fma_f64 v[18:19], -v[6:7], v[16:17], 0.5
	v_fmac_f64_e32 v[16:17], v[16:17], v[18:19]
	v_fmac_f64_e32 v[6:7], v[6:7], v[18:19]
	s_delay_alu instid0(VALU_DEP_2) | instskip(NEXT) | instid1(VALU_DEP_1)
	v_fma_f64 v[18:19], -v[16:17], v[16:17], v[0:1]
	v_fmac_f64_e32 v[16:17], v[18:19], v[6:7]
	s_delay_alu instid0(VALU_DEP_1) | instskip(NEXT) | instid1(VALU_DEP_1)
	v_fma_f64 v[18:19], -v[16:17], v[16:17], v[0:1]
	v_fmac_f64_e32 v[16:17], v[18:19], v[6:7]
	s_delay_alu instid0(VALU_DEP_1) | instskip(NEXT) | instid1(VALU_DEP_1)
	v_ldexp_f64 v[6:7], v[16:17], s12
	v_dual_cndmask_b32 v1, v7, v1 :: v_dual_cndmask_b32 v0, v6, v0
	ds_store_b64 v5, v[0:1] offset:616
.LBB23_76:
	s_or_b32 exec_lo, exec_lo, s1
	v_mov_b32_e32 v0, 0
	s_wait_dscnt 0x0
	ds_load_b64 v[0:1], v0 offset:616
	s_wait_dscnt 0x0
	v_cmp_neq_f64_e32 vcc_lo, 0, v[0:1]
	v_cndmask_b32_e32 v1, 0x3ff00000, v1, vcc_lo
	v_cndmask_b32_e32 v0, 0, v0, vcc_lo
	s_nor_b32 s12, vcc_lo, s0
	s_delay_alu instid0(SALU_CYCLE_1)
	s_and_saveexec_b32 s1, s12
	s_cbranch_execz .LBB23_80
; %bb.77:
	v_mbcnt_lo_u32_b32 v0, exec_lo, 0
	s_mov_b32 s12, exec_lo
	s_delay_alu instid0(VALU_DEP_1)
	v_cmpx_eq_u32_e32 0, v0
	s_cbranch_execz .LBB23_79
; %bb.78:
	v_dual_mov_b32 v0, 0 :: v_dual_mov_b32 v1, s5
	global_atomic_min_i32 v0, v1, s[10:11] scope:SCOPE_DEV
.LBB23_79:
	s_wait_xcnt 0x0
	s_or_b32 exec_lo, exec_lo, s12
	v_mov_b64_e32 v[0:1], 1.0
.LBB23_80:
	s_or_b32 exec_lo, exec_lo, s1
	s_delay_alu instid0(SALU_CYCLE_1)
	s_mov_b32 s1, exec_lo
	v_cmpx_lt_u32_e32 1, v9
	s_cbranch_execz .LBB23_82
; %bb.81:
	ds_load_b64 v[6:7], v3 offset:8
	ds_load_b64 v[16:17], v15 offset:8
	s_wait_dscnt 0x0
	v_add_f64_e64 v[6:7], v[6:7], -v[16:17]
	s_delay_alu instid0(VALU_DEP_1) | instskip(SKIP_1) | instid1(VALU_DEP_2)
	v_div_scale_f64 v[16:17], null, v[0:1], v[0:1], v[6:7]
	v_div_scale_f64 v[22:23], vcc_lo, v[6:7], v[0:1], v[6:7]
	v_rcp_f64_e32 v[18:19], v[16:17]
	v_nop
	s_delay_alu instid0(TRANS32_DEP_1) | instskip(NEXT) | instid1(VALU_DEP_1)
	v_fma_f64 v[20:21], -v[16:17], v[18:19], 1.0
	v_fmac_f64_e32 v[18:19], v[18:19], v[20:21]
	s_delay_alu instid0(VALU_DEP_1) | instskip(NEXT) | instid1(VALU_DEP_1)
	v_fma_f64 v[20:21], -v[16:17], v[18:19], 1.0
	v_fmac_f64_e32 v[18:19], v[18:19], v[20:21]
	s_delay_alu instid0(VALU_DEP_1) | instskip(NEXT) | instid1(VALU_DEP_1)
	v_mul_f64_e32 v[20:21], v[22:23], v[18:19]
	v_fma_f64 v[16:17], -v[16:17], v[20:21], v[22:23]
	s_delay_alu instid0(VALU_DEP_1) | instskip(NEXT) | instid1(VALU_DEP_1)
	v_div_fmas_f64 v[16:17], v[16:17], v[18:19], v[20:21]
	v_div_fixup_f64 v[0:1], v[16:17], v[0:1], v[6:7]
	ds_store_b64 v3, v[0:1] offset:8
	s_wait_storecnt_dscnt 0x0
	ds_load_b64 v[6:7], v13 offset:8
	ds_load_b64 v[16:17], v12
	s_wait_dscnt 0x0
	v_fmac_f64_e32 v[16:17], v[0:1], v[6:7]
	ds_store_b64 v12, v[16:17]
.LBB23_82:
	s_or_b32 exec_lo, exec_lo, s1
	s_delay_alu instid0(SALU_CYCLE_1)
	s_mov_b32 s1, exec_lo
	s_wait_storecnt_dscnt 0x0
	v_cmpx_eq_u32_e32 2, v9
	s_cbranch_execz .LBB23_84
; %bb.83:
	v_mov_b32_e32 v5, 0
	ds_load_2addr_b64 v[16:19], v5 offset0:82 offset1:94
	s_wait_dscnt 0x0
	v_add_f64_e64 v[0:1], v[16:17], -v[18:19]
	s_delay_alu instid0(VALU_DEP_1) | instskip(SKIP_1) | instid1(VALU_DEP_1)
	v_cmp_gt_f64_e32 vcc_lo, 0, v[0:1]
	v_xor_b32_e32 v6, 0x80000000, v1
	v_cndmask_b32_e32 v1, v1, v6, vcc_lo
	s_delay_alu instid0(VALU_DEP_1) | instskip(SKIP_2) | instid1(SALU_CYCLE_1)
	v_cmp_gt_f64_e32 vcc_lo, 0x10000000, v[0:1]
	s_and_b32 s12, vcc_lo, exec_lo
	s_cselect_b32 s12, 0x100, 0
	v_ldexp_f64 v[0:1], v[0:1], s12
	s_cselect_b32 s12, 0xffffff80, 0
	s_delay_alu instid0(VALU_DEP_1) | instskip(SKIP_1) | instid1(TRANS32_DEP_1)
	v_rsq_f64_e32 v[6:7], v[0:1]
	v_cmp_class_f64_e64 vcc_lo, v[0:1], 0x260
	v_mul_f64_e32 v[16:17], v[0:1], v[6:7]
	v_mul_f64_e32 v[6:7], 0.5, v[6:7]
	s_delay_alu instid0(VALU_DEP_1) | instskip(NEXT) | instid1(VALU_DEP_1)
	v_fma_f64 v[18:19], -v[6:7], v[16:17], 0.5
	v_fmac_f64_e32 v[16:17], v[16:17], v[18:19]
	v_fmac_f64_e32 v[6:7], v[6:7], v[18:19]
	s_delay_alu instid0(VALU_DEP_2) | instskip(NEXT) | instid1(VALU_DEP_1)
	v_fma_f64 v[18:19], -v[16:17], v[16:17], v[0:1]
	v_fmac_f64_e32 v[16:17], v[18:19], v[6:7]
	s_delay_alu instid0(VALU_DEP_1) | instskip(NEXT) | instid1(VALU_DEP_1)
	v_fma_f64 v[18:19], -v[16:17], v[16:17], v[0:1]
	v_fmac_f64_e32 v[16:17], v[18:19], v[6:7]
	s_delay_alu instid0(VALU_DEP_1) | instskip(NEXT) | instid1(VALU_DEP_1)
	v_ldexp_f64 v[6:7], v[16:17], s12
	v_dual_cndmask_b32 v1, v7, v1 :: v_dual_cndmask_b32 v0, v6, v0
	ds_store_b64 v5, v[0:1] offset:656
.LBB23_84:
	s_or_b32 exec_lo, exec_lo, s1
	v_mov_b32_e32 v0, 0
	s_wait_dscnt 0x0
	ds_load_b64 v[0:1], v0 offset:656
	s_wait_dscnt 0x0
	v_cmp_neq_f64_e32 vcc_lo, 0, v[0:1]
	v_cndmask_b32_e32 v1, 0x3ff00000, v1, vcc_lo
	v_cndmask_b32_e32 v0, 0, v0, vcc_lo
	s_nor_b32 s1, vcc_lo, s0
	s_delay_alu instid0(SALU_CYCLE_1)
	s_and_saveexec_b32 s0, s1
	s_cbranch_execz .LBB23_88
; %bb.85:
	v_mbcnt_lo_u32_b32 v0, exec_lo, 0
	s_mov_b32 s1, exec_lo
	s_delay_alu instid0(VALU_DEP_1)
	v_cmpx_eq_u32_e32 0, v0
	s_cbranch_execz .LBB23_87
; %bb.86:
	v_dual_mov_b32 v0, 0 :: v_dual_mov_b32 v1, s5
	global_atomic_min_i32 v0, v1, s[10:11] scope:SCOPE_DEV
.LBB23_87:
	s_wait_xcnt 0x0
	s_or_b32 exec_lo, exec_lo, s1
	v_mov_b64_e32 v[0:1], 1.0
.LBB23_88:
	s_or_b32 exec_lo, exec_lo, s0
	s_delay_alu instid0(SALU_CYCLE_1)
	s_mov_b32 s0, exec_lo
	v_cmpx_lt_u32_e32 2, v9
	s_cbranch_execz .LBB23_90
; %bb.89:
	ds_load_b64 v[6:7], v3 offset:16
	ds_load_b64 v[14:15], v15 offset:16
	s_wait_dscnt 0x0
	v_add_f64_e64 v[6:7], v[6:7], -v[14:15]
	s_delay_alu instid0(VALU_DEP_1) | instskip(SKIP_1) | instid1(VALU_DEP_2)
	v_div_scale_f64 v[14:15], null, v[0:1], v[0:1], v[6:7]
	v_div_scale_f64 v[20:21], vcc_lo, v[6:7], v[0:1], v[6:7]
	v_rcp_f64_e32 v[16:17], v[14:15]
	v_nop
	s_delay_alu instid0(TRANS32_DEP_1) | instskip(NEXT) | instid1(VALU_DEP_1)
	v_fma_f64 v[18:19], -v[14:15], v[16:17], 1.0
	v_fmac_f64_e32 v[16:17], v[16:17], v[18:19]
	s_delay_alu instid0(VALU_DEP_1) | instskip(NEXT) | instid1(VALU_DEP_1)
	v_fma_f64 v[18:19], -v[14:15], v[16:17], 1.0
	v_fmac_f64_e32 v[16:17], v[16:17], v[18:19]
	s_delay_alu instid0(VALU_DEP_1) | instskip(NEXT) | instid1(VALU_DEP_1)
	v_mul_f64_e32 v[18:19], v[20:21], v[16:17]
	v_fma_f64 v[14:15], -v[14:15], v[18:19], v[20:21]
	s_delay_alu instid0(VALU_DEP_1) | instskip(NEXT) | instid1(VALU_DEP_1)
	v_div_fmas_f64 v[14:15], v[14:15], v[16:17], v[18:19]
	v_div_fixup_f64 v[0:1], v[14:15], v[0:1], v[6:7]
	ds_store_b64 v3, v[0:1] offset:16
	s_wait_storecnt_dscnt 0x0
	ds_load_b64 v[6:7], v13 offset:16
	ds_load_b64 v[14:15], v12
	s_wait_dscnt 0x0
	v_fmac_f64_e32 v[14:15], v[0:1], v[6:7]
	ds_store_b64 v12, v[14:15]
.LBB23_90:
	s_or_b32 exec_lo, exec_lo, s0
	s_wait_storecnt_dscnt 0x0
	ds_load_b64 v[0:1], v2
	s_and_not1_b32 vcc_lo, exec_lo, s4
	s_cbranch_vccnz .LBB23_92
; %bb.91:
	v_mov_b32_e32 v10, v11
.LBB23_92:
	s_delay_alu instid0(VALU_DEP_1)
	v_add_nc_u32_e32 v2, s26, v10
	s_mov_b32 s0, 0
	s_mov_b32 s1, exec_lo
	s_wait_dscnt 0x0
	global_store_b64 v2, v[0:1], s[16:17] scale_offset
	s_wait_xcnt 0x0
	v_cmpx_eq_u32_e32 0, v4
	s_cbranch_execz .LBB23_94
; %bb.93:
	v_dual_mov_b32 v0, 0 :: v_dual_mov_b32 v1, 1
	s_add_nc_u64 s[4:5], s[6:7], s[2:3]
	global_wb scope:SCOPE_DEV
	s_wait_storecnt 0x0
	global_store_b32 v0, v1, s[4:5] scope:SCOPE_DEV
.LBB23_94:
	s_wait_xcnt 0x0
	s_or_b32 exec_lo, exec_lo, s1
	s_delay_alu instid0(SALU_CYCLE_1)
	s_and_b32 vcc_lo, exec_lo, s0
	s_cbranch_vccnz .LBB23_97
.LBB23_95:
	s_endpgm
.LBB23_96:
	s_cbranch_execz .LBB23_95
.LBB23_97:
	v_or_b32_e32 v0, v8, v9
	s_mov_b32 s0, exec_lo
	s_delay_alu instid0(VALU_DEP_1)
	v_cmpx_eq_u32_e32 0, v0
	s_cbranch_execz .LBB23_95
; %bb.98:
	v_mbcnt_lo_u32_b32 v0, exec_lo, 0
	s_mov_b32 s0, exec_lo
	s_delay_alu instid0(VALU_DEP_1)
	v_cmpx_eq_u32_e32 0, v0
	s_cbranch_execz .LBB23_100
; %bb.99:
	s_add_co_i32 s1, s8, s9
	s_delay_alu instid0(SALU_CYCLE_1)
	v_dual_mov_b32 v0, 0 :: v_dual_mov_b32 v1, s1
	global_atomic_min_i32 v0, v1, s[10:11] scope:SCOPE_DEV
.LBB23_100:
	s_wait_xcnt 0x0
	s_or_b32 exec_lo, exec_lo, s0
	v_dual_mov_b32 v0, 0 :: v_dual_mov_b32 v1, 1
	s_add_nc_u64 s[0:1], s[6:7], s[2:3]
	global_wb scope:SCOPE_DEV
	s_wait_storecnt 0x0
	global_store_b32 v0, v1, s[0:1] scope:SCOPE_DEV
	s_endpgm
	.section	.rodata,"a",@progbits
	.p2align	6, 0x0
	.amdhsa_kernel _ZN9rocsparseL26bsric0_2_8_unrolled_kernelILi9ELi32ELi3EdEEv20rocsparse_direction_iiPKiS3_PT2_S3_PiS3_S6_21rocsparse_index_base_
		.amdhsa_group_segment_fixed_size 768
		.amdhsa_private_segment_fixed_size 0
		.amdhsa_kernarg_size 76
		.amdhsa_user_sgpr_count 2
		.amdhsa_user_sgpr_dispatch_ptr 0
		.amdhsa_user_sgpr_queue_ptr 0
		.amdhsa_user_sgpr_kernarg_segment_ptr 1
		.amdhsa_user_sgpr_dispatch_id 0
		.amdhsa_user_sgpr_kernarg_preload_length 0
		.amdhsa_user_sgpr_kernarg_preload_offset 0
		.amdhsa_user_sgpr_private_segment_size 0
		.amdhsa_wavefront_size32 1
		.amdhsa_uses_dynamic_stack 0
		.amdhsa_enable_private_segment 0
		.amdhsa_system_sgpr_workgroup_id_x 1
		.amdhsa_system_sgpr_workgroup_id_y 0
		.amdhsa_system_sgpr_workgroup_id_z 0
		.amdhsa_system_sgpr_workgroup_info 0
		.amdhsa_system_vgpr_workitem_id 1
		.amdhsa_next_free_vgpr 44
		.amdhsa_next_free_sgpr 37
		.amdhsa_named_barrier_count 0
		.amdhsa_reserve_vcc 1
		.amdhsa_float_round_mode_32 0
		.amdhsa_float_round_mode_16_64 0
		.amdhsa_float_denorm_mode_32 3
		.amdhsa_float_denorm_mode_16_64 3
		.amdhsa_fp16_overflow 0
		.amdhsa_memory_ordered 1
		.amdhsa_forward_progress 1
		.amdhsa_inst_pref_size 48
		.amdhsa_round_robin_scheduling 0
		.amdhsa_exception_fp_ieee_invalid_op 0
		.amdhsa_exception_fp_denorm_src 0
		.amdhsa_exception_fp_ieee_div_zero 0
		.amdhsa_exception_fp_ieee_overflow 0
		.amdhsa_exception_fp_ieee_underflow 0
		.amdhsa_exception_fp_ieee_inexact 0
		.amdhsa_exception_int_div_zero 0
	.end_amdhsa_kernel
	.section	.text._ZN9rocsparseL26bsric0_2_8_unrolled_kernelILi9ELi32ELi3EdEEv20rocsparse_direction_iiPKiS3_PT2_S3_PiS3_S6_21rocsparse_index_base_,"axG",@progbits,_ZN9rocsparseL26bsric0_2_8_unrolled_kernelILi9ELi32ELi3EdEEv20rocsparse_direction_iiPKiS3_PT2_S3_PiS3_S6_21rocsparse_index_base_,comdat
.Lfunc_end23:
	.size	_ZN9rocsparseL26bsric0_2_8_unrolled_kernelILi9ELi32ELi3EdEEv20rocsparse_direction_iiPKiS3_PT2_S3_PiS3_S6_21rocsparse_index_base_, .Lfunc_end23-_ZN9rocsparseL26bsric0_2_8_unrolled_kernelILi9ELi32ELi3EdEEv20rocsparse_direction_iiPKiS3_PT2_S3_PiS3_S6_21rocsparse_index_base_
                                        ; -- End function
	.set _ZN9rocsparseL26bsric0_2_8_unrolled_kernelILi9ELi32ELi3EdEEv20rocsparse_direction_iiPKiS3_PT2_S3_PiS3_S6_21rocsparse_index_base_.num_vgpr, 44
	.set _ZN9rocsparseL26bsric0_2_8_unrolled_kernelILi9ELi32ELi3EdEEv20rocsparse_direction_iiPKiS3_PT2_S3_PiS3_S6_21rocsparse_index_base_.num_agpr, 0
	.set _ZN9rocsparseL26bsric0_2_8_unrolled_kernelILi9ELi32ELi3EdEEv20rocsparse_direction_iiPKiS3_PT2_S3_PiS3_S6_21rocsparse_index_base_.numbered_sgpr, 37
	.set _ZN9rocsparseL26bsric0_2_8_unrolled_kernelILi9ELi32ELi3EdEEv20rocsparse_direction_iiPKiS3_PT2_S3_PiS3_S6_21rocsparse_index_base_.num_named_barrier, 0
	.set _ZN9rocsparseL26bsric0_2_8_unrolled_kernelILi9ELi32ELi3EdEEv20rocsparse_direction_iiPKiS3_PT2_S3_PiS3_S6_21rocsparse_index_base_.private_seg_size, 0
	.set _ZN9rocsparseL26bsric0_2_8_unrolled_kernelILi9ELi32ELi3EdEEv20rocsparse_direction_iiPKiS3_PT2_S3_PiS3_S6_21rocsparse_index_base_.uses_vcc, 1
	.set _ZN9rocsparseL26bsric0_2_8_unrolled_kernelILi9ELi32ELi3EdEEv20rocsparse_direction_iiPKiS3_PT2_S3_PiS3_S6_21rocsparse_index_base_.uses_flat_scratch, 0
	.set _ZN9rocsparseL26bsric0_2_8_unrolled_kernelILi9ELi32ELi3EdEEv20rocsparse_direction_iiPKiS3_PT2_S3_PiS3_S6_21rocsparse_index_base_.has_dyn_sized_stack, 0
	.set _ZN9rocsparseL26bsric0_2_8_unrolled_kernelILi9ELi32ELi3EdEEv20rocsparse_direction_iiPKiS3_PT2_S3_PiS3_S6_21rocsparse_index_base_.has_recursion, 0
	.set _ZN9rocsparseL26bsric0_2_8_unrolled_kernelILi9ELi32ELi3EdEEv20rocsparse_direction_iiPKiS3_PT2_S3_PiS3_S6_21rocsparse_index_base_.has_indirect_call, 0
	.section	.AMDGPU.csdata,"",@progbits
; Kernel info:
; codeLenInByte = 6144
; TotalNumSgprs: 39
; NumVgprs: 44
; ScratchSize: 0
; MemoryBound: 1
; FloatMode: 240
; IeeeMode: 1
; LDSByteSize: 768 bytes/workgroup (compile time only)
; SGPRBlocks: 0
; VGPRBlocks: 2
; NumSGPRsForWavesPerEU: 39
; NumVGPRsForWavesPerEU: 44
; NamedBarCnt: 0
; Occupancy: 16
; WaveLimiterHint : 1
; COMPUTE_PGM_RSRC2:SCRATCH_EN: 0
; COMPUTE_PGM_RSRC2:USER_SGPR: 2
; COMPUTE_PGM_RSRC2:TRAP_HANDLER: 0
; COMPUTE_PGM_RSRC2:TGID_X_EN: 1
; COMPUTE_PGM_RSRC2:TGID_Y_EN: 0
; COMPUTE_PGM_RSRC2:TGID_Z_EN: 0
; COMPUTE_PGM_RSRC2:TIDIG_COMP_CNT: 1
	.section	.text._ZN9rocsparseL26bsric0_2_8_unrolled_kernelILi16ELi32ELi4EdEEv20rocsparse_direction_iiPKiS3_PT2_S3_PiS3_S6_21rocsparse_index_base_,"axG",@progbits,_ZN9rocsparseL26bsric0_2_8_unrolled_kernelILi16ELi32ELi4EdEEv20rocsparse_direction_iiPKiS3_PT2_S3_PiS3_S6_21rocsparse_index_base_,comdat
	.globl	_ZN9rocsparseL26bsric0_2_8_unrolled_kernelILi16ELi32ELi4EdEEv20rocsparse_direction_iiPKiS3_PT2_S3_PiS3_S6_21rocsparse_index_base_ ; -- Begin function _ZN9rocsparseL26bsric0_2_8_unrolled_kernelILi16ELi32ELi4EdEEv20rocsparse_direction_iiPKiS3_PT2_S3_PiS3_S6_21rocsparse_index_base_
	.p2align	8
	.type	_ZN9rocsparseL26bsric0_2_8_unrolled_kernelILi16ELi32ELi4EdEEv20rocsparse_direction_iiPKiS3_PT2_S3_PiS3_S6_21rocsparse_index_base_,@function
_ZN9rocsparseL26bsric0_2_8_unrolled_kernelILi16ELi32ELi4EdEEv20rocsparse_direction_iiPKiS3_PT2_S3_PiS3_S6_21rocsparse_index_base_: ; @_ZN9rocsparseL26bsric0_2_8_unrolled_kernelILi16ELi32ELi4EdEEv20rocsparse_direction_iiPKiS3_PT2_S3_PiS3_S6_21rocsparse_index_base_
; %bb.0:
	s_load_b256 s[4:11], s[0:1], 0x28
	s_bfe_u32 s2, ttmp6, 0x4000c
	s_and_b32 s3, ttmp6, 15
	s_add_co_i32 s2, s2, 1
	s_getreg_b32 s12, hwreg(HW_REG_IB_STS2, 6, 4)
	s_mul_i32 s2, ttmp9, s2
	v_and_b32_e32 v8, 0x3ff, v0
	s_add_co_i32 s3, s3, s2
	s_cmp_eq_u32 s12, 0
	v_bfe_u32 v9, v0, 10, 10
	s_cselect_b32 s2, ttmp9, s3
	s_wait_kmcnt 0x0
	s_load_b32 s8, s[8:9], s2 offset:0x0 scale_offset
	s_wait_kmcnt 0x0
	s_ashr_i32 s9, s8, 31
	s_delay_alu instid0(SALU_CYCLE_1) | instskip(NEXT) | instid1(SALU_CYCLE_1)
	s_lshl_b64 s[2:3], s[8:9], 2
	s_add_nc_u64 s[12:13], s[4:5], s[2:3]
	s_load_b32 s26, s[12:13], 0x0
	s_load_b32 s9, s[0:1], 0x48
	s_wait_kmcnt 0x0
	s_cmp_lg_u32 s26, -1
	s_cbranch_scc0 .LBB24_15
; %bb.1:
	s_load_b128 s[12:15], s[0:1], 0x10
	s_wait_kmcnt 0x0
	s_add_nc_u64 s[16:17], s[12:13], s[2:3]
	s_load_b32 s17, s[16:17], 0x0
	s_wait_xcnt 0x0
	s_mov_b32 s16, exec_lo
	s_wait_kmcnt 0x0
	s_sub_co_i32 s27, s17, s9
	v_lshlrev_b32_e32 v16, 2, v9
	s_delay_alu instid0(VALU_DEP_1) | instskip(NEXT) | instid1(VALU_DEP_1)
	v_add_nc_u32_e32 v15, v16, v8
	v_add_nc_u32_e32 v0, s27, v15
	s_delay_alu instid0(VALU_DEP_1)
	v_cmpx_ge_i32_e64 s26, v0
	s_cbranch_execz .LBB24_13
; %bb.2:
	v_add_nc_u32_e32 v1, s17, v15
	s_add_co_i32 s18, s26, 1
	v_not_b32_e32 v2, v8
	s_mov_b32 s19, -1
	s_delay_alu instid0(VALU_DEP_2) | instskip(NEXT) | instid1(VALU_DEP_1)
	v_subrev_nc_u32_e32 v1, s9, v1
	v_add_max_i32_e64 v1, v1, 16, s18
	s_mov_b32 s18, exec_lo
	s_delay_alu instid0(VALU_DEP_1) | instskip(SKIP_1) | instid1(VALU_DEP_1)
	v_add3_u32 v1, s9, v1, v2
	v_add_nc_u32_e32 v2, s17, v16
	v_sub_nc_u32_e32 v1, v1, v2
	s_delay_alu instid0(VALU_DEP_1)
	v_cmpx_lt_u32_e32 15, v1
	s_cbranch_execz .LBB24_10
; %bb.3:
	v_dual_lshrrev_b32 v4, 4, v1 :: v_dual_add_nc_u32 v1, 16, v0
	s_delay_alu instid0(VALU_DEP_1) | instskip(NEXT) | instid1(VALU_DEP_1)
	v_add_nc_u32_e32 v2, -1, v4
	v_lshrrev_b32_e32 v3, 1, v2
	s_delay_alu instid0(VALU_DEP_1)
	v_add_nc_u32_e32 v5, 1, v3
	v_cmp_lt_u32_e32 vcc_lo, 13, v2
	v_mov_b64_e32 v[2:3], v[0:1]
	s_and_saveexec_b32 s19, vcc_lo
	s_cbranch_execz .LBB24_7
; %bb.4:
	v_mov_b64_e32 v[2:3], v[0:1]
	v_and_b32_e32 v6, -8, v5
	s_mov_b32 s20, 0
.LBB24_5:                               ; =>This Inner Loop Header: Depth=1
	s_clause 0x1
	global_load_b32 v1, v2, s[14:15] scale_offset
	global_load_b32 v7, v3, s[14:15] scale_offset
	v_add_nc_u32_e32 v18, 0x80, v3
	v_add_nc_u32_e32 v14, 0x60, v3
	v_dual_add_nc_u32 v12, 64, v3 :: v_dual_add_nc_u32 v13, 64, v2
	v_dual_add_nc_u32 v10, 32, v3 :: v_dual_add_nc_u32 v11, 32, v2
	v_add_nc_u32_e32 v17, 0x60, v2
	v_add_nc_u32_e32 v19, 0x80, v2
	;; [unrolled: 1-line block ×8, first 2 shown]
	s_clause 0xd
	global_load_b32 v26, v18, s[14:15] scale_offset
	global_load_b32 v27, v14, s[14:15] scale_offset
	;; [unrolled: 1-line block ×14, first 2 shown]
	v_subrev_nc_u32_e32 v40, s27, v2
	v_subrev_nc_u32_e32 v41, s27, v3
	v_add_nc_u32_e32 v6, -8, v6
	s_wait_xcnt 0x9
	v_subrev_nc_u32_e32 v11, s27, v11
	v_subrev_nc_u32_e32 v10, s27, v10
	v_dual_lshlrev_b32 v40, 2, v40 :: v_dual_lshlrev_b32 v41, 2, v41
	s_wait_xcnt 0x8
	v_subrev_nc_u32_e32 v13, s27, v13
	v_subrev_nc_u32_e32 v12, s27, v12
	v_cmp_eq_u32_e32 vcc_lo, 0, v6
	s_wait_xcnt 0x7
	v_subrev_nc_u32_e32 v17, s27, v17
	v_add_nc_u32_e32 v3, 0x100, v3
	v_subrev_nc_u32_e32 v14, s27, v14
	v_subrev_nc_u32_e32 v18, s27, v18
	s_wait_xcnt 0x6
	v_subrev_nc_u32_e32 v19, s27, v19
	s_wait_xcnt 0x3
	;; [unrolled: 2-line block ×3, first 2 shown]
	v_subrev_nc_u32_e32 v21, s27, v21
	v_subrev_nc_u32_e32 v22, s27, v22
	s_wait_xcnt 0x1
	v_subrev_nc_u32_e32 v23, s27, v23
	v_subrev_nc_u32_e32 v24, s27, v24
	s_wait_xcnt 0x0
	v_subrev_nc_u32_e32 v25, s27, v25
	v_add_nc_u32_e32 v2, 0x100, v2
	v_dual_lshlrev_b32 v11, 2, v11 :: v_dual_lshlrev_b32 v10, 2, v10
	v_dual_lshlrev_b32 v13, 2, v13 :: v_dual_lshlrev_b32 v12, 2, v12
	v_lshlrev_b32_e32 v17, 2, v17
	s_or_b32 s20, vcc_lo, s20
	v_dual_lshlrev_b32 v14, 2, v14 :: v_dual_lshlrev_b32 v19, 2, v19
	v_dual_lshlrev_b32 v18, 2, v18 :: v_dual_lshlrev_b32 v21, 2, v21
	;; [unrolled: 1-line block ×4, first 2 shown]
	v_lshlrev_b32_e32 v24, 2, v24
	s_wait_loadcnt 0xf
	v_subrev_nc_u32_e32 v1, s9, v1
	s_wait_loadcnt 0xe
	v_subrev_nc_u32_e32 v7, s9, v7
	ds_store_b32 v40, v1 offset:896
	ds_store_b32 v41, v7 offset:896
	s_wait_loadcnt 0xa
	v_subrev_nc_u32_e32 v1, s9, v29
	s_wait_loadcnt 0x9
	v_subrev_nc_u32_e32 v7, s9, v30
	;; [unrolled: 2-line block ×3, first 2 shown]
	v_subrev_nc_u32_e32 v28, s9, v28
	s_wait_loadcnt 0x7
	v_subrev_nc_u32_e32 v30, s9, v32
	v_subrev_nc_u32_e32 v27, s9, v27
	;; [unrolled: 1-line block ×3, first 2 shown]
	s_wait_loadcnt 0x6
	v_subrev_nc_u32_e32 v31, s9, v33
	s_wait_loadcnt 0x3
	v_subrev_nc_u32_e32 v32, s9, v36
	;; [unrolled: 2-line block ×3, first 2 shown]
	v_subrev_nc_u32_e32 v35, s9, v35
	s_wait_loadcnt 0x1
	v_subrev_nc_u32_e32 v36, s9, v38
	v_subrev_nc_u32_e32 v34, s9, v34
	s_wait_loadcnt 0x0
	v_subrev_nc_u32_e32 v37, s9, v39
	ds_store_b32 v11, v7 offset:896
	ds_store_b32 v10, v1 offset:896
	;; [unrolled: 1-line block ×14, first 2 shown]
	s_and_not1_b32 exec_lo, exec_lo, s20
	s_cbranch_execnz .LBB24_5
; %bb.6:
	s_or_b32 exec_lo, exec_lo, s20
.LBB24_7:
	s_delay_alu instid0(SALU_CYCLE_1) | instskip(SKIP_3) | instid1(VALU_DEP_1)
	s_or_b32 exec_lo, exec_lo, s19
	v_and_b32_e32 v1, 7, v5
	s_mov_b32 s20, 0
	s_mov_b32 s19, exec_lo
	v_cmpx_ne_u32_e32 0, v1
	s_cbranch_execz .LBB24_9
.LBB24_8:                               ; =>This Inner Loop Header: Depth=1
	s_clause 0x1
	global_load_b32 v5, v2, s[14:15] scale_offset
	global_load_b32 v6, v3, s[14:15] scale_offset
	v_add_nc_u32_e32 v1, -1, v1
	v_subrev_nc_u32_e32 v7, s27, v2
	v_subrev_nc_u32_e32 v10, s27, v3
	s_wait_xcnt 0x0
	v_dual_add_nc_u32 v3, 32, v3 :: v_dual_add_nc_u32 v2, 32, v2
	v_cmp_eq_u32_e32 vcc_lo, 0, v1
	s_delay_alu instid0(VALU_DEP_3)
	v_dual_lshlrev_b32 v7, 2, v7 :: v_dual_lshlrev_b32 v10, 2, v10
	s_or_b32 s20, vcc_lo, s20
	s_wait_loadcnt 0x1
	v_subrev_nc_u32_e32 v5, s9, v5
	s_wait_loadcnt 0x0
	v_subrev_nc_u32_e32 v6, s9, v6
	ds_store_b32 v7, v5 offset:896
	ds_store_b32 v10, v6 offset:896
	s_and_not1_b32 exec_lo, exec_lo, s20
	s_cbranch_execnz .LBB24_8
.LBB24_9:
	s_or_b32 exec_lo, exec_lo, s19
	v_add_nc_u32_e32 v1, 1, v4
	s_delay_alu instid0(VALU_DEP_1) | instskip(NEXT) | instid1(VALU_DEP_1)
	v_and_b32_e32 v2, 0x1ffffffe, v1
	v_cmp_ne_u32_e32 vcc_lo, v1, v2
	v_lshl_add_u32 v0, v2, 4, v0
	s_or_not1_b32 s19, vcc_lo, exec_lo
.LBB24_10:
	s_or_b32 exec_lo, exec_lo, s18
	s_delay_alu instid0(SALU_CYCLE_1)
	s_and_b32 exec_lo, exec_lo, s19
	s_cbranch_execz .LBB24_13
; %bb.11:
	v_add_nc_u32_e32 v1, s9, v0
	s_delay_alu instid0(VALU_DEP_1) | instskip(SKIP_2) | instid1(VALU_DEP_2)
	v_subrev_nc_u32_e32 v2, s17, v1
	v_ashrrev_i32_e32 v1, 31, v0
	s_mov_b32 s17, 0
	v_lshl_add_u32 v4, v2, 2, 0x380
	s_delay_alu instid0(VALU_DEP_2)
	v_lshl_add_u64 v[2:3], v[0:1], 2, s[14:15]
.LBB24_12:                              ; =>This Inner Loop Header: Depth=1
	global_load_b32 v1, v[2:3], off
	v_add_nc_u32_e32 v0, 16, v0
	s_wait_xcnt 0x0
	v_add_nc_u64_e32 v[2:3], 64, v[2:3]
	s_delay_alu instid0(VALU_DEP_2)
	v_cmp_lt_i32_e32 vcc_lo, s26, v0
	s_or_b32 s17, vcc_lo, s17
	s_wait_loadcnt 0x0
	v_subrev_nc_u32_e32 v1, s9, v1
	ds_store_b32 v4, v1
	v_add_nc_u32_e32 v4, 64, v4
	s_and_not1_b32 exec_lo, exec_lo, s17
	s_cbranch_execnz .LBB24_12
.LBB24_13:
	s_or_b32 exec_lo, exec_lo, s16
	s_load_b64 s[16:17], s[0:1], 0x20
	v_mad_u32_u24 v12, v9, 40, 0x1e0
	v_mov_b64_e32 v[0:1], 0
	s_cmp_lt_i32 s27, s26
	s_delay_alu instid0(VALU_DEP_2)
	v_lshl_add_u32 v10, v8, 3, v12
	ds_store_b64 v10, v[0:1]
	s_wait_dscnt 0x0
	s_cbranch_scc1 .LBB24_17
; %bb.14:
	v_lshl_add_u32 v17, v8, 2, v9
	v_or_b32_e32 v11, v8, v9
	s_mov_b32 s18, 0
	s_branch .LBB24_18
.LBB24_15:
	s_cbranch_execnz .LBB24_96
.LBB24_16:
	s_endpgm
.LBB24_17:
	s_mov_b32 s18, -1
                                        ; implicit-def: $vgpr17
                                        ; implicit-def: $vgpr11
.LBB24_18:
	s_wait_xcnt 0x0
	s_load_b32 s1, s[0:1], 0x0
	v_mad_u32_u24 v14, v9, 40, 0x140
	v_mad_u32_u24 v13, v8, 40, 0x140
	s_and_not1_b32 vcc_lo, exec_lo, s18
	s_cbranch_vccnz .LBB24_61
; %bb.19:
	v_dual_lshlrev_b32 v18, 2, v8 :: v_dual_lshlrev_b32 v0, 3, v8
	s_wait_kmcnt 0x0
	s_cmp_lg_u32 s1, 0
	v_mad_u32_u24 v19, v9, 40, 0xa0
	s_delay_alu instid0(VALU_DEP_2) | instskip(SKIP_2) | instid1(VALU_DEP_2)
	v_dual_add_nc_u32 v17, v18, v9 :: v_dual_bitop2_b32 v11, v8, v9 bitop3:0x54
	s_cselect_b32 s28, -1, 0
	s_cmp_eq_u32 s1, 0
	v_dual_add_nc_u32 v20, v14, v0 :: v_dual_add_nc_u32 v22, v19, v0
	s_cselect_b32 vcc_lo, -1, 0
	v_mad_u32_u24 v21, v9, 40, v0
	v_cmp_ne_u32_e64 s0, 0, v11
	v_dual_cndmask_b32 v23, v17, v15 :: v_dual_mov_b32 v24, 0
	s_mov_b32 s18, s27
	s_branch .LBB24_23
.LBB24_20:                              ;   in Loop: Header=BB24_23 Depth=1
	s_wait_xcnt 0x0
	s_or_b32 exec_lo, exec_lo, s21
	v_mov_b64_e32 v[4:5], 1.0
.LBB24_21:                              ;   in Loop: Header=BB24_23 Depth=1
	s_or_b32 exec_lo, exec_lo, s20
	ds_load_2addr_b64 v[26:29], v14 offset1:1
	ds_load_2addr_b64 v[30:33], v24 offset0:15 offset1:16
	ds_load_b64 v[6:7], v19 offset:24
	s_add_co_i32 s18, s18, 1
	s_delay_alu instid0(SALU_CYCLE_1) | instskip(SKIP_3) | instid1(VALU_DEP_1)
	s_cmp_ge_i32 s18, s26
	s_cselect_b32 s24, -1, 0
	s_wait_dscnt 0x0
	v_fmac_f64_e32 v[6:7], v[30:31], v[26:27]
	v_fmac_f64_e32 v[6:7], v[32:33], v[28:29]
	ds_load_b64 v[26:27], v24 offset:136
	ds_load_b64 v[28:29], v14 offset:16
	s_wait_dscnt 0x0
	v_fmac_f64_e32 v[6:7], v[26:27], v[28:29]
	s_delay_alu instid0(VALU_DEP_1) | instskip(NEXT) | instid1(VALU_DEP_1)
	v_add_f64_e64 v[2:3], v[2:3], -v[6:7]
	v_div_scale_f64 v[6:7], null, v[4:5], v[4:5], v[2:3]
	v_div_scale_f64 v[30:31], vcc_lo, v[2:3], v[4:5], v[2:3]
	s_delay_alu instid0(VALU_DEP_2) | instskip(SKIP_1) | instid1(TRANS32_DEP_1)
	v_rcp_f64_e32 v[26:27], v[6:7]
	v_nop
	v_fma_f64 v[28:29], -v[6:7], v[26:27], 1.0
	s_delay_alu instid0(VALU_DEP_1) | instskip(NEXT) | instid1(VALU_DEP_1)
	v_fmac_f64_e32 v[26:27], v[26:27], v[28:29]
	v_fma_f64 v[28:29], -v[6:7], v[26:27], 1.0
	s_delay_alu instid0(VALU_DEP_1) | instskip(NEXT) | instid1(VALU_DEP_1)
	v_fmac_f64_e32 v[26:27], v[26:27], v[28:29]
	v_mul_f64_e32 v[28:29], v[30:31], v[26:27]
	s_delay_alu instid0(VALU_DEP_1) | instskip(NEXT) | instid1(VALU_DEP_1)
	v_fma_f64 v[6:7], -v[6:7], v[28:29], v[30:31]
	v_div_fmas_f64 v[6:7], v[6:7], v[26:27], v[28:29]
	s_delay_alu instid0(VALU_DEP_1)
	v_div_fixup_f64 v[2:3], v[6:7], v[4:5], v[2:3]
	ds_store_b64 v14, v[2:3] offset:24
	s_wait_storecnt_dscnt 0x0
	ds_load_b64 v[4:5], v13 offset:24
	ds_load_b64 v[6:7], v10
	s_wait_dscnt 0x0
	v_fmac_f64_e32 v[6:7], v[2:3], v[4:5]
	ds_store_b64 v10, v[6:7]
	s_wait_dscnt 0x0
	ds_load_b64 v[2:3], v20
	s_wait_dscnt 0x0
	global_store_b64 v[0:1], v[2:3], off
	global_wb scope:SCOPE_DEV
	s_wait_storecnt 0x0
	global_inv scope:SCOPE_DEV
.LBB24_22:                              ;   in Loop: Header=BB24_23 Depth=1
	s_and_b32 vcc_lo, exec_lo, s24
	s_cbranch_vccnz .LBB24_61
.LBB24_23:                              ; =>This Loop Header: Depth=1
                                        ;     Child Loop BB24_26 Depth 2
                                        ;     Child Loop BB24_37 Depth 2
	;; [unrolled: 1-line block ×3, first 2 shown]
	s_ashr_i32 s19, s18, 31
	s_delay_alu instid0(SALU_CYCLE_1) | instskip(NEXT) | instid1(SALU_CYCLE_1)
	s_lshl_b64 s[20:21], s[18:19], 2
	s_add_nc_u64 s[20:21], s[14:15], s[20:21]
	s_load_b32 s19, s[20:21], 0x0
	s_wait_kmcnt 0x0
	s_sub_co_i32 s22, s19, s9
	s_delay_alu instid0(SALU_CYCLE_1) | instskip(SKIP_2) | instid1(SALU_CYCLE_1)
	s_ashr_i32 s23, s22, 31
	s_wait_xcnt 0x0
	s_lshl_b64 s[20:21], s[22:23], 2
	s_add_nc_u64 s[24:25], s[4:5], s[20:21]
	s_load_b32 s23, s[24:25], 0x0
	s_wait_xcnt 0x0
	s_mov_b32 s24, -1
	s_wait_kmcnt 0x0
	s_cmp_eq_u32 s23, -1
	s_cbranch_scc1 .LBB24_22
; %bb.24:                               ;   in Loop: Header=BB24_23 Depth=1
	v_lshl_add_u32 v0, s18, 4, v23
	s_add_nc_u64 s[24:25], s[12:13], s[20:21]
	ds_load_b32 v1, v24 offset:896
	s_load_b32 s24, s[24:25], 0x0
	global_load_b64 v[2:3], v0, s[16:17] scale_offset
	s_wait_dscnt 0x0
	v_cmp_ge_i32_e32 vcc_lo, s22, v1
	s_wait_kmcnt 0x0
	s_sub_co_i32 s24, s24, s9
	s_delay_alu instid0(SALU_CYCLE_1) | instskip(SKIP_1) | instid1(SALU_CYCLE_1)
	s_cmp_le_i32 s24, s23
	s_cselect_b32 s25, -1, 0
	s_and_b32 s25, s25, vcc_lo
	s_delay_alu instid0(SALU_CYCLE_1)
	s_and_not1_b32 vcc_lo, exec_lo, s25
	s_mov_b32 s25, 0
	s_wait_loadcnt 0x0
	ds_store_b64 v20, v[2:3]
	s_cbranch_vccnz .LBB24_36
; %bb.25:                               ;   in Loop: Header=BB24_23 Depth=1
	s_mov_b32 s29, 0
	s_mov_b32 s30, 0
.LBB24_26:                              ;   Parent Loop BB24_23 Depth=1
                                        ; =>  This Inner Loop Header: Depth=2
	s_ashr_i32 s25, s24, 31
	s_lshl_b32 s31, s30, 2
	s_lshl_b64 s[34:35], s[24:25], 2
	v_mov_b32_e32 v1, s31
	s_add_nc_u64 s[34:35], s[14:15], s[34:35]
                                        ; implicit-def: $sgpr33
	s_load_b32 s25, s[34:35], 0x0
	s_wait_xcnt 0x0
	s_mov_b32 s35, -1
	ds_load_b32 v1, v1 offset:896
                                        ; implicit-def: $sgpr34
	s_wait_kmcnt 0x0
	s_sub_co_i32 s36, s25, s9
                                        ; implicit-def: $sgpr25
	s_wait_dscnt 0x0
	v_readfirstlane_b32 s31, v1
	v_cmp_ge_i32_e32 vcc_lo, s36, v1
	s_cbranch_vccz .LBB24_32
; %bb.27:                               ;   in Loop: Header=BB24_26 Depth=2
	s_cmp_le_i32 s36, s31
                                        ; implicit-def: $sgpr25
                                        ; implicit-def: $sgpr34
                                        ; implicit-def: $sgpr33
	s_cbranch_scc0 .LBB24_29
; %bb.28:                               ;   in Loop: Header=BB24_26 Depth=2
	s_add_co_i32 s25, s30, s27
	s_lshl_b32 s33, s29, 2
	s_lshl_b32 s25, s25, 4
	s_delay_alu instid0(SALU_CYCLE_1)
	v_dual_mov_b32 v1, s33 :: v_dual_mov_b32 v2, s25
	s_lshl_b32 s33, s24, 4
	s_add_co_i32 s34, s24, 1
	v_mov_b32_e32 v3, s33
	s_add_co_i32 s33, s30, 1
	s_add_co_i32 s25, s29, 1
	s_mov_b32 s35, 0
	ds_store_2addr_b32 v1, v3, v2 offset0:160 offset1:192
.LBB24_29:                              ;   in Loop: Header=BB24_26 Depth=2
	s_and_not1_b32 vcc_lo, exec_lo, s35
	s_cbranch_vccnz .LBB24_31
; %bb.30:                               ;   in Loop: Header=BB24_26 Depth=2
	s_add_co_i32 s33, s30, 1
	s_mov_b32 s25, s29
	s_mov_b32 s34, s24
.LBB24_31:                              ;   in Loop: Header=BB24_26 Depth=2
	s_mov_b32 s35, 0
.LBB24_32:                              ;   in Loop: Header=BB24_26 Depth=2
	s_delay_alu instid0(SALU_CYCLE_1)
	s_and_not1_b32 vcc_lo, exec_lo, s35
	s_cbranch_vccnz .LBB24_34
; %bb.33:                               ;   in Loop: Header=BB24_26 Depth=2
	s_add_co_i32 s34, s24, 1
	s_mov_b32 s33, s30
	s_mov_b32 s25, s29
.LBB24_34:                              ;   in Loop: Header=BB24_26 Depth=2
	s_cmp_le_i32 s34, s23
	s_cselect_b32 s24, -1, 0
	s_cmp_le_i32 s31, s22
	s_cselect_b32 s29, -1, 0
	s_delay_alu instid0(SALU_CYCLE_1) | instskip(NEXT) | instid1(SALU_CYCLE_1)
	s_and_b32 s24, s24, s29
	s_and_b32 vcc_lo, exec_lo, s24
	s_cbranch_vccz .LBB24_36
; %bb.35:                               ;   in Loop: Header=BB24_26 Depth=2
	s_mov_b32 s29, s25
	s_mov_b32 s24, s34
	;; [unrolled: 1-line block ×3, first 2 shown]
	s_branch .LBB24_26
.LBB24_36:                              ;   in Loop: Header=BB24_23 Depth=1
	v_ashrrev_i32_e32 v1, 31, v0
	s_add_nc_u64 s[20:21], s[6:7], s[20:21]
	s_wait_dscnt 0x0
	s_wait_xcnt 0x0
	s_delay_alu instid0(VALU_DEP_1)
	v_lshl_add_u64 v[0:1], v[0:1], 3, s[16:17]
.LBB24_37:                              ;   Parent Loop BB24_23 Depth=1
                                        ; =>  This Inner Loop Header: Depth=2
	global_load_b32 v2, v24, s[20:21] scope:SCOPE_DEV
	s_wait_loadcnt 0x0
	v_cmp_eq_u32_e32 vcc_lo, 0, v2
	s_cbranch_vccnz .LBB24_37
; %bb.38:                               ;   in Loop: Header=BB24_23 Depth=1
	v_lshl_add_u32 v2, s23, 4, v23
	global_inv scope:SCOPE_DEV
	v_mov_b64_e32 v[6:7], 0
	s_cmp_lt_i32 s25, 2
	global_load_b64 v[2:3], v2, s[16:17] scale_offset
	s_wait_loadcnt 0x0
	ds_store_b64 v21, v[2:3]
	s_wait_dscnt 0x0
	s_cbranch_scc1 .LBB24_46
; %bb.39:                               ;   in Loop: Header=BB24_23 Depth=1
	v_mov_b64_e32 v[2:3], 0
	s_add_co_i32 s20, s25, -1
	s_movk_i32 s21, 0x280
.LBB24_40:                              ;   Parent Loop BB24_23 Depth=1
                                        ; =>  This Inner Loop Header: Depth=2
	s_wait_dscnt 0x0
	v_mov_b32_e32 v4, s21
	s_and_b32 vcc_lo, exec_lo, s28
	s_mov_b32 s22, -1
                                        ; implicit-def: $vgpr6_vgpr7
	ds_load_2addr_b32 v[4:5], v4 offset1:32
	s_cbranch_vccz .LBB24_43
; %bb.41:                               ;   in Loop: Header=BB24_40 Depth=2
	s_wait_dscnt 0x0
	v_dual_add_nc_u32 v25, v4, v8 :: v_dual_add_nc_u32 v36, v5, v9
	s_clause 0x1
	global_load_b64 v[6:7], v25, s[16:17] scale_offset
	global_load_b64 v[26:27], v36, s[16:17] scale_offset
	v_dual_add_nc_u32 v32, 4, v25 :: v_dual_add_nc_u32 v33, 4, v36
	v_dual_add_nc_u32 v37, 8, v25 :: v_dual_add_nc_u32 v38, 8, v36
	s_clause 0x3
	global_load_b64 v[28:29], v32, s[16:17] scale_offset
	global_load_b64 v[30:31], v33, s[16:17] scale_offset
	;; [unrolled: 1-line block ×4, first 2 shown]
	v_dual_add_nc_u32 v25, 12, v25 :: v_dual_add_nc_u32 v40, 12, v36
	s_clause 0x1
	global_load_b64 v[36:37], v25, s[16:17] scale_offset
	global_load_b64 v[38:39], v40, s[16:17] scale_offset
	s_wait_loadcnt 0x6
	v_fma_f64 v[6:7], v[6:7], v[26:27], v[2:3]
	s_wait_loadcnt 0x4
	s_delay_alu instid0(VALU_DEP_1) | instskip(SKIP_1) | instid1(VALU_DEP_1)
	v_fmac_f64_e32 v[6:7], v[28:29], v[30:31]
	s_wait_loadcnt 0x2
	v_fmac_f64_e32 v[6:7], v[32:33], v[34:35]
	s_wait_loadcnt 0x0
	s_delay_alu instid0(VALU_DEP_1)
	v_fmac_f64_e32 v[6:7], v[36:37], v[38:39]
	s_cbranch_execz .LBB24_44
.LBB24_42:                              ;   in Loop: Header=BB24_40 Depth=2
	s_add_co_i32 s20, s20, -1
	s_add_co_i32 s21, s21, 4
	s_cmp_eq_u32 s20, 0
	s_cbranch_scc0 .LBB24_45
	s_branch .LBB24_46
.LBB24_43:                              ;   in Loop: Header=BB24_40 Depth=2
	s_and_not1_b32 vcc_lo, exec_lo, s22
	s_cbranch_vccnz .LBB24_42
.LBB24_44:                              ;   in Loop: Header=BB24_40 Depth=2
	s_wait_dscnt 0x0
	v_dual_add_nc_u32 v6, v5, v16 :: v_dual_add_nc_u32 v4, v4, v18
	s_delay_alu instid0(VALU_DEP_1) | instskip(NEXT) | instid1(VALU_DEP_1)
	v_dual_ashrrev_i32 v7, 31, v6 :: v_dual_ashrrev_i32 v5, 31, v4
	v_lshl_add_u64 v[38:39], v[6:7], 3, s[16:17]
	s_delay_alu instid0(VALU_DEP_2)
	v_lshl_add_u64 v[40:41], v[4:5], 3, s[16:17]
	s_clause 0x3
	global_load_b128 v[4:7], v[38:39], off
	global_load_b128 v[26:29], v[40:41], off
	global_load_b128 v[30:33], v[40:41], off offset:16
	global_load_b128 v[34:37], v[38:39], off offset:16
	s_wait_loadcnt 0x2
	v_fmac_f64_e32 v[2:3], v[26:27], v[4:5]
	s_delay_alu instid0(VALU_DEP_1) | instskip(SKIP_1) | instid1(VALU_DEP_1)
	v_fmac_f64_e32 v[2:3], v[28:29], v[6:7]
	s_wait_loadcnt 0x0
	v_fmac_f64_e32 v[2:3], v[30:31], v[34:35]
	s_delay_alu instid0(VALU_DEP_1) | instskip(NEXT) | instid1(VALU_DEP_1)
	v_fmac_f64_e32 v[2:3], v[32:33], v[36:37]
	v_mov_b64_e32 v[6:7], v[2:3]
	s_add_co_i32 s20, s20, -1
	s_add_co_i32 s21, s21, 4
	s_cmp_eq_u32 s20, 0
	s_cbranch_scc1 .LBB24_46
.LBB24_45:                              ;   in Loop: Header=BB24_40 Depth=2
	s_delay_alu instid0(VALU_DEP_1)
	v_mov_b64_e32 v[2:3], v[6:7]
	s_branch .LBB24_40
.LBB24_46:                              ;   in Loop: Header=BB24_23 Depth=1
	ds_store_b64 v22, v[6:7]
	s_wait_dscnt 0x0
	ds_load_b64 v[4:5], v24
	ds_load_b64 v[2:3], v14
	s_wait_dscnt 0x1
	v_cmp_neq_f64_e32 vcc_lo, 0, v[4:5]
	v_cndmask_b32_e32 v5, 0x3ff00000, v5, vcc_lo
	v_cndmask_b32_e32 v4, 0, v4, vcc_lo
	s_nor_b32 s21, vcc_lo, s0
	s_delay_alu instid0(SALU_CYCLE_1)
	s_and_saveexec_b32 s20, s21
	s_cbranch_execz .LBB24_50
; %bb.47:                               ;   in Loop: Header=BB24_23 Depth=1
	v_mbcnt_lo_u32_b32 v4, exec_lo, 0
	s_mov_b32 s21, exec_lo
	s_delay_alu instid0(VALU_DEP_1)
	v_cmpx_eq_u32_e32 0, v4
	s_cbranch_execz .LBB24_49
; %bb.48:                               ;   in Loop: Header=BB24_23 Depth=1
	v_mov_b32_e32 v4, s19
	global_atomic_min_i32 v24, v4, s[10:11] scope:SCOPE_DEV
.LBB24_49:                              ;   in Loop: Header=BB24_23 Depth=1
	s_wait_xcnt 0x0
	s_or_b32 exec_lo, exec_lo, s21
	v_mov_b64_e32 v[4:5], 1.0
.LBB24_50:                              ;   in Loop: Header=BB24_23 Depth=1
	s_or_b32 exec_lo, exec_lo, s20
	ds_load_b64 v[6:7], v19
	s_wait_dscnt 0x0
	v_add_f64_e64 v[2:3], v[2:3], -v[6:7]
	s_delay_alu instid0(VALU_DEP_1) | instskip(SKIP_1) | instid1(VALU_DEP_2)
	v_div_scale_f64 v[6:7], null, v[4:5], v[4:5], v[2:3]
	v_div_scale_f64 v[30:31], vcc_lo, v[2:3], v[4:5], v[2:3]
	v_rcp_f64_e32 v[26:27], v[6:7]
	v_nop
	s_delay_alu instid0(TRANS32_DEP_1) | instskip(NEXT) | instid1(VALU_DEP_1)
	v_fma_f64 v[28:29], -v[6:7], v[26:27], 1.0
	v_fmac_f64_e32 v[26:27], v[26:27], v[28:29]
	s_delay_alu instid0(VALU_DEP_1) | instskip(NEXT) | instid1(VALU_DEP_1)
	v_fma_f64 v[28:29], -v[6:7], v[26:27], 1.0
	v_fmac_f64_e32 v[26:27], v[26:27], v[28:29]
	s_delay_alu instid0(VALU_DEP_1) | instskip(NEXT) | instid1(VALU_DEP_1)
	v_mul_f64_e32 v[28:29], v[30:31], v[26:27]
	v_fma_f64 v[6:7], -v[6:7], v[28:29], v[30:31]
	s_delay_alu instid0(VALU_DEP_1) | instskip(NEXT) | instid1(VALU_DEP_1)
	v_div_fmas_f64 v[6:7], v[6:7], v[26:27], v[28:29]
	v_div_fixup_f64 v[2:3], v[6:7], v[4:5], v[2:3]
	ds_store_b64 v14, v[2:3]
	s_wait_storecnt_dscnt 0x0
	ds_load_b64 v[4:5], v13
	ds_load_b64 v[6:7], v10
	s_wait_dscnt 0x0
	v_fmac_f64_e32 v[6:7], v[2:3], v[4:5]
	ds_store_b64 v10, v[6:7]
	s_wait_dscnt 0x0
	ds_load_b64 v[4:5], v24 offset:48
	ds_load_b64 v[2:3], v14 offset:8
	s_wait_dscnt 0x1
	v_cmp_neq_f64_e32 vcc_lo, 0, v[4:5]
	v_cndmask_b32_e32 v5, 0x3ff00000, v5, vcc_lo
	v_cndmask_b32_e32 v4, 0, v4, vcc_lo
	s_nor_b32 s21, vcc_lo, s0
	s_delay_alu instid0(SALU_CYCLE_1)
	s_and_saveexec_b32 s20, s21
	s_cbranch_execz .LBB24_54
; %bb.51:                               ;   in Loop: Header=BB24_23 Depth=1
	v_mbcnt_lo_u32_b32 v4, exec_lo, 0
	s_mov_b32 s21, exec_lo
	s_delay_alu instid0(VALU_DEP_1)
	v_cmpx_eq_u32_e32 0, v4
	s_cbranch_execz .LBB24_53
; %bb.52:                               ;   in Loop: Header=BB24_23 Depth=1
	v_mov_b32_e32 v4, s19
	global_atomic_min_i32 v24, v4, s[10:11] scope:SCOPE_DEV
.LBB24_53:                              ;   in Loop: Header=BB24_23 Depth=1
	s_wait_xcnt 0x0
	s_or_b32 exec_lo, exec_lo, s21
	v_mov_b64_e32 v[4:5], 1.0
.LBB24_54:                              ;   in Loop: Header=BB24_23 Depth=1
	s_or_b32 exec_lo, exec_lo, s20
	ds_load_b64 v[6:7], v24 offset:40
	ds_load_b64 v[26:27], v14
	ds_load_b64 v[28:29], v19 offset:8
	s_wait_dscnt 0x0
	v_fmac_f64_e32 v[28:29], v[6:7], v[26:27]
	s_delay_alu instid0(VALU_DEP_1) | instskip(NEXT) | instid1(VALU_DEP_1)
	v_add_f64_e64 v[2:3], v[2:3], -v[28:29]
	v_div_scale_f64 v[6:7], null, v[4:5], v[4:5], v[2:3]
	v_div_scale_f64 v[30:31], vcc_lo, v[2:3], v[4:5], v[2:3]
	s_delay_alu instid0(VALU_DEP_2) | instskip(SKIP_1) | instid1(TRANS32_DEP_1)
	v_rcp_f64_e32 v[26:27], v[6:7]
	v_nop
	v_fma_f64 v[28:29], -v[6:7], v[26:27], 1.0
	s_delay_alu instid0(VALU_DEP_1) | instskip(NEXT) | instid1(VALU_DEP_1)
	v_fmac_f64_e32 v[26:27], v[26:27], v[28:29]
	v_fma_f64 v[28:29], -v[6:7], v[26:27], 1.0
	s_delay_alu instid0(VALU_DEP_1) | instskip(NEXT) | instid1(VALU_DEP_1)
	v_fmac_f64_e32 v[26:27], v[26:27], v[28:29]
	v_mul_f64_e32 v[28:29], v[30:31], v[26:27]
	s_delay_alu instid0(VALU_DEP_1) | instskip(NEXT) | instid1(VALU_DEP_1)
	v_fma_f64 v[6:7], -v[6:7], v[28:29], v[30:31]
	v_div_fmas_f64 v[6:7], v[6:7], v[26:27], v[28:29]
	s_delay_alu instid0(VALU_DEP_1)
	v_div_fixup_f64 v[2:3], v[6:7], v[4:5], v[2:3]
	ds_store_b64 v14, v[2:3] offset:8
	s_wait_storecnt_dscnt 0x0
	ds_load_b64 v[4:5], v13 offset:8
	ds_load_b64 v[6:7], v10
	s_wait_dscnt 0x0
	v_fmac_f64_e32 v[6:7], v[2:3], v[4:5]
	ds_store_b64 v10, v[6:7]
	s_wait_dscnt 0x0
	ds_load_b64 v[4:5], v24 offset:96
	ds_load_b64 v[2:3], v14 offset:16
	s_wait_dscnt 0x1
	v_cmp_neq_f64_e32 vcc_lo, 0, v[4:5]
	v_cndmask_b32_e32 v5, 0x3ff00000, v5, vcc_lo
	v_cndmask_b32_e32 v4, 0, v4, vcc_lo
	s_nor_b32 s21, vcc_lo, s0
	s_delay_alu instid0(SALU_CYCLE_1)
	s_and_saveexec_b32 s20, s21
	s_cbranch_execz .LBB24_58
; %bb.55:                               ;   in Loop: Header=BB24_23 Depth=1
	v_mbcnt_lo_u32_b32 v4, exec_lo, 0
	s_mov_b32 s21, exec_lo
	s_delay_alu instid0(VALU_DEP_1)
	v_cmpx_eq_u32_e32 0, v4
	s_cbranch_execz .LBB24_57
; %bb.56:                               ;   in Loop: Header=BB24_23 Depth=1
	v_mov_b32_e32 v4, s19
	global_atomic_min_i32 v24, v4, s[10:11] scope:SCOPE_DEV
.LBB24_57:                              ;   in Loop: Header=BB24_23 Depth=1
	s_wait_xcnt 0x0
	s_or_b32 exec_lo, exec_lo, s21
	v_mov_b64_e32 v[4:5], 1.0
.LBB24_58:                              ;   in Loop: Header=BB24_23 Depth=1
	s_or_b32 exec_lo, exec_lo, s20
	ds_load_2addr_b64 v[26:29], v14 offset1:1
	ds_load_b128 v[30:33], v24 offset:80
	ds_load_b64 v[6:7], v19 offset:16
	s_wait_dscnt 0x0
	v_fmac_f64_e32 v[6:7], v[30:31], v[26:27]
	s_delay_alu instid0(VALU_DEP_1) | instskip(NEXT) | instid1(VALU_DEP_1)
	v_fmac_f64_e32 v[6:7], v[32:33], v[28:29]
	v_add_f64_e64 v[2:3], v[2:3], -v[6:7]
	s_delay_alu instid0(VALU_DEP_1) | instskip(SKIP_1) | instid1(VALU_DEP_2)
	v_div_scale_f64 v[6:7], null, v[4:5], v[4:5], v[2:3]
	v_div_scale_f64 v[30:31], vcc_lo, v[2:3], v[4:5], v[2:3]
	v_rcp_f64_e32 v[26:27], v[6:7]
	v_nop
	s_delay_alu instid0(TRANS32_DEP_1) | instskip(NEXT) | instid1(VALU_DEP_1)
	v_fma_f64 v[28:29], -v[6:7], v[26:27], 1.0
	v_fmac_f64_e32 v[26:27], v[26:27], v[28:29]
	s_delay_alu instid0(VALU_DEP_1) | instskip(NEXT) | instid1(VALU_DEP_1)
	v_fma_f64 v[28:29], -v[6:7], v[26:27], 1.0
	v_fmac_f64_e32 v[26:27], v[26:27], v[28:29]
	s_delay_alu instid0(VALU_DEP_1) | instskip(NEXT) | instid1(VALU_DEP_1)
	v_mul_f64_e32 v[28:29], v[30:31], v[26:27]
	v_fma_f64 v[6:7], -v[6:7], v[28:29], v[30:31]
	s_delay_alu instid0(VALU_DEP_1) | instskip(NEXT) | instid1(VALU_DEP_1)
	v_div_fmas_f64 v[6:7], v[6:7], v[26:27], v[28:29]
	v_div_fixup_f64 v[2:3], v[6:7], v[4:5], v[2:3]
	ds_store_b64 v14, v[2:3] offset:16
	s_wait_storecnt_dscnt 0x0
	ds_load_b64 v[4:5], v13 offset:16
	ds_load_b64 v[6:7], v10
	s_wait_dscnt 0x0
	v_fmac_f64_e32 v[6:7], v[2:3], v[4:5]
	ds_store_b64 v10, v[6:7]
	s_wait_dscnt 0x0
	ds_load_b64 v[4:5], v24 offset:144
	ds_load_b64 v[2:3], v14 offset:24
	s_wait_dscnt 0x1
	v_cmp_neq_f64_e32 vcc_lo, 0, v[4:5]
	v_cndmask_b32_e32 v5, 0x3ff00000, v5, vcc_lo
	v_cndmask_b32_e32 v4, 0, v4, vcc_lo
	s_nor_b32 s21, vcc_lo, s0
	s_delay_alu instid0(SALU_CYCLE_1)
	s_and_saveexec_b32 s20, s21
	s_cbranch_execz .LBB24_21
; %bb.59:                               ;   in Loop: Header=BB24_23 Depth=1
	v_mbcnt_lo_u32_b32 v4, exec_lo, 0
	s_mov_b32 s21, exec_lo
	s_delay_alu instid0(VALU_DEP_1)
	v_cmpx_eq_u32_e32 0, v4
	s_cbranch_execz .LBB24_20
; %bb.60:                               ;   in Loop: Header=BB24_23 Depth=1
	v_mov_b32_e32 v4, s19
	global_atomic_min_i32 v24, v4, s[10:11] scope:SCOPE_DEV
	s_branch .LBB24_20
.LBB24_61:
	s_wait_kmcnt 0x0
	s_cmp_eq_u32 s1, 0
	v_lshl_add_u32 v4, v8, 3, v14
	s_cselect_b32 vcc_lo, -1, 0
	s_mov_b32 s1, exec_lo
	v_cndmask_b32_e32 v0, v17, v15, vcc_lo
	v_cmp_ne_u32_e32 vcc_lo, 0, v9
	s_delay_alu instid0(VALU_DEP_2)
	v_lshl_add_u32 v0, s26, 4, v0
	global_load_b64 v[2:3], v0, s[16:17] scale_offset
	s_wait_loadcnt 0x0
	ds_store_b64 v4, v[2:3]
	s_wait_dscnt 0x0
	v_cmpx_eq_u32_e32 0, v9
	s_cbranch_execz .LBB24_63
; %bb.62:
	v_mov_b32_e32 v1, 0
	ds_load_2addr_b64 v[16:19], v1 offset0:40 offset1:60
	s_wait_dscnt 0x0
	v_add_f64_e64 v[2:3], v[16:17], -v[18:19]
	s_delay_alu instid0(VALU_DEP_1) | instskip(SKIP_1) | instid1(VALU_DEP_1)
	v_cmp_gt_f64_e64 s0, 0, v[2:3]
	v_xor_b32_e32 v5, 0x80000000, v3
	v_cndmask_b32_e64 v3, v3, v5, s0
	s_delay_alu instid0(VALU_DEP_1) | instskip(SKIP_2) | instid1(SALU_CYCLE_1)
	v_cmp_gt_f64_e64 s0, 0x10000000, v[2:3]
	s_and_b32 s0, s0, exec_lo
	s_cselect_b32 s0, 0x100, 0
	v_ldexp_f64 v[2:3], v[2:3], s0
	s_cselect_b32 s0, 0xffffff80, 0
	s_delay_alu instid0(VALU_DEP_1) | instskip(SKIP_1) | instid1(TRANS32_DEP_1)
	v_rsq_f64_e32 v[6:7], v[2:3]
	v_nop
	v_mul_f64_e32 v[16:17], v[2:3], v[6:7]
	v_mul_f64_e32 v[6:7], 0.5, v[6:7]
	s_delay_alu instid0(VALU_DEP_1) | instskip(NEXT) | instid1(VALU_DEP_1)
	v_fma_f64 v[18:19], -v[6:7], v[16:17], 0.5
	v_fmac_f64_e32 v[16:17], v[16:17], v[18:19]
	v_fmac_f64_e32 v[6:7], v[6:7], v[18:19]
	s_delay_alu instid0(VALU_DEP_2) | instskip(NEXT) | instid1(VALU_DEP_1)
	v_fma_f64 v[18:19], -v[16:17], v[16:17], v[2:3]
	v_fmac_f64_e32 v[16:17], v[18:19], v[6:7]
	s_delay_alu instid0(VALU_DEP_1) | instskip(NEXT) | instid1(VALU_DEP_1)
	v_fma_f64 v[18:19], -v[16:17], v[16:17], v[2:3]
	v_fmac_f64_e32 v[16:17], v[18:19], v[6:7]
	s_delay_alu instid0(VALU_DEP_1) | instskip(SKIP_1) | instid1(VALU_DEP_1)
	v_ldexp_f64 v[6:7], v[16:17], s0
	v_cmp_class_f64_e64 s0, v[2:3], 0x260
	v_dual_cndmask_b32 v3, v7, v3, s0 :: v_dual_cndmask_b32 v2, v6, v2, s0
	ds_store_b64 v1, v[2:3] offset:320
.LBB24_63:
	s_or_b32 exec_lo, exec_lo, s1
	v_mov_b32_e32 v1, 0
	s_wait_dscnt 0x0
	v_cmp_ne_u32_e64 s0, 0, v11
	s_add_co_i32 s4, s8, s9
	ds_load_b64 v[2:3], v1 offset:320
	s_wait_dscnt 0x0
	v_cmp_neq_f64_e64 s1, 0, v[2:3]
	s_delay_alu instid0(VALU_DEP_1) | instskip(SKIP_2) | instid1(SALU_CYCLE_1)
	v_cndmask_b32_e64 v3, 0x3ff00000, v3, s1
	v_cndmask_b32_e64 v2, 0, v2, s1
	s_nor_b32 s1, s1, s0
	s_and_saveexec_b32 s5, s1
	s_cbranch_execz .LBB24_67
; %bb.64:
	v_mbcnt_lo_u32_b32 v1, exec_lo, 0
	s_mov_b32 s12, exec_lo
	s_delay_alu instid0(VALU_DEP_1)
	v_cmpx_eq_u32_e32 0, v1
	s_cbranch_execz .LBB24_66
; %bb.65:
	v_dual_mov_b32 v1, 0 :: v_dual_mov_b32 v2, s4
	global_atomic_min_i32 v1, v2, s[10:11] scope:SCOPE_DEV
.LBB24_66:
	s_wait_xcnt 0x0
	s_or_b32 exec_lo, exec_lo, s12
	v_mov_b64_e32 v[2:3], 1.0
.LBB24_67:
	s_or_b32 exec_lo, exec_lo, s5
	s_and_saveexec_b32 s1, vcc_lo
	s_cbranch_execz .LBB24_69
; %bb.68:
	ds_load_b64 v[6:7], v14
	ds_load_b64 v[16:17], v12
	s_wait_dscnt 0x0
	v_add_f64_e64 v[6:7], v[6:7], -v[16:17]
	s_delay_alu instid0(VALU_DEP_1) | instskip(SKIP_1) | instid1(VALU_DEP_2)
	v_div_scale_f64 v[16:17], null, v[2:3], v[2:3], v[6:7]
	v_div_scale_f64 v[22:23], vcc_lo, v[6:7], v[2:3], v[6:7]
	v_rcp_f64_e32 v[18:19], v[16:17]
	v_nop
	s_delay_alu instid0(TRANS32_DEP_1) | instskip(NEXT) | instid1(VALU_DEP_1)
	v_fma_f64 v[20:21], -v[16:17], v[18:19], 1.0
	v_fmac_f64_e32 v[18:19], v[18:19], v[20:21]
	s_delay_alu instid0(VALU_DEP_1) | instskip(NEXT) | instid1(VALU_DEP_1)
	v_fma_f64 v[20:21], -v[16:17], v[18:19], 1.0
	v_fmac_f64_e32 v[18:19], v[18:19], v[20:21]
	s_delay_alu instid0(VALU_DEP_1) | instskip(NEXT) | instid1(VALU_DEP_1)
	v_mul_f64_e32 v[20:21], v[22:23], v[18:19]
	v_fma_f64 v[16:17], -v[16:17], v[20:21], v[22:23]
	s_delay_alu instid0(VALU_DEP_1) | instskip(NEXT) | instid1(VALU_DEP_1)
	v_div_fmas_f64 v[16:17], v[16:17], v[18:19], v[20:21]
	v_div_fixup_f64 v[2:3], v[16:17], v[2:3], v[6:7]
	ds_store_b64 v14, v[2:3]
	s_wait_storecnt_dscnt 0x0
	ds_load_b64 v[6:7], v13
	ds_load_b64 v[16:17], v10
	s_wait_dscnt 0x0
	v_fmac_f64_e32 v[16:17], v[2:3], v[6:7]
	ds_store_b64 v10, v[16:17]
.LBB24_69:
	s_or_b32 exec_lo, exec_lo, s1
	s_delay_alu instid0(SALU_CYCLE_1)
	s_mov_b32 s1, exec_lo
	s_wait_storecnt_dscnt 0x0
	v_cmpx_eq_u32_e32 1, v9
	s_cbranch_execz .LBB24_71
; %bb.70:
	v_mov_b32_e32 v1, 0
	ds_load_2addr_b64 v[16:19], v1 offset0:46 offset1:66
	s_wait_dscnt 0x0
	v_add_f64_e64 v[2:3], v[16:17], -v[18:19]
	s_delay_alu instid0(VALU_DEP_1) | instskip(SKIP_1) | instid1(VALU_DEP_1)
	v_cmp_gt_f64_e32 vcc_lo, 0, v[2:3]
	v_xor_b32_e32 v5, 0x80000000, v3
	v_cndmask_b32_e32 v3, v3, v5, vcc_lo
	s_delay_alu instid0(VALU_DEP_1) | instskip(SKIP_2) | instid1(SALU_CYCLE_1)
	v_cmp_gt_f64_e32 vcc_lo, 0x10000000, v[2:3]
	s_and_b32 s5, vcc_lo, exec_lo
	s_cselect_b32 s5, 0x100, 0
	v_ldexp_f64 v[2:3], v[2:3], s5
	s_cselect_b32 s5, 0xffffff80, 0
	s_delay_alu instid0(VALU_DEP_1) | instskip(SKIP_1) | instid1(TRANS32_DEP_1)
	v_rsq_f64_e32 v[6:7], v[2:3]
	v_cmp_class_f64_e64 vcc_lo, v[2:3], 0x260
	v_mul_f64_e32 v[16:17], v[2:3], v[6:7]
	v_mul_f64_e32 v[6:7], 0.5, v[6:7]
	s_delay_alu instid0(VALU_DEP_1) | instskip(NEXT) | instid1(VALU_DEP_1)
	v_fma_f64 v[18:19], -v[6:7], v[16:17], 0.5
	v_fmac_f64_e32 v[16:17], v[16:17], v[18:19]
	v_fmac_f64_e32 v[6:7], v[6:7], v[18:19]
	s_delay_alu instid0(VALU_DEP_2) | instskip(NEXT) | instid1(VALU_DEP_1)
	v_fma_f64 v[18:19], -v[16:17], v[16:17], v[2:3]
	v_fmac_f64_e32 v[16:17], v[18:19], v[6:7]
	s_delay_alu instid0(VALU_DEP_1) | instskip(NEXT) | instid1(VALU_DEP_1)
	v_fma_f64 v[18:19], -v[16:17], v[16:17], v[2:3]
	v_fmac_f64_e32 v[16:17], v[18:19], v[6:7]
	s_delay_alu instid0(VALU_DEP_1) | instskip(NEXT) | instid1(VALU_DEP_1)
	v_ldexp_f64 v[6:7], v[16:17], s5
	v_dual_cndmask_b32 v3, v7, v3 :: v_dual_cndmask_b32 v2, v6, v2
	ds_store_b64 v1, v[2:3] offset:368
.LBB24_71:
	s_or_b32 exec_lo, exec_lo, s1
	v_mov_b32_e32 v1, 0
	s_wait_dscnt 0x0
	ds_load_b64 v[2:3], v1 offset:368
	s_wait_dscnt 0x0
	v_cmp_neq_f64_e32 vcc_lo, 0, v[2:3]
	v_cndmask_b32_e32 v3, 0x3ff00000, v3, vcc_lo
	v_cndmask_b32_e32 v2, 0, v2, vcc_lo
	s_nor_b32 s5, vcc_lo, s0
	s_delay_alu instid0(SALU_CYCLE_1)
	s_and_saveexec_b32 s1, s5
	s_cbranch_execz .LBB24_75
; %bb.72:
	v_mbcnt_lo_u32_b32 v1, exec_lo, 0
	s_mov_b32 s5, exec_lo
	s_delay_alu instid0(VALU_DEP_1)
	v_cmpx_eq_u32_e32 0, v1
	s_cbranch_execz .LBB24_74
; %bb.73:
	v_dual_mov_b32 v1, 0 :: v_dual_mov_b32 v2, s4
	global_atomic_min_i32 v1, v2, s[10:11] scope:SCOPE_DEV
.LBB24_74:
	s_wait_xcnt 0x0
	s_or_b32 exec_lo, exec_lo, s5
	v_mov_b64_e32 v[2:3], 1.0
.LBB24_75:
	s_or_b32 exec_lo, exec_lo, s1
	s_delay_alu instid0(SALU_CYCLE_1)
	s_mov_b32 s1, exec_lo
	v_cmpx_lt_u32_e32 1, v9
	s_cbranch_execz .LBB24_77
; %bb.76:
	ds_load_b64 v[6:7], v14 offset:8
	ds_load_b64 v[16:17], v12 offset:8
	s_wait_dscnt 0x0
	v_add_f64_e64 v[6:7], v[6:7], -v[16:17]
	s_delay_alu instid0(VALU_DEP_1) | instskip(SKIP_1) | instid1(VALU_DEP_2)
	v_div_scale_f64 v[16:17], null, v[2:3], v[2:3], v[6:7]
	v_div_scale_f64 v[22:23], vcc_lo, v[6:7], v[2:3], v[6:7]
	v_rcp_f64_e32 v[18:19], v[16:17]
	v_nop
	s_delay_alu instid0(TRANS32_DEP_1) | instskip(NEXT) | instid1(VALU_DEP_1)
	v_fma_f64 v[20:21], -v[16:17], v[18:19], 1.0
	v_fmac_f64_e32 v[18:19], v[18:19], v[20:21]
	s_delay_alu instid0(VALU_DEP_1) | instskip(NEXT) | instid1(VALU_DEP_1)
	v_fma_f64 v[20:21], -v[16:17], v[18:19], 1.0
	v_fmac_f64_e32 v[18:19], v[18:19], v[20:21]
	s_delay_alu instid0(VALU_DEP_1) | instskip(NEXT) | instid1(VALU_DEP_1)
	v_mul_f64_e32 v[20:21], v[22:23], v[18:19]
	v_fma_f64 v[16:17], -v[16:17], v[20:21], v[22:23]
	s_delay_alu instid0(VALU_DEP_1) | instskip(NEXT) | instid1(VALU_DEP_1)
	v_div_fmas_f64 v[16:17], v[16:17], v[18:19], v[20:21]
	v_div_fixup_f64 v[2:3], v[16:17], v[2:3], v[6:7]
	ds_store_b64 v14, v[2:3] offset:8
	s_wait_storecnt_dscnt 0x0
	ds_load_b64 v[6:7], v13 offset:8
	ds_load_b64 v[16:17], v10
	s_wait_dscnt 0x0
	v_fmac_f64_e32 v[16:17], v[2:3], v[6:7]
	ds_store_b64 v10, v[16:17]
.LBB24_77:
	s_or_b32 exec_lo, exec_lo, s1
	s_delay_alu instid0(SALU_CYCLE_1)
	s_mov_b32 s1, exec_lo
	s_wait_storecnt_dscnt 0x0
	v_cmpx_eq_u32_e32 2, v9
	s_cbranch_execz .LBB24_79
; %bb.78:
	v_mov_b32_e32 v1, 0
	ds_load_2addr_b64 v[16:19], v1 offset0:52 offset1:72
	s_wait_dscnt 0x0
	v_add_f64_e64 v[2:3], v[16:17], -v[18:19]
	s_delay_alu instid0(VALU_DEP_1) | instskip(SKIP_1) | instid1(VALU_DEP_1)
	v_cmp_gt_f64_e32 vcc_lo, 0, v[2:3]
	v_xor_b32_e32 v5, 0x80000000, v3
	v_cndmask_b32_e32 v3, v3, v5, vcc_lo
	s_delay_alu instid0(VALU_DEP_1) | instskip(SKIP_2) | instid1(SALU_CYCLE_1)
	v_cmp_gt_f64_e32 vcc_lo, 0x10000000, v[2:3]
	s_and_b32 s5, vcc_lo, exec_lo
	s_cselect_b32 s5, 0x100, 0
	v_ldexp_f64 v[2:3], v[2:3], s5
	s_cselect_b32 s5, 0xffffff80, 0
	s_delay_alu instid0(VALU_DEP_1) | instskip(SKIP_1) | instid1(TRANS32_DEP_1)
	v_rsq_f64_e32 v[6:7], v[2:3]
	v_cmp_class_f64_e64 vcc_lo, v[2:3], 0x260
	v_mul_f64_e32 v[16:17], v[2:3], v[6:7]
	v_mul_f64_e32 v[6:7], 0.5, v[6:7]
	s_delay_alu instid0(VALU_DEP_1) | instskip(NEXT) | instid1(VALU_DEP_1)
	v_fma_f64 v[18:19], -v[6:7], v[16:17], 0.5
	v_fmac_f64_e32 v[16:17], v[16:17], v[18:19]
	v_fmac_f64_e32 v[6:7], v[6:7], v[18:19]
	s_delay_alu instid0(VALU_DEP_2) | instskip(NEXT) | instid1(VALU_DEP_1)
	v_fma_f64 v[18:19], -v[16:17], v[16:17], v[2:3]
	v_fmac_f64_e32 v[16:17], v[18:19], v[6:7]
	s_delay_alu instid0(VALU_DEP_1) | instskip(NEXT) | instid1(VALU_DEP_1)
	v_fma_f64 v[18:19], -v[16:17], v[16:17], v[2:3]
	v_fmac_f64_e32 v[16:17], v[18:19], v[6:7]
	s_delay_alu instid0(VALU_DEP_1) | instskip(NEXT) | instid1(VALU_DEP_1)
	v_ldexp_f64 v[6:7], v[16:17], s5
	v_dual_cndmask_b32 v3, v7, v3 :: v_dual_cndmask_b32 v2, v6, v2
	ds_store_b64 v1, v[2:3] offset:416
.LBB24_79:
	s_or_b32 exec_lo, exec_lo, s1
	v_mov_b32_e32 v1, 0
	s_wait_dscnt 0x0
	ds_load_b64 v[2:3], v1 offset:416
	s_wait_dscnt 0x0
	v_cmp_neq_f64_e32 vcc_lo, 0, v[2:3]
	v_cndmask_b32_e32 v3, 0x3ff00000, v3, vcc_lo
	v_cndmask_b32_e32 v2, 0, v2, vcc_lo
	s_nor_b32 s5, vcc_lo, s0
	s_delay_alu instid0(SALU_CYCLE_1)
	s_and_saveexec_b32 s1, s5
	s_cbranch_execz .LBB24_83
; %bb.80:
	v_mbcnt_lo_u32_b32 v1, exec_lo, 0
	s_mov_b32 s5, exec_lo
	s_delay_alu instid0(VALU_DEP_1)
	v_cmpx_eq_u32_e32 0, v1
	s_cbranch_execz .LBB24_82
; %bb.81:
	v_dual_mov_b32 v1, 0 :: v_dual_mov_b32 v2, s4
	global_atomic_min_i32 v1, v2, s[10:11] scope:SCOPE_DEV
.LBB24_82:
	s_wait_xcnt 0x0
	s_or_b32 exec_lo, exec_lo, s5
	v_mov_b64_e32 v[2:3], 1.0
.LBB24_83:
	s_or_b32 exec_lo, exec_lo, s1
	s_delay_alu instid0(SALU_CYCLE_1)
	s_mov_b32 s1, exec_lo
	v_cmpx_lt_u32_e32 2, v9
	s_cbranch_execz .LBB24_85
; %bb.84:
	ds_load_b64 v[6:7], v14 offset:16
	ds_load_b64 v[16:17], v12 offset:16
	s_wait_dscnt 0x0
	v_add_f64_e64 v[6:7], v[6:7], -v[16:17]
	s_delay_alu instid0(VALU_DEP_1) | instskip(SKIP_1) | instid1(VALU_DEP_2)
	v_div_scale_f64 v[16:17], null, v[2:3], v[2:3], v[6:7]
	v_div_scale_f64 v[22:23], vcc_lo, v[6:7], v[2:3], v[6:7]
	v_rcp_f64_e32 v[18:19], v[16:17]
	v_nop
	s_delay_alu instid0(TRANS32_DEP_1) | instskip(NEXT) | instid1(VALU_DEP_1)
	v_fma_f64 v[20:21], -v[16:17], v[18:19], 1.0
	v_fmac_f64_e32 v[18:19], v[18:19], v[20:21]
	s_delay_alu instid0(VALU_DEP_1) | instskip(NEXT) | instid1(VALU_DEP_1)
	v_fma_f64 v[20:21], -v[16:17], v[18:19], 1.0
	v_fmac_f64_e32 v[18:19], v[18:19], v[20:21]
	s_delay_alu instid0(VALU_DEP_1) | instskip(NEXT) | instid1(VALU_DEP_1)
	v_mul_f64_e32 v[20:21], v[22:23], v[18:19]
	v_fma_f64 v[16:17], -v[16:17], v[20:21], v[22:23]
	s_delay_alu instid0(VALU_DEP_1) | instskip(NEXT) | instid1(VALU_DEP_1)
	v_div_fmas_f64 v[16:17], v[16:17], v[18:19], v[20:21]
	v_div_fixup_f64 v[2:3], v[16:17], v[2:3], v[6:7]
	ds_store_b64 v14, v[2:3] offset:16
	s_wait_storecnt_dscnt 0x0
	ds_load_b64 v[6:7], v13 offset:16
	ds_load_b64 v[16:17], v10
	s_wait_dscnt 0x0
	v_fmac_f64_e32 v[16:17], v[2:3], v[6:7]
	ds_store_b64 v10, v[16:17]
.LBB24_85:
	s_or_b32 exec_lo, exec_lo, s1
	v_ashrrev_i32_e32 v1, 31, v0
	s_mov_b32 s1, exec_lo
	s_wait_storecnt_dscnt 0x0
	v_cmpx_eq_u32_e32 3, v9
	s_cbranch_execz .LBB24_87
; %bb.86:
	v_mov_b32_e32 v5, 0
	ds_load_2addr_b64 v[16:19], v5 offset0:58 offset1:78
	s_wait_dscnt 0x0
	v_add_f64_e64 v[2:3], v[16:17], -v[18:19]
	s_delay_alu instid0(VALU_DEP_1) | instskip(SKIP_1) | instid1(VALU_DEP_1)
	v_cmp_gt_f64_e32 vcc_lo, 0, v[2:3]
	v_xor_b32_e32 v6, 0x80000000, v3
	v_cndmask_b32_e32 v3, v3, v6, vcc_lo
	s_delay_alu instid0(VALU_DEP_1) | instskip(SKIP_2) | instid1(SALU_CYCLE_1)
	v_cmp_gt_f64_e32 vcc_lo, 0x10000000, v[2:3]
	s_and_b32 s5, vcc_lo, exec_lo
	s_cselect_b32 s5, 0x100, 0
	v_ldexp_f64 v[2:3], v[2:3], s5
	s_cselect_b32 s5, 0xffffff80, 0
	s_delay_alu instid0(VALU_DEP_1) | instskip(SKIP_1) | instid1(TRANS32_DEP_1)
	v_rsq_f64_e32 v[6:7], v[2:3]
	v_cmp_class_f64_e64 vcc_lo, v[2:3], 0x260
	v_mul_f64_e32 v[16:17], v[2:3], v[6:7]
	v_mul_f64_e32 v[6:7], 0.5, v[6:7]
	s_delay_alu instid0(VALU_DEP_1) | instskip(NEXT) | instid1(VALU_DEP_1)
	v_fma_f64 v[18:19], -v[6:7], v[16:17], 0.5
	v_fmac_f64_e32 v[16:17], v[16:17], v[18:19]
	v_fmac_f64_e32 v[6:7], v[6:7], v[18:19]
	s_delay_alu instid0(VALU_DEP_2) | instskip(NEXT) | instid1(VALU_DEP_1)
	v_fma_f64 v[18:19], -v[16:17], v[16:17], v[2:3]
	v_fmac_f64_e32 v[16:17], v[18:19], v[6:7]
	s_delay_alu instid0(VALU_DEP_1) | instskip(NEXT) | instid1(VALU_DEP_1)
	v_fma_f64 v[18:19], -v[16:17], v[16:17], v[2:3]
	v_fmac_f64_e32 v[16:17], v[18:19], v[6:7]
	s_delay_alu instid0(VALU_DEP_1) | instskip(NEXT) | instid1(VALU_DEP_1)
	v_ldexp_f64 v[6:7], v[16:17], s5
	v_dual_cndmask_b32 v3, v7, v3 :: v_dual_cndmask_b32 v2, v6, v2
	ds_store_b64 v5, v[2:3] offset:464
.LBB24_87:
	s_or_b32 exec_lo, exec_lo, s1
	v_mov_b32_e32 v2, 0
	s_wait_dscnt 0x0
	ds_load_b64 v[2:3], v2 offset:464
	s_wait_dscnt 0x0
	v_cmp_neq_f64_e32 vcc_lo, 0, v[2:3]
	v_cndmask_b32_e32 v3, 0x3ff00000, v3, vcc_lo
	v_cndmask_b32_e32 v2, 0, v2, vcc_lo
	s_nor_b32 s1, vcc_lo, s0
	s_delay_alu instid0(SALU_CYCLE_1)
	s_and_saveexec_b32 s0, s1
	s_cbranch_execz .LBB24_91
; %bb.88:
	v_mbcnt_lo_u32_b32 v2, exec_lo, 0
	s_mov_b32 s1, exec_lo
	s_delay_alu instid0(VALU_DEP_1)
	v_cmpx_eq_u32_e32 0, v2
	s_cbranch_execz .LBB24_90
; %bb.89:
	v_dual_mov_b32 v2, 0 :: v_dual_mov_b32 v3, s4
	global_atomic_min_i32 v2, v3, s[10:11] scope:SCOPE_DEV
.LBB24_90:
	s_wait_xcnt 0x0
	s_or_b32 exec_lo, exec_lo, s1
	v_mov_b64_e32 v[2:3], 1.0
.LBB24_91:
	s_or_b32 exec_lo, exec_lo, s0
	v_lshl_add_u64 v[0:1], v[0:1], 3, s[16:17]
	s_mov_b32 s0, exec_lo
	v_cmpx_lt_u32_e32 3, v9
	s_cbranch_execz .LBB24_93
; %bb.92:
	ds_load_b64 v[6:7], v14 offset:24
	ds_load_b64 v[16:17], v12 offset:24
	s_wait_dscnt 0x0
	v_add_f64_e64 v[6:7], v[6:7], -v[16:17]
	s_delay_alu instid0(VALU_DEP_1) | instskip(SKIP_1) | instid1(VALU_DEP_2)
	v_div_scale_f64 v[16:17], null, v[2:3], v[2:3], v[6:7]
	v_div_scale_f64 v[22:23], vcc_lo, v[6:7], v[2:3], v[6:7]
	v_rcp_f64_e32 v[18:19], v[16:17]
	v_nop
	s_delay_alu instid0(TRANS32_DEP_1) | instskip(NEXT) | instid1(VALU_DEP_1)
	v_fma_f64 v[20:21], -v[16:17], v[18:19], 1.0
	v_fmac_f64_e32 v[18:19], v[18:19], v[20:21]
	s_delay_alu instid0(VALU_DEP_1) | instskip(NEXT) | instid1(VALU_DEP_1)
	v_fma_f64 v[20:21], -v[16:17], v[18:19], 1.0
	v_fmac_f64_e32 v[18:19], v[18:19], v[20:21]
	s_delay_alu instid0(VALU_DEP_1) | instskip(NEXT) | instid1(VALU_DEP_1)
	v_mul_f64_e32 v[20:21], v[22:23], v[18:19]
	v_fma_f64 v[16:17], -v[16:17], v[20:21], v[22:23]
	s_delay_alu instid0(VALU_DEP_1) | instskip(NEXT) | instid1(VALU_DEP_1)
	v_div_fmas_f64 v[16:17], v[16:17], v[18:19], v[20:21]
	v_div_fixup_f64 v[2:3], v[16:17], v[2:3], v[6:7]
	ds_store_b64 v14, v[2:3] offset:24
	s_wait_storecnt_dscnt 0x0
	ds_load_b64 v[6:7], v13 offset:24
	ds_load_b64 v[12:13], v10
	s_wait_dscnt 0x0
	v_fmac_f64_e32 v[12:13], v[2:3], v[6:7]
	ds_store_b64 v10, v[12:13]
.LBB24_93:
	s_or_b32 exec_lo, exec_lo, s0
	s_wait_storecnt_dscnt 0x0
	ds_load_b64 v[2:3], v4
	s_mov_b32 s0, 0
	s_mov_b32 s1, exec_lo
	s_wait_dscnt 0x0
	global_store_b64 v[0:1], v[2:3], off
	s_wait_xcnt 0x0
	v_cmpx_eq_u32_e32 0, v11
	s_cbranch_execz .LBB24_95
; %bb.94:
	v_dual_mov_b32 v0, 0 :: v_dual_mov_b32 v1, 1
	s_add_nc_u64 s[4:5], s[6:7], s[2:3]
	global_wb scope:SCOPE_DEV
	s_wait_storecnt 0x0
	global_store_b32 v0, v1, s[4:5] scope:SCOPE_DEV
.LBB24_95:
	s_wait_xcnt 0x0
	s_or_b32 exec_lo, exec_lo, s1
	s_delay_alu instid0(SALU_CYCLE_1)
	s_and_b32 vcc_lo, exec_lo, s0
	s_cbranch_vccz .LBB24_16
.LBB24_96:
	v_or_b32_e32 v0, v8, v9
	s_mov_b32 s0, exec_lo
	s_delay_alu instid0(VALU_DEP_1)
	v_cmpx_eq_u32_e32 0, v0
	s_cbranch_execz .LBB24_16
; %bb.97:
	v_mbcnt_lo_u32_b32 v0, exec_lo, 0
	s_mov_b32 s0, exec_lo
	s_delay_alu instid0(VALU_DEP_1)
	v_cmpx_eq_u32_e32 0, v0
	s_cbranch_execz .LBB24_99
; %bb.98:
	s_add_co_i32 s1, s8, s9
	s_delay_alu instid0(SALU_CYCLE_1)
	v_dual_mov_b32 v0, 0 :: v_dual_mov_b32 v1, s1
	global_atomic_min_i32 v0, v1, s[10:11] scope:SCOPE_DEV
.LBB24_99:
	s_wait_xcnt 0x0
	s_or_b32 exec_lo, exec_lo, s0
	v_dual_mov_b32 v0, 0 :: v_dual_mov_b32 v1, 1
	s_add_nc_u64 s[0:1], s[6:7], s[2:3]
	global_wb scope:SCOPE_DEV
	s_wait_storecnt 0x0
	global_store_b32 v0, v1, s[0:1] scope:SCOPE_DEV
	s_endpgm
	.section	.rodata,"a",@progbits
	.p2align	6, 0x0
	.amdhsa_kernel _ZN9rocsparseL26bsric0_2_8_unrolled_kernelILi16ELi32ELi4EdEEv20rocsparse_direction_iiPKiS3_PT2_S3_PiS3_S6_21rocsparse_index_base_
		.amdhsa_group_segment_fixed_size 1024
		.amdhsa_private_segment_fixed_size 0
		.amdhsa_kernarg_size 76
		.amdhsa_user_sgpr_count 2
		.amdhsa_user_sgpr_dispatch_ptr 0
		.amdhsa_user_sgpr_queue_ptr 0
		.amdhsa_user_sgpr_kernarg_segment_ptr 1
		.amdhsa_user_sgpr_dispatch_id 0
		.amdhsa_user_sgpr_kernarg_preload_length 0
		.amdhsa_user_sgpr_kernarg_preload_offset 0
		.amdhsa_user_sgpr_private_segment_size 0
		.amdhsa_wavefront_size32 1
		.amdhsa_uses_dynamic_stack 0
		.amdhsa_enable_private_segment 0
		.amdhsa_system_sgpr_workgroup_id_x 1
		.amdhsa_system_sgpr_workgroup_id_y 0
		.amdhsa_system_sgpr_workgroup_id_z 0
		.amdhsa_system_sgpr_workgroup_info 0
		.amdhsa_system_vgpr_workitem_id 1
		.amdhsa_next_free_vgpr 42
		.amdhsa_next_free_sgpr 37
		.amdhsa_named_barrier_count 0
		.amdhsa_reserve_vcc 1
		.amdhsa_float_round_mode_32 0
		.amdhsa_float_round_mode_16_64 0
		.amdhsa_float_denorm_mode_32 3
		.amdhsa_float_denorm_mode_16_64 3
		.amdhsa_fp16_overflow 0
		.amdhsa_memory_ordered 1
		.amdhsa_forward_progress 1
		.amdhsa_inst_pref_size 50
		.amdhsa_round_robin_scheduling 0
		.amdhsa_exception_fp_ieee_invalid_op 0
		.amdhsa_exception_fp_denorm_src 0
		.amdhsa_exception_fp_ieee_div_zero 0
		.amdhsa_exception_fp_ieee_overflow 0
		.amdhsa_exception_fp_ieee_underflow 0
		.amdhsa_exception_fp_ieee_inexact 0
		.amdhsa_exception_int_div_zero 0
	.end_amdhsa_kernel
	.section	.text._ZN9rocsparseL26bsric0_2_8_unrolled_kernelILi16ELi32ELi4EdEEv20rocsparse_direction_iiPKiS3_PT2_S3_PiS3_S6_21rocsparse_index_base_,"axG",@progbits,_ZN9rocsparseL26bsric0_2_8_unrolled_kernelILi16ELi32ELi4EdEEv20rocsparse_direction_iiPKiS3_PT2_S3_PiS3_S6_21rocsparse_index_base_,comdat
.Lfunc_end24:
	.size	_ZN9rocsparseL26bsric0_2_8_unrolled_kernelILi16ELi32ELi4EdEEv20rocsparse_direction_iiPKiS3_PT2_S3_PiS3_S6_21rocsparse_index_base_, .Lfunc_end24-_ZN9rocsparseL26bsric0_2_8_unrolled_kernelILi16ELi32ELi4EdEEv20rocsparse_direction_iiPKiS3_PT2_S3_PiS3_S6_21rocsparse_index_base_
                                        ; -- End function
	.set _ZN9rocsparseL26bsric0_2_8_unrolled_kernelILi16ELi32ELi4EdEEv20rocsparse_direction_iiPKiS3_PT2_S3_PiS3_S6_21rocsparse_index_base_.num_vgpr, 42
	.set _ZN9rocsparseL26bsric0_2_8_unrolled_kernelILi16ELi32ELi4EdEEv20rocsparse_direction_iiPKiS3_PT2_S3_PiS3_S6_21rocsparse_index_base_.num_agpr, 0
	.set _ZN9rocsparseL26bsric0_2_8_unrolled_kernelILi16ELi32ELi4EdEEv20rocsparse_direction_iiPKiS3_PT2_S3_PiS3_S6_21rocsparse_index_base_.numbered_sgpr, 37
	.set _ZN9rocsparseL26bsric0_2_8_unrolled_kernelILi16ELi32ELi4EdEEv20rocsparse_direction_iiPKiS3_PT2_S3_PiS3_S6_21rocsparse_index_base_.num_named_barrier, 0
	.set _ZN9rocsparseL26bsric0_2_8_unrolled_kernelILi16ELi32ELi4EdEEv20rocsparse_direction_iiPKiS3_PT2_S3_PiS3_S6_21rocsparse_index_base_.private_seg_size, 0
	.set _ZN9rocsparseL26bsric0_2_8_unrolled_kernelILi16ELi32ELi4EdEEv20rocsparse_direction_iiPKiS3_PT2_S3_PiS3_S6_21rocsparse_index_base_.uses_vcc, 1
	.set _ZN9rocsparseL26bsric0_2_8_unrolled_kernelILi16ELi32ELi4EdEEv20rocsparse_direction_iiPKiS3_PT2_S3_PiS3_S6_21rocsparse_index_base_.uses_flat_scratch, 0
	.set _ZN9rocsparseL26bsric0_2_8_unrolled_kernelILi16ELi32ELi4EdEEv20rocsparse_direction_iiPKiS3_PT2_S3_PiS3_S6_21rocsparse_index_base_.has_dyn_sized_stack, 0
	.set _ZN9rocsparseL26bsric0_2_8_unrolled_kernelILi16ELi32ELi4EdEEv20rocsparse_direction_iiPKiS3_PT2_S3_PiS3_S6_21rocsparse_index_base_.has_recursion, 0
	.set _ZN9rocsparseL26bsric0_2_8_unrolled_kernelILi16ELi32ELi4EdEEv20rocsparse_direction_iiPKiS3_PT2_S3_PiS3_S6_21rocsparse_index_base_.has_indirect_call, 0
	.section	.AMDGPU.csdata,"",@progbits
; Kernel info:
; codeLenInByte = 6288
; TotalNumSgprs: 39
; NumVgprs: 42
; ScratchSize: 0
; MemoryBound: 1
; FloatMode: 240
; IeeeMode: 1
; LDSByteSize: 1024 bytes/workgroup (compile time only)
; SGPRBlocks: 0
; VGPRBlocks: 2
; NumSGPRsForWavesPerEU: 39
; NumVGPRsForWavesPerEU: 42
; NamedBarCnt: 0
; Occupancy: 16
; WaveLimiterHint : 1
; COMPUTE_PGM_RSRC2:SCRATCH_EN: 0
; COMPUTE_PGM_RSRC2:USER_SGPR: 2
; COMPUTE_PGM_RSRC2:TRAP_HANDLER: 0
; COMPUTE_PGM_RSRC2:TGID_X_EN: 1
; COMPUTE_PGM_RSRC2:TGID_Y_EN: 0
; COMPUTE_PGM_RSRC2:TGID_Z_EN: 0
; COMPUTE_PGM_RSRC2:TIDIG_COMP_CNT: 1
	.section	.text._ZN9rocsparseL26bsric0_2_8_unrolled_kernelILi25ELi32ELi5EdEEv20rocsparse_direction_iiPKiS3_PT2_S3_PiS3_S6_21rocsparse_index_base_,"axG",@progbits,_ZN9rocsparseL26bsric0_2_8_unrolled_kernelILi25ELi32ELi5EdEEv20rocsparse_direction_iiPKiS3_PT2_S3_PiS3_S6_21rocsparse_index_base_,comdat
	.globl	_ZN9rocsparseL26bsric0_2_8_unrolled_kernelILi25ELi32ELi5EdEEv20rocsparse_direction_iiPKiS3_PT2_S3_PiS3_S6_21rocsparse_index_base_ ; -- Begin function _ZN9rocsparseL26bsric0_2_8_unrolled_kernelILi25ELi32ELi5EdEEv20rocsparse_direction_iiPKiS3_PT2_S3_PiS3_S6_21rocsparse_index_base_
	.p2align	8
	.type	_ZN9rocsparseL26bsric0_2_8_unrolled_kernelILi25ELi32ELi5EdEEv20rocsparse_direction_iiPKiS3_PT2_S3_PiS3_S6_21rocsparse_index_base_,@function
_ZN9rocsparseL26bsric0_2_8_unrolled_kernelILi25ELi32ELi5EdEEv20rocsparse_direction_iiPKiS3_PT2_S3_PiS3_S6_21rocsparse_index_base_: ; @_ZN9rocsparseL26bsric0_2_8_unrolled_kernelILi25ELi32ELi5EdEEv20rocsparse_direction_iiPKiS3_PT2_S3_PiS3_S6_21rocsparse_index_base_
; %bb.0:
	s_load_b256 s[4:11], s[0:1], 0x28
	s_bfe_u32 s2, ttmp6, 0x4000c
	s_and_b32 s3, ttmp6, 15
	s_add_co_i32 s2, s2, 1
	s_getreg_b32 s12, hwreg(HW_REG_IB_STS2, 6, 4)
	s_mul_i32 s2, ttmp9, s2
	v_and_b32_e32 v8, 0x3ff, v0
	s_add_co_i32 s3, s3, s2
	s_cmp_eq_u32 s12, 0
	v_bfe_u32 v9, v0, 10, 10
	s_cselect_b32 s2, ttmp9, s3
	s_wait_kmcnt 0x0
	s_load_b32 s8, s[8:9], s2 offset:0x0 scale_offset
	s_wait_kmcnt 0x0
	s_ashr_i32 s9, s8, 31
	s_delay_alu instid0(SALU_CYCLE_1) | instskip(NEXT) | instid1(SALU_CYCLE_1)
	s_lshl_b64 s[2:3], s[8:9], 2
	s_add_nc_u64 s[12:13], s[4:5], s[2:3]
	s_load_b32 s26, s[12:13], 0x0
	s_load_b32 s9, s[0:1], 0x48
	s_wait_kmcnt 0x0
	s_cmp_lg_u32 s26, -1
	s_cbranch_scc0 .LBB25_109
; %bb.1:
	s_clause 0x1
	s_load_b128 s[12:15], s[0:1], 0x10
	s_load_b64 s[16:17], s[0:1], 0x20
	v_mad_u32_u24 v10, v9, 5, v8
	v_mul_u32_u24_e32 v16, 5, v9
	s_wait_kmcnt 0x0
	s_add_nc_u64 s[18:19], s[12:13], s[2:3]
	s_load_b32 s19, s[18:19], 0x0
	s_wait_xcnt 0x0
	s_mov_b32 s18, exec_lo
	s_wait_kmcnt 0x0
	s_sub_co_i32 s27, s19, s9
	s_delay_alu instid0(SALU_CYCLE_1) | instskip(NEXT) | instid1(VALU_DEP_1)
	v_add_nc_u32_e32 v0, s27, v10
	v_cmpx_ge_i32_e64 s26, v0
	s_cbranch_execz .LBB25_14
; %bb.2:
	v_add_nc_u32_e32 v1, s19, v8
	s_add_co_i32 s20, s26, 1
	s_mov_b32 s21, -1
	s_delay_alu instid0(VALU_DEP_1) | instskip(NEXT) | instid1(VALU_DEP_1)
	v_add_nc_u32_e32 v2, v1, v16
	v_subrev_nc_u32_e32 v2, s9, v2
	s_delay_alu instid0(VALU_DEP_1) | instskip(SKIP_1) | instid1(VALU_DEP_1)
	v_add_max_i32_e64 v2, v2, 25, s20
	s_mov_b32 s20, exec_lo
	v_add_nc_u32_e32 v2, s9, v2
	s_delay_alu instid0(VALU_DEP_1) | instskip(NEXT) | instid1(VALU_DEP_1)
	v_sub_nc_u32_e32 v1, v2, v1
	v_subrev_nc_u32_e32 v1, 25, v1
	s_delay_alu instid0(VALU_DEP_1) | instskip(SKIP_1) | instid1(VALU_DEP_1)
	v_cmp_ne_u32_e32 vcc_lo, v1, v16
	v_add_co_ci_u32_e64 v2, null, 0, v16, vcc_lo
	v_sub_nc_u32_e32 v1, v1, v2
	s_delay_alu instid0(VALU_DEP_1) | instskip(NEXT) | instid1(VALU_DEP_1)
	v_mul_hi_u32 v1, 0x51eb851f, v1
	v_lshrrev_b32_e32 v1, 3, v1
	s_delay_alu instid0(VALU_DEP_1) | instskip(NEXT) | instid1(VALU_DEP_1)
	v_add_co_ci_u32_e64 v4, null, 0, v1, vcc_lo
	v_cmpx_ne_u32_e32 0, v4
	s_cbranch_execz .LBB25_11
; %bb.3:
	v_add_nc_u32_e32 v1, -1, v4
	s_mov_b32 s21, exec_lo
	s_delay_alu instid0(VALU_DEP_1) | instskip(NEXT) | instid1(VALU_DEP_1)
	v_dual_lshrrev_b32 v2, 1, v1 :: v_dual_add_nc_u32 v1, 25, v0
	v_add_nc_u32_e32 v5, 1, v2
	s_delay_alu instid0(VALU_DEP_2)
	v_mov_b64_e32 v[2:3], v[0:1]
	v_cmpx_lt_u32_e32 14, v4
	s_cbranch_execz .LBB25_7
; %bb.4:
	v_mov_b64_e32 v[2:3], v[0:1]
	v_and_b32_e32 v6, -8, v5
	s_mov_b32 s22, 0
.LBB25_5:                               ; =>This Inner Loop Header: Depth=1
	s_clause 0x1
	global_load_b32 v1, v2, s[14:15] scale_offset
	global_load_b32 v7, v3, s[14:15] scale_offset
	v_add_nc_u32_e32 v18, 0xc8, v3
	v_add_nc_u32_e32 v15, 0x96, v3
	;; [unrolled: 1-line block ×3, first 2 shown]
	v_dual_add_nc_u32 v11, 50, v3 :: v_dual_add_nc_u32 v12, 50, v2
	v_add_nc_u32_e32 v14, 0x64, v2
	v_add_nc_u32_e32 v17, 0x96, v2
	;; [unrolled: 1-line block ×9, first 2 shown]
	s_clause 0xd
	global_load_b32 v26, v18, s[14:15] scale_offset
	global_load_b32 v27, v15, s[14:15] scale_offset
	;; [unrolled: 1-line block ×14, first 2 shown]
	v_subrev_nc_u32_e32 v40, s27, v2
	v_subrev_nc_u32_e32 v41, s27, v3
	v_add_nc_u32_e32 v6, -8, v6
	s_wait_xcnt 0x9
	v_subrev_nc_u32_e32 v12, s27, v12
	v_subrev_nc_u32_e32 v11, s27, v11
	v_dual_lshlrev_b32 v40, 2, v40 :: v_dual_lshlrev_b32 v41, 2, v41
	s_wait_xcnt 0x8
	v_subrev_nc_u32_e32 v14, s27, v14
	v_subrev_nc_u32_e32 v13, s27, v13
	v_cmp_eq_u32_e32 vcc_lo, 0, v6
	s_wait_xcnt 0x7
	v_subrev_nc_u32_e32 v17, s27, v17
	v_add_nc_u32_e32 v3, 0x190, v3
	v_subrev_nc_u32_e32 v15, s27, v15
	v_subrev_nc_u32_e32 v18, s27, v18
	s_wait_xcnt 0x6
	v_subrev_nc_u32_e32 v19, s27, v19
	s_wait_xcnt 0x3
	;; [unrolled: 2-line block ×3, first 2 shown]
	v_subrev_nc_u32_e32 v21, s27, v21
	v_subrev_nc_u32_e32 v22, s27, v22
	s_wait_xcnt 0x1
	v_subrev_nc_u32_e32 v23, s27, v23
	v_subrev_nc_u32_e32 v24, s27, v24
	s_wait_xcnt 0x0
	v_subrev_nc_u32_e32 v25, s27, v25
	v_add_nc_u32_e32 v2, 0x190, v2
	v_dual_lshlrev_b32 v12, 2, v12 :: v_dual_lshlrev_b32 v11, 2, v11
	v_dual_lshlrev_b32 v14, 2, v14 :: v_dual_lshlrev_b32 v13, 2, v13
	v_lshlrev_b32_e32 v15, 2, v15
	s_or_b32 s22, vcc_lo, s22
	v_dual_lshlrev_b32 v17, 2, v17 :: v_dual_lshlrev_b32 v19, 2, v19
	v_dual_lshlrev_b32 v18, 2, v18 :: v_dual_lshlrev_b32 v21, 2, v21
	;; [unrolled: 1-line block ×4, first 2 shown]
	v_lshlrev_b32_e32 v24, 2, v24
	s_wait_loadcnt 0xf
	v_subrev_nc_u32_e32 v1, s9, v1
	s_wait_loadcnt 0xe
	v_subrev_nc_u32_e32 v7, s9, v7
	ds_store_b32 v40, v1 offset:1216
	ds_store_b32 v41, v7 offset:1216
	s_wait_loadcnt 0xa
	v_subrev_nc_u32_e32 v1, s9, v29
	s_wait_loadcnt 0x9
	v_subrev_nc_u32_e32 v7, s9, v30
	s_wait_loadcnt 0x8
	v_subrev_nc_u32_e32 v29, s9, v31
	v_subrev_nc_u32_e32 v28, s9, v28
	s_wait_loadcnt 0x7
	v_subrev_nc_u32_e32 v30, s9, v32
	v_subrev_nc_u32_e32 v27, s9, v27
	;; [unrolled: 1-line block ×3, first 2 shown]
	s_wait_loadcnt 0x6
	v_subrev_nc_u32_e32 v31, s9, v33
	s_wait_loadcnt 0x3
	v_subrev_nc_u32_e32 v32, s9, v36
	s_wait_loadcnt 0x2
	v_subrev_nc_u32_e32 v33, s9, v37
	v_subrev_nc_u32_e32 v35, s9, v35
	s_wait_loadcnt 0x1
	v_subrev_nc_u32_e32 v36, s9, v38
	v_subrev_nc_u32_e32 v34, s9, v34
	s_wait_loadcnt 0x0
	v_subrev_nc_u32_e32 v37, s9, v39
	ds_store_b32 v12, v7 offset:1216
	ds_store_b32 v11, v1 offset:1216
	;; [unrolled: 1-line block ×14, first 2 shown]
	s_and_not1_b32 exec_lo, exec_lo, s22
	s_cbranch_execnz .LBB25_5
; %bb.6:
	s_or_b32 exec_lo, exec_lo, s22
.LBB25_7:
	s_delay_alu instid0(SALU_CYCLE_1) | instskip(SKIP_3) | instid1(VALU_DEP_1)
	s_or_b32 exec_lo, exec_lo, s21
	v_and_b32_e32 v1, 7, v5
	s_mov_b32 s22, 0
	s_mov_b32 s21, exec_lo
	v_cmpx_ne_u32_e32 0, v1
	s_cbranch_execz .LBB25_10
; %bb.8:
	v_sub_nc_u32_e32 v1, 0, v1
.LBB25_9:                               ; =>This Inner Loop Header: Depth=1
	s_clause 0x1
	global_load_b32 v5, v3, s[14:15] scale_offset
	global_load_b32 v6, v2, s[14:15] scale_offset
	v_subrev_nc_u32_e32 v7, s27, v2
	v_subrev_nc_u32_e32 v11, s27, v3
	s_wait_xcnt 0x0
	v_dual_add_nc_u32 v3, 50, v3 :: v_dual_add_nc_u32 v2, 50, v2
	v_add_co_u32 v1, s23, v1, 1
	v_lshlrev_b32_e32 v7, 2, v7
	v_lshlrev_b32_e32 v11, 2, v11
	s_or_b32 s22, s23, s22
	s_wait_loadcnt 0x1
	v_subrev_nc_u32_e32 v5, s9, v5
	s_wait_loadcnt 0x0
	v_subrev_nc_u32_e32 v6, s9, v6
	ds_store_b32 v7, v6 offset:1216
	ds_store_b32 v11, v5 offset:1216
	s_and_not1_b32 exec_lo, exec_lo, s22
	s_cbranch_execnz .LBB25_9
.LBB25_10:
	s_or_b32 exec_lo, exec_lo, s21
	v_add_nc_u32_e32 v1, 1, v4
	s_delay_alu instid0(VALU_DEP_1) | instskip(NEXT) | instid1(VALU_DEP_1)
	v_and_b32_e32 v2, 0x3ffffffe, v1
	v_mad_u32 v0, v2, 25, v0
	v_cmp_ne_u32_e32 vcc_lo, v1, v2
	s_or_not1_b32 s21, vcc_lo, exec_lo
.LBB25_11:
	s_or_b32 exec_lo, exec_lo, s20
	s_delay_alu instid0(SALU_CYCLE_1)
	s_and_b32 exec_lo, exec_lo, s21
	s_cbranch_execz .LBB25_14
; %bb.12:
	s_delay_alu instid0(VALU_DEP_2) | instskip(NEXT) | instid1(VALU_DEP_1)
	v_add_nc_u32_e32 v1, s9, v0
	v_subrev_nc_u32_e32 v2, s19, v1
	v_ashrrev_i32_e32 v1, 31, v0
	s_mov_b32 s19, 0
	s_delay_alu instid0(VALU_DEP_2) | instskip(NEXT) | instid1(VALU_DEP_2)
	v_lshl_add_u32 v4, v2, 2, 0x4c0
	v_lshl_add_u64 v[2:3], v[0:1], 2, s[14:15]
.LBB25_13:                              ; =>This Inner Loop Header: Depth=1
	global_load_b32 v1, v[2:3], off
	v_add_nc_u32_e32 v0, 25, v0
	s_wait_xcnt 0x0
	v_add_nc_u64_e32 v[2:3], 0x64, v[2:3]
	s_delay_alu instid0(VALU_DEP_2)
	v_cmp_lt_i32_e32 vcc_lo, s26, v0
	s_or_b32 s19, vcc_lo, s19
	s_wait_loadcnt 0x0
	v_subrev_nc_u32_e32 v1, s9, v1
	ds_store_b32 v4, v1
	v_add_nc_u32_e32 v4, 0x64, v4
	s_and_not1_b32 exec_lo, exec_lo, s19
	s_cbranch_execnz .LBB25_13
.LBB25_14:
	s_or_b32 exec_lo, exec_lo, s18
	s_load_b32 s1, s[0:1], 0x0
	v_mad_u32_u24 v15, v9, 48, 0x2d0
	v_mov_b64_e32 v[0:1], 0
	v_mad_u32_u24 v11, v8, 5, v9
	v_mad_u32_u24 v14, v9, 48, 0x1e0
	;; [unrolled: 1-line block ×3, first 2 shown]
	v_lshl_add_u32 v12, v8, 3, v15
	s_cmp_ge_i32 s27, s26
	ds_store_b64 v12, v[0:1]
	s_wait_dscnt 0x0
	s_cbranch_scc1 .LBB25_61
; %bb.15:
	s_wait_kmcnt 0x0
	s_cmp_lg_u32 s1, 0
	v_dual_lshlrev_b32 v0, 3, v8 :: v_dual_bitop2_b32 v1, v8, v9 bitop3:0x54
	v_mad_u32_u24 v18, v9, 48, 0xf0
	v_mad_u32_u24 v2, v8, 5, v9
	s_cselect_b32 s28, -1, 0
	s_cmp_eq_u32 s1, 0
	v_mul_u32_u24_e32 v17, 5, v8
	s_cselect_b32 vcc_lo, -1, 0
	v_dual_add_nc_u32 v19, v14, v0 :: v_dual_mov_b32 v23, 0
	v_mad_u32_u24 v20, v9, 48, v0
	v_add_nc_u32_e32 v21, v18, v0
	v_cmp_ne_u32_e64 s0, 0, v1
	v_cndmask_b32_e32 v22, v2, v10, vcc_lo
	s_mov_b32 s18, s27
	s_branch .LBB25_19
.LBB25_16:                              ;   in Loop: Header=BB25_19 Depth=1
	s_wait_xcnt 0x0
	s_or_b32 exec_lo, exec_lo, s21
	v_mov_b64_e32 v[4:5], 1.0
.LBB25_17:                              ;   in Loop: Header=BB25_19 Depth=1
	s_or_b32 exec_lo, exec_lo, s20
	ds_load_b128 v[24:27], v14
	ds_load_b128 v[28:31], v23 offset:192
	ds_load_b64 v[6:7], v18 offset:32
	s_add_co_i32 s18, s18, 1
	s_delay_alu instid0(SALU_CYCLE_1) | instskip(SKIP_3) | instid1(VALU_DEP_1)
	s_cmp_ge_i32 s18, s26
	s_cselect_b32 s24, -1, 0
	s_wait_dscnt 0x0
	v_fmac_f64_e32 v[6:7], v[28:29], v[24:25]
	v_fmac_f64_e32 v[6:7], v[30:31], v[26:27]
	ds_load_b128 v[24:27], v23 offset:208
	ds_load_b128 v[28:31], v14 offset:16
	s_wait_dscnt 0x0
	v_fmac_f64_e32 v[6:7], v[24:25], v[28:29]
	s_delay_alu instid0(VALU_DEP_1) | instskip(NEXT) | instid1(VALU_DEP_1)
	v_fmac_f64_e32 v[6:7], v[26:27], v[30:31]
	v_add_f64_e64 v[2:3], v[2:3], -v[6:7]
	s_delay_alu instid0(VALU_DEP_1) | instskip(SKIP_1) | instid1(VALU_DEP_2)
	v_div_scale_f64 v[6:7], null, v[4:5], v[4:5], v[2:3]
	v_div_scale_f64 v[28:29], vcc_lo, v[2:3], v[4:5], v[2:3]
	v_rcp_f64_e32 v[24:25], v[6:7]
	v_nop
	s_delay_alu instid0(TRANS32_DEP_1) | instskip(NEXT) | instid1(VALU_DEP_1)
	v_fma_f64 v[26:27], -v[6:7], v[24:25], 1.0
	v_fmac_f64_e32 v[24:25], v[24:25], v[26:27]
	s_delay_alu instid0(VALU_DEP_1) | instskip(NEXT) | instid1(VALU_DEP_1)
	v_fma_f64 v[26:27], -v[6:7], v[24:25], 1.0
	v_fmac_f64_e32 v[24:25], v[24:25], v[26:27]
	s_delay_alu instid0(VALU_DEP_1) | instskip(NEXT) | instid1(VALU_DEP_1)
	v_mul_f64_e32 v[26:27], v[28:29], v[24:25]
	v_fma_f64 v[6:7], -v[6:7], v[26:27], v[28:29]
	s_delay_alu instid0(VALU_DEP_1) | instskip(NEXT) | instid1(VALU_DEP_1)
	v_div_fmas_f64 v[6:7], v[6:7], v[24:25], v[26:27]
	v_div_fixup_f64 v[2:3], v[6:7], v[4:5], v[2:3]
	ds_store_b64 v14, v[2:3] offset:32
	s_wait_storecnt_dscnt 0x0
	ds_load_b64 v[4:5], v13 offset:32
	ds_load_b64 v[6:7], v12
	s_wait_dscnt 0x0
	v_fmac_f64_e32 v[6:7], v[2:3], v[4:5]
	ds_store_b64 v12, v[6:7]
	s_wait_dscnt 0x0
	ds_load_b64 v[2:3], v19
	s_wait_dscnt 0x0
	global_store_b64 v[0:1], v[2:3], off
	global_wb scope:SCOPE_DEV
	s_wait_storecnt 0x0
	global_inv scope:SCOPE_DEV
.LBB25_18:                              ;   in Loop: Header=BB25_19 Depth=1
	s_and_b32 vcc_lo, exec_lo, s24
	s_cbranch_vccnz .LBB25_61
.LBB25_19:                              ; =>This Loop Header: Depth=1
                                        ;     Child Loop BB25_22 Depth 2
                                        ;     Child Loop BB25_33 Depth 2
	;; [unrolled: 1-line block ×3, first 2 shown]
	s_ashr_i32 s19, s18, 31
	s_delay_alu instid0(SALU_CYCLE_1) | instskip(NEXT) | instid1(SALU_CYCLE_1)
	s_lshl_b64 s[20:21], s[18:19], 2
	s_add_nc_u64 s[20:21], s[14:15], s[20:21]
	s_load_b32 s19, s[20:21], 0x0
	s_wait_kmcnt 0x0
	s_sub_co_i32 s22, s19, s9
	s_delay_alu instid0(SALU_CYCLE_1) | instskip(SKIP_2) | instid1(SALU_CYCLE_1)
	s_ashr_i32 s23, s22, 31
	s_wait_xcnt 0x0
	s_lshl_b64 s[20:21], s[22:23], 2
	s_add_nc_u64 s[24:25], s[4:5], s[20:21]
	s_load_b32 s23, s[24:25], 0x0
	s_wait_xcnt 0x0
	s_mov_b32 s24, -1
	s_wait_kmcnt 0x0
	s_cmp_eq_u32 s23, -1
	s_cbranch_scc1 .LBB25_18
; %bb.20:                               ;   in Loop: Header=BB25_19 Depth=1
	v_mad_u32 v0, s18, 25, v22
	s_add_nc_u64 s[24:25], s[12:13], s[20:21]
	ds_load_b32 v1, v23 offset:1216
	s_load_b32 s24, s[24:25], 0x0
	global_load_b64 v[2:3], v0, s[16:17] scale_offset
	s_wait_dscnt 0x0
	v_cmp_ge_i32_e32 vcc_lo, s22, v1
	s_wait_kmcnt 0x0
	s_sub_co_i32 s24, s24, s9
	s_delay_alu instid0(SALU_CYCLE_1) | instskip(SKIP_1) | instid1(SALU_CYCLE_1)
	s_cmp_le_i32 s24, s23
	s_cselect_b32 s25, -1, 0
	s_and_b32 s25, s25, vcc_lo
	s_delay_alu instid0(SALU_CYCLE_1)
	s_and_not1_b32 vcc_lo, exec_lo, s25
	s_mov_b32 s25, 0
	s_wait_loadcnt 0x0
	ds_store_b64 v19, v[2:3]
	s_cbranch_vccnz .LBB25_32
; %bb.21:                               ;   in Loop: Header=BB25_19 Depth=1
	s_mov_b32 s29, 0
	s_mov_b32 s30, 0
.LBB25_22:                              ;   Parent Loop BB25_19 Depth=1
                                        ; =>  This Inner Loop Header: Depth=2
	s_ashr_i32 s25, s24, 31
	s_lshl_b32 s31, s30, 2
	s_lshl_b64 s[34:35], s[24:25], 2
	v_mov_b32_e32 v1, s31
	s_add_nc_u64 s[34:35], s[14:15], s[34:35]
                                        ; implicit-def: $sgpr33
	s_load_b32 s25, s[34:35], 0x0
	s_wait_xcnt 0x0
	s_mov_b32 s35, -1
	ds_load_b32 v1, v1 offset:1216
                                        ; implicit-def: $sgpr34
	s_wait_kmcnt 0x0
	s_sub_co_i32 s36, s25, s9
                                        ; implicit-def: $sgpr25
	s_wait_dscnt 0x0
	v_readfirstlane_b32 s31, v1
	v_cmp_ge_i32_e32 vcc_lo, s36, v1
	s_cbranch_vccz .LBB25_28
; %bb.23:                               ;   in Loop: Header=BB25_22 Depth=2
	s_cmp_le_i32 s36, s31
                                        ; implicit-def: $sgpr25
                                        ; implicit-def: $sgpr34
                                        ; implicit-def: $sgpr33
	s_cbranch_scc0 .LBB25_25
; %bb.24:                               ;   in Loop: Header=BB25_22 Depth=2
	s_add_co_i32 s25, s30, s27
	s_lshl_b32 s33, s29, 2
	s_mul_i32 s25, s25, 25
	s_mul_i32 s34, s24, 25
	s_delay_alu instid0(SALU_CYCLE_1)
	v_dual_mov_b32 v1, s25 :: v_dual_mov_b32 v2, s34
	v_add_nc_u32_e64 v3, 0x200, s33
	s_add_co_i32 s33, s30, 1
	s_add_co_i32 s34, s24, 1
	;; [unrolled: 1-line block ×3, first 2 shown]
	s_mov_b32 s35, 0
	ds_store_2addr_b32 v3, v2, v1 offset0:112 offset1:144
.LBB25_25:                              ;   in Loop: Header=BB25_22 Depth=2
	s_and_not1_b32 vcc_lo, exec_lo, s35
	s_cbranch_vccnz .LBB25_27
; %bb.26:                               ;   in Loop: Header=BB25_22 Depth=2
	s_add_co_i32 s33, s30, 1
	s_mov_b32 s25, s29
	s_mov_b32 s34, s24
.LBB25_27:                              ;   in Loop: Header=BB25_22 Depth=2
	s_mov_b32 s35, 0
.LBB25_28:                              ;   in Loop: Header=BB25_22 Depth=2
	s_delay_alu instid0(SALU_CYCLE_1)
	s_and_not1_b32 vcc_lo, exec_lo, s35
	s_cbranch_vccnz .LBB25_30
; %bb.29:                               ;   in Loop: Header=BB25_22 Depth=2
	s_add_co_i32 s34, s24, 1
	s_mov_b32 s33, s30
	s_mov_b32 s25, s29
.LBB25_30:                              ;   in Loop: Header=BB25_22 Depth=2
	s_cmp_le_i32 s34, s23
	s_cselect_b32 s24, -1, 0
	s_cmp_le_i32 s31, s22
	s_cselect_b32 s29, -1, 0
	s_delay_alu instid0(SALU_CYCLE_1) | instskip(NEXT) | instid1(SALU_CYCLE_1)
	s_and_b32 s24, s24, s29
	s_and_b32 vcc_lo, exec_lo, s24
	s_cbranch_vccz .LBB25_32
; %bb.31:                               ;   in Loop: Header=BB25_22 Depth=2
	s_mov_b32 s29, s25
	s_mov_b32 s24, s34
	s_mov_b32 s30, s33
	s_branch .LBB25_22
.LBB25_32:                              ;   in Loop: Header=BB25_19 Depth=1
	v_ashrrev_i32_e32 v1, 31, v0
	s_add_nc_u64 s[20:21], s[6:7], s[20:21]
	s_wait_dscnt 0x0
	s_wait_xcnt 0x0
	s_delay_alu instid0(VALU_DEP_1)
	v_lshl_add_u64 v[0:1], v[0:1], 3, s[16:17]
.LBB25_33:                              ;   Parent Loop BB25_19 Depth=1
                                        ; =>  This Inner Loop Header: Depth=2
	global_load_b32 v2, v23, s[20:21] scope:SCOPE_DEV
	s_wait_loadcnt 0x0
	v_cmp_eq_u32_e32 vcc_lo, 0, v2
	s_cbranch_vccnz .LBB25_33
; %bb.34:                               ;   in Loop: Header=BB25_19 Depth=1
	v_mad_u32 v2, s23, 25, v22
	global_inv scope:SCOPE_DEV
	v_mov_b64_e32 v[6:7], 0
	s_cmp_lt_i32 s25, 2
	global_load_b64 v[2:3], v2, s[16:17] scale_offset
	s_wait_loadcnt 0x0
	ds_store_b64 v20, v[2:3]
	s_wait_dscnt 0x0
	s_cbranch_scc1 .LBB25_42
; %bb.35:                               ;   in Loop: Header=BB25_19 Depth=1
	v_mov_b64_e32 v[2:3], 0
	s_add_co_i32 s20, s25, -1
	s_movk_i32 s21, 0x3c0
.LBB25_36:                              ;   Parent Loop BB25_19 Depth=1
                                        ; =>  This Inner Loop Header: Depth=2
	s_wait_dscnt 0x0
	v_mov_b32_e32 v4, s21
	s_and_b32 vcc_lo, exec_lo, s28
	s_mov_b32 s22, -1
                                        ; implicit-def: $vgpr6_vgpr7
	ds_load_2addr_b32 v[4:5], v4 offset1:32
	s_cbranch_vccz .LBB25_39
; %bb.37:                               ;   in Loop: Header=BB25_36 Depth=2
	s_wait_dscnt 0x0
	v_dual_add_nc_u32 v38, v4, v8 :: v_dual_add_nc_u32 v39, v5, v9
	s_clause 0x1
	global_load_b64 v[6:7], v38, s[16:17] scale_offset
	global_load_b64 v[24:25], v39, s[16:17] scale_offset
	v_dual_add_nc_u32 v30, 5, v38 :: v_dual_add_nc_u32 v31, 5, v39
	v_dual_add_nc_u32 v34, 10, v38 :: v_dual_add_nc_u32 v35, 10, v39
	s_clause 0x3
	global_load_b64 v[26:27], v30, s[16:17] scale_offset
	global_load_b64 v[28:29], v31, s[16:17] scale_offset
	;; [unrolled: 1-line block ×4, first 2 shown]
	v_dual_add_nc_u32 v40, 15, v38 :: v_dual_add_nc_u32 v41, 15, v39
	s_clause 0x1
	global_load_b64 v[34:35], v40, s[16:17] scale_offset
	global_load_b64 v[36:37], v41, s[16:17] scale_offset
	v_dual_add_nc_u32 v42, 20, v38 :: v_dual_add_nc_u32 v43, 20, v39
	s_clause 0x1
	global_load_b64 v[38:39], v42, s[16:17] scale_offset
	global_load_b64 v[40:41], v43, s[16:17] scale_offset
	s_wait_loadcnt 0x8
	v_fma_f64 v[6:7], v[6:7], v[24:25], v[2:3]
	s_wait_loadcnt 0x6
	s_delay_alu instid0(VALU_DEP_1) | instskip(SKIP_1) | instid1(VALU_DEP_1)
	v_fmac_f64_e32 v[6:7], v[26:27], v[28:29]
	s_wait_loadcnt 0x4
	v_fmac_f64_e32 v[6:7], v[30:31], v[32:33]
	s_wait_loadcnt 0x2
	s_delay_alu instid0(VALU_DEP_1) | instskip(SKIP_1) | instid1(VALU_DEP_1)
	v_fmac_f64_e32 v[6:7], v[34:35], v[36:37]
	s_wait_loadcnt 0x0
	v_fmac_f64_e32 v[6:7], v[38:39], v[40:41]
	s_cbranch_execz .LBB25_40
.LBB25_38:                              ;   in Loop: Header=BB25_36 Depth=2
	s_add_co_i32 s20, s20, -1
	s_add_co_i32 s21, s21, 4
	s_cmp_eq_u32 s20, 0
	s_cbranch_scc0 .LBB25_41
	s_branch .LBB25_42
.LBB25_39:                              ;   in Loop: Header=BB25_36 Depth=2
	s_and_not1_b32 vcc_lo, exec_lo, s22
	s_cbranch_vccnz .LBB25_38
.LBB25_40:                              ;   in Loop: Header=BB25_36 Depth=2
	s_wait_dscnt 0x0
	v_dual_add_nc_u32 v36, v4, v17 :: v_dual_add_nc_u32 v38, v5, v16
	s_delay_alu instid0(VALU_DEP_1) | instskip(NEXT) | instid1(VALU_DEP_1)
	v_dual_ashrrev_i32 v37, 31, v36 :: v_dual_ashrrev_i32 v39, 31, v38
	v_lshl_add_u64 v[40:41], v[36:37], 3, s[16:17]
	s_delay_alu instid0(VALU_DEP_2)
	v_lshl_add_u64 v[42:43], v[38:39], 3, s[16:17]
	s_clause 0x5
	global_load_b128 v[4:7], v[40:41], off
	global_load_b128 v[24:27], v[42:43], off
	global_load_b128 v[28:31], v[42:43], off offset:16
	global_load_b128 v[32:35], v[40:41], off offset:16
	global_load_b64 v[44:45], v36, s[16:17] offset:32 scale_offset
	global_load_b64 v[46:47], v38, s[16:17] offset:32 scale_offset
	s_wait_loadcnt 0x4
	v_fmac_f64_e32 v[2:3], v[4:5], v[24:25]
	s_delay_alu instid0(VALU_DEP_1) | instskip(SKIP_1) | instid1(VALU_DEP_1)
	v_fmac_f64_e32 v[2:3], v[6:7], v[26:27]
	s_wait_loadcnt 0x2
	v_fmac_f64_e32 v[2:3], v[32:33], v[28:29]
	s_delay_alu instid0(VALU_DEP_1) | instskip(SKIP_1) | instid1(VALU_DEP_1)
	v_fmac_f64_e32 v[2:3], v[34:35], v[30:31]
	s_wait_loadcnt 0x0
	v_fmac_f64_e32 v[2:3], v[44:45], v[46:47]
	s_delay_alu instid0(VALU_DEP_1)
	v_mov_b64_e32 v[6:7], v[2:3]
	s_add_co_i32 s20, s20, -1
	s_add_co_i32 s21, s21, 4
	s_cmp_eq_u32 s20, 0
	s_cbranch_scc1 .LBB25_42
.LBB25_41:                              ;   in Loop: Header=BB25_36 Depth=2
	s_delay_alu instid0(VALU_DEP_1)
	v_mov_b64_e32 v[2:3], v[6:7]
	s_branch .LBB25_36
.LBB25_42:                              ;   in Loop: Header=BB25_19 Depth=1
	ds_store_b64 v21, v[6:7]
	s_wait_dscnt 0x0
	ds_load_b64 v[4:5], v23
	ds_load_b64 v[2:3], v14
	s_wait_dscnt 0x1
	v_cmp_neq_f64_e32 vcc_lo, 0, v[4:5]
	v_cndmask_b32_e32 v5, 0x3ff00000, v5, vcc_lo
	v_cndmask_b32_e32 v4, 0, v4, vcc_lo
	s_nor_b32 s21, vcc_lo, s0
	s_delay_alu instid0(SALU_CYCLE_1)
	s_and_saveexec_b32 s20, s21
	s_cbranch_execz .LBB25_46
; %bb.43:                               ;   in Loop: Header=BB25_19 Depth=1
	v_mbcnt_lo_u32_b32 v4, exec_lo, 0
	s_mov_b32 s21, exec_lo
	s_delay_alu instid0(VALU_DEP_1)
	v_cmpx_eq_u32_e32 0, v4
	s_cbranch_execz .LBB25_45
; %bb.44:                               ;   in Loop: Header=BB25_19 Depth=1
	v_mov_b32_e32 v4, s19
	global_atomic_min_i32 v23, v4, s[10:11] scope:SCOPE_DEV
.LBB25_45:                              ;   in Loop: Header=BB25_19 Depth=1
	s_wait_xcnt 0x0
	s_or_b32 exec_lo, exec_lo, s21
	v_mov_b64_e32 v[4:5], 1.0
.LBB25_46:                              ;   in Loop: Header=BB25_19 Depth=1
	s_or_b32 exec_lo, exec_lo, s20
	ds_load_b64 v[6:7], v18
	s_wait_dscnt 0x0
	v_add_f64_e64 v[2:3], v[2:3], -v[6:7]
	s_delay_alu instid0(VALU_DEP_1) | instskip(SKIP_1) | instid1(VALU_DEP_2)
	v_div_scale_f64 v[6:7], null, v[4:5], v[4:5], v[2:3]
	v_div_scale_f64 v[28:29], vcc_lo, v[2:3], v[4:5], v[2:3]
	v_rcp_f64_e32 v[24:25], v[6:7]
	v_nop
	s_delay_alu instid0(TRANS32_DEP_1) | instskip(NEXT) | instid1(VALU_DEP_1)
	v_fma_f64 v[26:27], -v[6:7], v[24:25], 1.0
	v_fmac_f64_e32 v[24:25], v[24:25], v[26:27]
	s_delay_alu instid0(VALU_DEP_1) | instskip(NEXT) | instid1(VALU_DEP_1)
	v_fma_f64 v[26:27], -v[6:7], v[24:25], 1.0
	v_fmac_f64_e32 v[24:25], v[24:25], v[26:27]
	s_delay_alu instid0(VALU_DEP_1) | instskip(NEXT) | instid1(VALU_DEP_1)
	v_mul_f64_e32 v[26:27], v[28:29], v[24:25]
	v_fma_f64 v[6:7], -v[6:7], v[26:27], v[28:29]
	s_delay_alu instid0(VALU_DEP_1) | instskip(NEXT) | instid1(VALU_DEP_1)
	v_div_fmas_f64 v[6:7], v[6:7], v[24:25], v[26:27]
	v_div_fixup_f64 v[2:3], v[6:7], v[4:5], v[2:3]
	ds_store_b64 v14, v[2:3]
	s_wait_storecnt_dscnt 0x0
	ds_load_b64 v[4:5], v13
	ds_load_b64 v[6:7], v12
	s_wait_dscnt 0x0
	v_fmac_f64_e32 v[6:7], v[2:3], v[4:5]
	ds_store_b64 v12, v[6:7]
	s_wait_dscnt 0x0
	ds_load_b64 v[4:5], v23 offset:56
	ds_load_b64 v[2:3], v14 offset:8
	s_wait_dscnt 0x1
	v_cmp_neq_f64_e32 vcc_lo, 0, v[4:5]
	v_cndmask_b32_e32 v5, 0x3ff00000, v5, vcc_lo
	v_cndmask_b32_e32 v4, 0, v4, vcc_lo
	s_nor_b32 s21, vcc_lo, s0
	s_delay_alu instid0(SALU_CYCLE_1)
	s_and_saveexec_b32 s20, s21
	s_cbranch_execz .LBB25_50
; %bb.47:                               ;   in Loop: Header=BB25_19 Depth=1
	v_mbcnt_lo_u32_b32 v4, exec_lo, 0
	s_mov_b32 s21, exec_lo
	s_delay_alu instid0(VALU_DEP_1)
	v_cmpx_eq_u32_e32 0, v4
	s_cbranch_execz .LBB25_49
; %bb.48:                               ;   in Loop: Header=BB25_19 Depth=1
	v_mov_b32_e32 v4, s19
	global_atomic_min_i32 v23, v4, s[10:11] scope:SCOPE_DEV
.LBB25_49:                              ;   in Loop: Header=BB25_19 Depth=1
	s_wait_xcnt 0x0
	s_or_b32 exec_lo, exec_lo, s21
	v_mov_b64_e32 v[4:5], 1.0
.LBB25_50:                              ;   in Loop: Header=BB25_19 Depth=1
	s_or_b32 exec_lo, exec_lo, s20
	ds_load_b64 v[6:7], v23 offset:48
	ds_load_b64 v[24:25], v14
	ds_load_b64 v[26:27], v18 offset:8
	s_wait_dscnt 0x0
	v_fmac_f64_e32 v[26:27], v[6:7], v[24:25]
	s_delay_alu instid0(VALU_DEP_1) | instskip(NEXT) | instid1(VALU_DEP_1)
	v_add_f64_e64 v[2:3], v[2:3], -v[26:27]
	v_div_scale_f64 v[6:7], null, v[4:5], v[4:5], v[2:3]
	v_div_scale_f64 v[28:29], vcc_lo, v[2:3], v[4:5], v[2:3]
	s_delay_alu instid0(VALU_DEP_2) | instskip(SKIP_1) | instid1(TRANS32_DEP_1)
	v_rcp_f64_e32 v[24:25], v[6:7]
	v_nop
	v_fma_f64 v[26:27], -v[6:7], v[24:25], 1.0
	s_delay_alu instid0(VALU_DEP_1) | instskip(NEXT) | instid1(VALU_DEP_1)
	v_fmac_f64_e32 v[24:25], v[24:25], v[26:27]
	v_fma_f64 v[26:27], -v[6:7], v[24:25], 1.0
	s_delay_alu instid0(VALU_DEP_1) | instskip(NEXT) | instid1(VALU_DEP_1)
	v_fmac_f64_e32 v[24:25], v[24:25], v[26:27]
	v_mul_f64_e32 v[26:27], v[28:29], v[24:25]
	s_delay_alu instid0(VALU_DEP_1) | instskip(NEXT) | instid1(VALU_DEP_1)
	v_fma_f64 v[6:7], -v[6:7], v[26:27], v[28:29]
	v_div_fmas_f64 v[6:7], v[6:7], v[24:25], v[26:27]
	s_delay_alu instid0(VALU_DEP_1)
	v_div_fixup_f64 v[2:3], v[6:7], v[4:5], v[2:3]
	ds_store_b64 v14, v[2:3] offset:8
	s_wait_storecnt_dscnt 0x0
	ds_load_b64 v[4:5], v13 offset:8
	ds_load_b64 v[6:7], v12
	s_wait_dscnt 0x0
	v_fmac_f64_e32 v[6:7], v[2:3], v[4:5]
	ds_store_b64 v12, v[6:7]
	s_wait_dscnt 0x0
	ds_load_b64 v[4:5], v23 offset:112
	ds_load_b64 v[2:3], v14 offset:16
	s_wait_dscnt 0x1
	v_cmp_neq_f64_e32 vcc_lo, 0, v[4:5]
	v_cndmask_b32_e32 v5, 0x3ff00000, v5, vcc_lo
	v_cndmask_b32_e32 v4, 0, v4, vcc_lo
	s_nor_b32 s21, vcc_lo, s0
	s_delay_alu instid0(SALU_CYCLE_1)
	s_and_saveexec_b32 s20, s21
	s_cbranch_execz .LBB25_54
; %bb.51:                               ;   in Loop: Header=BB25_19 Depth=1
	v_mbcnt_lo_u32_b32 v4, exec_lo, 0
	s_mov_b32 s21, exec_lo
	s_delay_alu instid0(VALU_DEP_1)
	v_cmpx_eq_u32_e32 0, v4
	s_cbranch_execz .LBB25_53
; %bb.52:                               ;   in Loop: Header=BB25_19 Depth=1
	v_mov_b32_e32 v4, s19
	global_atomic_min_i32 v23, v4, s[10:11] scope:SCOPE_DEV
.LBB25_53:                              ;   in Loop: Header=BB25_19 Depth=1
	s_wait_xcnt 0x0
	s_or_b32 exec_lo, exec_lo, s21
	v_mov_b64_e32 v[4:5], 1.0
.LBB25_54:                              ;   in Loop: Header=BB25_19 Depth=1
	s_or_b32 exec_lo, exec_lo, s20
	ds_load_b128 v[24:27], v14
	ds_load_b128 v[28:31], v23 offset:96
	ds_load_b64 v[6:7], v18 offset:16
	s_wait_dscnt 0x0
	v_fmac_f64_e32 v[6:7], v[28:29], v[24:25]
	s_delay_alu instid0(VALU_DEP_1) | instskip(NEXT) | instid1(VALU_DEP_1)
	v_fmac_f64_e32 v[6:7], v[30:31], v[26:27]
	v_add_f64_e64 v[2:3], v[2:3], -v[6:7]
	s_delay_alu instid0(VALU_DEP_1) | instskip(SKIP_1) | instid1(VALU_DEP_2)
	v_div_scale_f64 v[6:7], null, v[4:5], v[4:5], v[2:3]
	v_div_scale_f64 v[28:29], vcc_lo, v[2:3], v[4:5], v[2:3]
	v_rcp_f64_e32 v[24:25], v[6:7]
	v_nop
	s_delay_alu instid0(TRANS32_DEP_1) | instskip(NEXT) | instid1(VALU_DEP_1)
	v_fma_f64 v[26:27], -v[6:7], v[24:25], 1.0
	v_fmac_f64_e32 v[24:25], v[24:25], v[26:27]
	s_delay_alu instid0(VALU_DEP_1) | instskip(NEXT) | instid1(VALU_DEP_1)
	v_fma_f64 v[26:27], -v[6:7], v[24:25], 1.0
	v_fmac_f64_e32 v[24:25], v[24:25], v[26:27]
	s_delay_alu instid0(VALU_DEP_1) | instskip(NEXT) | instid1(VALU_DEP_1)
	v_mul_f64_e32 v[26:27], v[28:29], v[24:25]
	v_fma_f64 v[6:7], -v[6:7], v[26:27], v[28:29]
	s_delay_alu instid0(VALU_DEP_1) | instskip(NEXT) | instid1(VALU_DEP_1)
	v_div_fmas_f64 v[6:7], v[6:7], v[24:25], v[26:27]
	v_div_fixup_f64 v[2:3], v[6:7], v[4:5], v[2:3]
	ds_store_b64 v14, v[2:3] offset:16
	s_wait_storecnt_dscnt 0x0
	ds_load_b64 v[4:5], v13 offset:16
	ds_load_b64 v[6:7], v12
	s_wait_dscnt 0x0
	v_fmac_f64_e32 v[6:7], v[2:3], v[4:5]
	ds_store_b64 v12, v[6:7]
	s_wait_dscnt 0x0
	ds_load_b64 v[4:5], v23 offset:168
	ds_load_b64 v[2:3], v14 offset:24
	s_wait_dscnt 0x1
	v_cmp_neq_f64_e32 vcc_lo, 0, v[4:5]
	v_cndmask_b32_e32 v5, 0x3ff00000, v5, vcc_lo
	v_cndmask_b32_e32 v4, 0, v4, vcc_lo
	s_nor_b32 s21, vcc_lo, s0
	s_delay_alu instid0(SALU_CYCLE_1)
	s_and_saveexec_b32 s20, s21
	s_cbranch_execz .LBB25_58
; %bb.55:                               ;   in Loop: Header=BB25_19 Depth=1
	v_mbcnt_lo_u32_b32 v4, exec_lo, 0
	s_mov_b32 s21, exec_lo
	s_delay_alu instid0(VALU_DEP_1)
	v_cmpx_eq_u32_e32 0, v4
	s_cbranch_execz .LBB25_57
; %bb.56:                               ;   in Loop: Header=BB25_19 Depth=1
	v_mov_b32_e32 v4, s19
	global_atomic_min_i32 v23, v4, s[10:11] scope:SCOPE_DEV
.LBB25_57:                              ;   in Loop: Header=BB25_19 Depth=1
	s_wait_xcnt 0x0
	s_or_b32 exec_lo, exec_lo, s21
	v_mov_b64_e32 v[4:5], 1.0
.LBB25_58:                              ;   in Loop: Header=BB25_19 Depth=1
	s_or_b32 exec_lo, exec_lo, s20
	ds_load_b128 v[24:27], v14
	ds_load_b128 v[28:31], v23 offset:144
	ds_load_b64 v[6:7], v18 offset:24
	s_wait_dscnt 0x0
	v_fmac_f64_e32 v[6:7], v[28:29], v[24:25]
	s_delay_alu instid0(VALU_DEP_1) | instskip(SKIP_4) | instid1(VALU_DEP_1)
	v_fmac_f64_e32 v[6:7], v[30:31], v[26:27]
	ds_load_b64 v[24:25], v23 offset:160
	ds_load_b64 v[26:27], v14 offset:16
	s_wait_dscnt 0x0
	v_fmac_f64_e32 v[6:7], v[24:25], v[26:27]
	v_add_f64_e64 v[2:3], v[2:3], -v[6:7]
	s_delay_alu instid0(VALU_DEP_1) | instskip(SKIP_1) | instid1(VALU_DEP_2)
	v_div_scale_f64 v[6:7], null, v[4:5], v[4:5], v[2:3]
	v_div_scale_f64 v[28:29], vcc_lo, v[2:3], v[4:5], v[2:3]
	v_rcp_f64_e32 v[24:25], v[6:7]
	v_nop
	s_delay_alu instid0(TRANS32_DEP_1) | instskip(NEXT) | instid1(VALU_DEP_1)
	v_fma_f64 v[26:27], -v[6:7], v[24:25], 1.0
	v_fmac_f64_e32 v[24:25], v[24:25], v[26:27]
	s_delay_alu instid0(VALU_DEP_1) | instskip(NEXT) | instid1(VALU_DEP_1)
	v_fma_f64 v[26:27], -v[6:7], v[24:25], 1.0
	v_fmac_f64_e32 v[24:25], v[24:25], v[26:27]
	s_delay_alu instid0(VALU_DEP_1) | instskip(NEXT) | instid1(VALU_DEP_1)
	v_mul_f64_e32 v[26:27], v[28:29], v[24:25]
	v_fma_f64 v[6:7], -v[6:7], v[26:27], v[28:29]
	s_delay_alu instid0(VALU_DEP_1) | instskip(NEXT) | instid1(VALU_DEP_1)
	v_div_fmas_f64 v[6:7], v[6:7], v[24:25], v[26:27]
	v_div_fixup_f64 v[2:3], v[6:7], v[4:5], v[2:3]
	ds_store_b64 v14, v[2:3] offset:24
	s_wait_storecnt_dscnt 0x0
	ds_load_b64 v[4:5], v13 offset:24
	ds_load_b64 v[6:7], v12
	s_wait_dscnt 0x0
	v_fmac_f64_e32 v[6:7], v[2:3], v[4:5]
	ds_store_b64 v12, v[6:7]
	s_wait_dscnt 0x0
	ds_load_b64 v[4:5], v23 offset:224
	ds_load_b64 v[2:3], v14 offset:32
	s_wait_dscnt 0x1
	v_cmp_neq_f64_e32 vcc_lo, 0, v[4:5]
	v_cndmask_b32_e32 v5, 0x3ff00000, v5, vcc_lo
	v_cndmask_b32_e32 v4, 0, v4, vcc_lo
	s_nor_b32 s21, vcc_lo, s0
	s_delay_alu instid0(SALU_CYCLE_1)
	s_and_saveexec_b32 s20, s21
	s_cbranch_execz .LBB25_17
; %bb.59:                               ;   in Loop: Header=BB25_19 Depth=1
	v_mbcnt_lo_u32_b32 v4, exec_lo, 0
	s_mov_b32 s21, exec_lo
	s_delay_alu instid0(VALU_DEP_1)
	v_cmpx_eq_u32_e32 0, v4
	s_cbranch_execz .LBB25_16
; %bb.60:                               ;   in Loop: Header=BB25_19 Depth=1
	v_mov_b32_e32 v4, s19
	global_atomic_min_i32 v23, v4, s[10:11] scope:SCOPE_DEV
	s_branch .LBB25_16
.LBB25_61:
	s_wait_xcnt 0x0
	v_mov_b32_e32 v0, v10
	s_wait_kmcnt 0x0
	s_cmp_lg_u32 s1, 0
	s_cselect_b32 s4, -1, 0
	s_cmp_eq_u32 s1, 0
	s_cbranch_scc1 .LBB25_63
; %bb.62:
	v_mad_u32_u24 v0, v8, 5, v9
.LBB25_63:
	s_mul_i32 s26, s26, 25
	v_lshl_add_u32 v2, v8, 3, v14
	s_delay_alu instid0(VALU_DEP_2)
	v_add_nc_u32_e32 v0, s26, v0
	s_mov_b32 s1, exec_lo
	v_cmp_ne_u32_e32 vcc_lo, 0, v9
	global_load_b64 v[0:1], v0, s[16:17] scale_offset
	s_wait_loadcnt 0x0
	ds_store_b64 v2, v[0:1]
	s_wait_dscnt 0x0
	v_cmpx_eq_u32_e32 0, v9
	s_cbranch_execz .LBB25_65
; %bb.64:
	v_mov_b32_e32 v3, 0
	ds_load_2addr_b64 v[4:7], v3 offset0:60 offset1:90
	s_wait_dscnt 0x0
	v_add_f64_e64 v[0:1], v[4:5], -v[6:7]
	s_delay_alu instid0(VALU_DEP_1) | instskip(SKIP_1) | instid1(VALU_DEP_1)
	v_cmp_gt_f64_e64 s0, 0, v[0:1]
	v_xor_b32_e32 v4, 0x80000000, v1
	v_cndmask_b32_e64 v1, v1, v4, s0
	s_delay_alu instid0(VALU_DEP_1) | instskip(SKIP_2) | instid1(SALU_CYCLE_1)
	v_cmp_gt_f64_e64 s0, 0x10000000, v[0:1]
	s_and_b32 s0, s0, exec_lo
	s_cselect_b32 s0, 0x100, 0
	v_ldexp_f64 v[0:1], v[0:1], s0
	s_cselect_b32 s0, 0xffffff80, 0
	s_delay_alu instid0(VALU_DEP_1) | instskip(SKIP_1) | instid1(TRANS32_DEP_1)
	v_rsq_f64_e32 v[4:5], v[0:1]
	v_nop
	v_mul_f64_e32 v[6:7], v[0:1], v[4:5]
	v_mul_f64_e32 v[4:5], 0.5, v[4:5]
	s_delay_alu instid0(VALU_DEP_1) | instskip(NEXT) | instid1(VALU_DEP_1)
	v_fma_f64 v[16:17], -v[4:5], v[6:7], 0.5
	v_fmac_f64_e32 v[6:7], v[6:7], v[16:17]
	v_fmac_f64_e32 v[4:5], v[4:5], v[16:17]
	s_delay_alu instid0(VALU_DEP_2) | instskip(NEXT) | instid1(VALU_DEP_1)
	v_fma_f64 v[16:17], -v[6:7], v[6:7], v[0:1]
	v_fmac_f64_e32 v[6:7], v[16:17], v[4:5]
	s_delay_alu instid0(VALU_DEP_1) | instskip(NEXT) | instid1(VALU_DEP_1)
	v_fma_f64 v[16:17], -v[6:7], v[6:7], v[0:1]
	v_fmac_f64_e32 v[6:7], v[16:17], v[4:5]
	s_delay_alu instid0(VALU_DEP_1) | instskip(SKIP_1) | instid1(VALU_DEP_1)
	v_ldexp_f64 v[4:5], v[6:7], s0
	v_cmp_class_f64_e64 s0, v[0:1], 0x260
	v_dual_cndmask_b32 v1, v5, v1, s0 :: v_dual_cndmask_b32 v0, v4, v0, s0
	ds_store_b64 v3, v[0:1] offset:480
.LBB25_65:
	s_or_b32 exec_lo, exec_lo, s1
	v_dual_mov_b32 v0, 0 :: v_dual_bitop2_b32 v3, v8, v9 bitop3:0x54
	s_wait_dscnt 0x0
	s_add_co_i32 s5, s8, s9
	ds_load_b64 v[0:1], v0 offset:480
	v_cmp_ne_u32_e64 s0, 0, v3
	s_wait_dscnt 0x0
	v_cmp_neq_f64_e64 s1, 0, v[0:1]
	s_delay_alu instid0(VALU_DEP_1) | instskip(SKIP_2) | instid1(SALU_CYCLE_1)
	v_cndmask_b32_e64 v1, 0x3ff00000, v1, s1
	v_cndmask_b32_e64 v0, 0, v0, s1
	s_nor_b32 s1, s1, s0
	s_and_saveexec_b32 s12, s1
	s_cbranch_execz .LBB25_69
; %bb.66:
	v_mbcnt_lo_u32_b32 v0, exec_lo, 0
	s_mov_b32 s13, exec_lo
	s_delay_alu instid0(VALU_DEP_1)
	v_cmpx_eq_u32_e32 0, v0
	s_cbranch_execz .LBB25_68
; %bb.67:
	v_dual_mov_b32 v0, 0 :: v_dual_mov_b32 v1, s5
	global_atomic_min_i32 v0, v1, s[10:11] scope:SCOPE_DEV
.LBB25_68:
	s_wait_xcnt 0x0
	s_or_b32 exec_lo, exec_lo, s13
	v_mov_b64_e32 v[0:1], 1.0
.LBB25_69:
	s_or_b32 exec_lo, exec_lo, s12
	s_and_saveexec_b32 s1, vcc_lo
	s_cbranch_execz .LBB25_71
; %bb.70:
	ds_load_b64 v[4:5], v14
	ds_load_b64 v[6:7], v15
	s_wait_dscnt 0x0
	v_add_f64_e64 v[4:5], v[4:5], -v[6:7]
	s_delay_alu instid0(VALU_DEP_1) | instskip(SKIP_1) | instid1(VALU_DEP_2)
	v_div_scale_f64 v[6:7], null, v[0:1], v[0:1], v[4:5]
	v_div_scale_f64 v[20:21], vcc_lo, v[4:5], v[0:1], v[4:5]
	v_rcp_f64_e32 v[16:17], v[6:7]
	v_nop
	s_delay_alu instid0(TRANS32_DEP_1) | instskip(NEXT) | instid1(VALU_DEP_1)
	v_fma_f64 v[18:19], -v[6:7], v[16:17], 1.0
	v_fmac_f64_e32 v[16:17], v[16:17], v[18:19]
	s_delay_alu instid0(VALU_DEP_1) | instskip(NEXT) | instid1(VALU_DEP_1)
	v_fma_f64 v[18:19], -v[6:7], v[16:17], 1.0
	v_fmac_f64_e32 v[16:17], v[16:17], v[18:19]
	s_delay_alu instid0(VALU_DEP_1) | instskip(NEXT) | instid1(VALU_DEP_1)
	v_mul_f64_e32 v[18:19], v[20:21], v[16:17]
	v_fma_f64 v[6:7], -v[6:7], v[18:19], v[20:21]
	s_delay_alu instid0(VALU_DEP_1) | instskip(NEXT) | instid1(VALU_DEP_1)
	v_div_fmas_f64 v[6:7], v[6:7], v[16:17], v[18:19]
	v_div_fixup_f64 v[0:1], v[6:7], v[0:1], v[4:5]
	ds_store_b64 v14, v[0:1]
	s_wait_storecnt_dscnt 0x0
	ds_load_b64 v[4:5], v13
	ds_load_b64 v[6:7], v12
	s_wait_dscnt 0x0
	v_fmac_f64_e32 v[6:7], v[0:1], v[4:5]
	ds_store_b64 v12, v[6:7]
.LBB25_71:
	s_or_b32 exec_lo, exec_lo, s1
	s_delay_alu instid0(SALU_CYCLE_1)
	s_mov_b32 s1, exec_lo
	s_wait_storecnt_dscnt 0x0
	v_cmpx_eq_u32_e32 1, v9
	s_cbranch_execz .LBB25_73
; %bb.72:
	v_mov_b32_e32 v18, 0
	ds_load_2addr_b64 v[4:7], v18 offset0:67 offset1:97
	s_wait_dscnt 0x0
	v_add_f64_e64 v[0:1], v[4:5], -v[6:7]
	s_delay_alu instid0(VALU_DEP_1) | instskip(SKIP_1) | instid1(VALU_DEP_1)
	v_cmp_gt_f64_e32 vcc_lo, 0, v[0:1]
	v_xor_b32_e32 v4, 0x80000000, v1
	v_cndmask_b32_e32 v1, v1, v4, vcc_lo
	s_delay_alu instid0(VALU_DEP_1) | instskip(SKIP_2) | instid1(SALU_CYCLE_1)
	v_cmp_gt_f64_e32 vcc_lo, 0x10000000, v[0:1]
	s_and_b32 s12, vcc_lo, exec_lo
	s_cselect_b32 s12, 0x100, 0
	v_ldexp_f64 v[0:1], v[0:1], s12
	s_cselect_b32 s12, 0xffffff80, 0
	s_delay_alu instid0(VALU_DEP_1) | instskip(SKIP_1) | instid1(TRANS32_DEP_1)
	v_rsq_f64_e32 v[4:5], v[0:1]
	v_cmp_class_f64_e64 vcc_lo, v[0:1], 0x260
	v_mul_f64_e32 v[6:7], v[0:1], v[4:5]
	v_mul_f64_e32 v[4:5], 0.5, v[4:5]
	s_delay_alu instid0(VALU_DEP_1) | instskip(NEXT) | instid1(VALU_DEP_1)
	v_fma_f64 v[16:17], -v[4:5], v[6:7], 0.5
	v_fmac_f64_e32 v[6:7], v[6:7], v[16:17]
	v_fmac_f64_e32 v[4:5], v[4:5], v[16:17]
	s_delay_alu instid0(VALU_DEP_2) | instskip(NEXT) | instid1(VALU_DEP_1)
	v_fma_f64 v[16:17], -v[6:7], v[6:7], v[0:1]
	v_fmac_f64_e32 v[6:7], v[16:17], v[4:5]
	s_delay_alu instid0(VALU_DEP_1) | instskip(NEXT) | instid1(VALU_DEP_1)
	v_fma_f64 v[16:17], -v[6:7], v[6:7], v[0:1]
	v_fmac_f64_e32 v[6:7], v[16:17], v[4:5]
	s_delay_alu instid0(VALU_DEP_1) | instskip(NEXT) | instid1(VALU_DEP_1)
	v_ldexp_f64 v[4:5], v[6:7], s12
	v_dual_cndmask_b32 v1, v5, v1 :: v_dual_cndmask_b32 v0, v4, v0
	ds_store_b64 v18, v[0:1] offset:536
.LBB25_73:
	s_or_b32 exec_lo, exec_lo, s1
	v_mov_b32_e32 v0, 0
	s_wait_dscnt 0x0
	ds_load_b64 v[0:1], v0 offset:536
	s_wait_dscnt 0x0
	v_cmp_neq_f64_e32 vcc_lo, 0, v[0:1]
	v_cndmask_b32_e32 v1, 0x3ff00000, v1, vcc_lo
	v_cndmask_b32_e32 v0, 0, v0, vcc_lo
	s_nor_b32 s12, vcc_lo, s0
	s_delay_alu instid0(SALU_CYCLE_1)
	s_and_saveexec_b32 s1, s12
	s_cbranch_execz .LBB25_77
; %bb.74:
	v_mbcnt_lo_u32_b32 v0, exec_lo, 0
	s_mov_b32 s12, exec_lo
	s_delay_alu instid0(VALU_DEP_1)
	v_cmpx_eq_u32_e32 0, v0
	s_cbranch_execz .LBB25_76
; %bb.75:
	v_dual_mov_b32 v0, 0 :: v_dual_mov_b32 v1, s5
	global_atomic_min_i32 v0, v1, s[10:11] scope:SCOPE_DEV
.LBB25_76:
	s_wait_xcnt 0x0
	s_or_b32 exec_lo, exec_lo, s12
	v_mov_b64_e32 v[0:1], 1.0
.LBB25_77:
	s_or_b32 exec_lo, exec_lo, s1
	s_delay_alu instid0(SALU_CYCLE_1)
	s_mov_b32 s1, exec_lo
	v_cmpx_lt_u32_e32 1, v9
	s_cbranch_execz .LBB25_79
; %bb.78:
	ds_load_b64 v[4:5], v14 offset:8
	ds_load_b64 v[6:7], v15 offset:8
	s_wait_dscnt 0x0
	v_add_f64_e64 v[4:5], v[4:5], -v[6:7]
	s_delay_alu instid0(VALU_DEP_1) | instskip(SKIP_1) | instid1(VALU_DEP_2)
	v_div_scale_f64 v[6:7], null, v[0:1], v[0:1], v[4:5]
	v_div_scale_f64 v[20:21], vcc_lo, v[4:5], v[0:1], v[4:5]
	v_rcp_f64_e32 v[16:17], v[6:7]
	v_nop
	s_delay_alu instid0(TRANS32_DEP_1) | instskip(NEXT) | instid1(VALU_DEP_1)
	v_fma_f64 v[18:19], -v[6:7], v[16:17], 1.0
	v_fmac_f64_e32 v[16:17], v[16:17], v[18:19]
	s_delay_alu instid0(VALU_DEP_1) | instskip(NEXT) | instid1(VALU_DEP_1)
	v_fma_f64 v[18:19], -v[6:7], v[16:17], 1.0
	v_fmac_f64_e32 v[16:17], v[16:17], v[18:19]
	s_delay_alu instid0(VALU_DEP_1) | instskip(NEXT) | instid1(VALU_DEP_1)
	v_mul_f64_e32 v[18:19], v[20:21], v[16:17]
	v_fma_f64 v[6:7], -v[6:7], v[18:19], v[20:21]
	s_delay_alu instid0(VALU_DEP_1) | instskip(NEXT) | instid1(VALU_DEP_1)
	v_div_fmas_f64 v[6:7], v[6:7], v[16:17], v[18:19]
	v_div_fixup_f64 v[0:1], v[6:7], v[0:1], v[4:5]
	ds_store_b64 v14, v[0:1] offset:8
	s_wait_storecnt_dscnt 0x0
	ds_load_b64 v[4:5], v13 offset:8
	ds_load_b64 v[6:7], v12
	s_wait_dscnt 0x0
	v_fmac_f64_e32 v[6:7], v[0:1], v[4:5]
	ds_store_b64 v12, v[6:7]
.LBB25_79:
	s_or_b32 exec_lo, exec_lo, s1
	s_delay_alu instid0(SALU_CYCLE_1)
	s_mov_b32 s1, exec_lo
	s_wait_storecnt_dscnt 0x0
	v_cmpx_eq_u32_e32 2, v9
	s_cbranch_execz .LBB25_81
; %bb.80:
	v_mov_b32_e32 v18, 0
	ds_load_2addr_b64 v[4:7], v18 offset0:74 offset1:104
	s_wait_dscnt 0x0
	v_add_f64_e64 v[0:1], v[4:5], -v[6:7]
	s_delay_alu instid0(VALU_DEP_1) | instskip(SKIP_1) | instid1(VALU_DEP_1)
	v_cmp_gt_f64_e32 vcc_lo, 0, v[0:1]
	v_xor_b32_e32 v4, 0x80000000, v1
	v_cndmask_b32_e32 v1, v1, v4, vcc_lo
	s_delay_alu instid0(VALU_DEP_1) | instskip(SKIP_2) | instid1(SALU_CYCLE_1)
	v_cmp_gt_f64_e32 vcc_lo, 0x10000000, v[0:1]
	s_and_b32 s12, vcc_lo, exec_lo
	s_cselect_b32 s12, 0x100, 0
	v_ldexp_f64 v[0:1], v[0:1], s12
	s_cselect_b32 s12, 0xffffff80, 0
	s_delay_alu instid0(VALU_DEP_1) | instskip(SKIP_1) | instid1(TRANS32_DEP_1)
	v_rsq_f64_e32 v[4:5], v[0:1]
	v_cmp_class_f64_e64 vcc_lo, v[0:1], 0x260
	v_mul_f64_e32 v[6:7], v[0:1], v[4:5]
	v_mul_f64_e32 v[4:5], 0.5, v[4:5]
	s_delay_alu instid0(VALU_DEP_1) | instskip(NEXT) | instid1(VALU_DEP_1)
	v_fma_f64 v[16:17], -v[4:5], v[6:7], 0.5
	v_fmac_f64_e32 v[6:7], v[6:7], v[16:17]
	v_fmac_f64_e32 v[4:5], v[4:5], v[16:17]
	s_delay_alu instid0(VALU_DEP_2) | instskip(NEXT) | instid1(VALU_DEP_1)
	v_fma_f64 v[16:17], -v[6:7], v[6:7], v[0:1]
	v_fmac_f64_e32 v[6:7], v[16:17], v[4:5]
	s_delay_alu instid0(VALU_DEP_1) | instskip(NEXT) | instid1(VALU_DEP_1)
	v_fma_f64 v[16:17], -v[6:7], v[6:7], v[0:1]
	v_fmac_f64_e32 v[6:7], v[16:17], v[4:5]
	s_delay_alu instid0(VALU_DEP_1) | instskip(NEXT) | instid1(VALU_DEP_1)
	v_ldexp_f64 v[4:5], v[6:7], s12
	v_dual_cndmask_b32 v1, v5, v1 :: v_dual_cndmask_b32 v0, v4, v0
	ds_store_b64 v18, v[0:1] offset:592
.LBB25_81:
	s_or_b32 exec_lo, exec_lo, s1
	v_mov_b32_e32 v0, 0
	s_wait_dscnt 0x0
	ds_load_b64 v[0:1], v0 offset:592
	s_wait_dscnt 0x0
	v_cmp_neq_f64_e32 vcc_lo, 0, v[0:1]
	v_cndmask_b32_e32 v1, 0x3ff00000, v1, vcc_lo
	v_cndmask_b32_e32 v0, 0, v0, vcc_lo
	s_nor_b32 s12, vcc_lo, s0
	s_delay_alu instid0(SALU_CYCLE_1)
	s_and_saveexec_b32 s1, s12
	s_cbranch_execz .LBB25_85
; %bb.82:
	v_mbcnt_lo_u32_b32 v0, exec_lo, 0
	s_mov_b32 s12, exec_lo
	s_delay_alu instid0(VALU_DEP_1)
	v_cmpx_eq_u32_e32 0, v0
	s_cbranch_execz .LBB25_84
; %bb.83:
	v_dual_mov_b32 v0, 0 :: v_dual_mov_b32 v1, s5
	global_atomic_min_i32 v0, v1, s[10:11] scope:SCOPE_DEV
.LBB25_84:
	s_wait_xcnt 0x0
	s_or_b32 exec_lo, exec_lo, s12
	v_mov_b64_e32 v[0:1], 1.0
.LBB25_85:
	s_or_b32 exec_lo, exec_lo, s1
	s_delay_alu instid0(SALU_CYCLE_1)
	s_mov_b32 s1, exec_lo
	v_cmpx_lt_u32_e32 2, v9
	s_cbranch_execz .LBB25_87
; %bb.86:
	ds_load_b64 v[4:5], v14 offset:16
	ds_load_b64 v[6:7], v15 offset:16
	s_wait_dscnt 0x0
	v_add_f64_e64 v[4:5], v[4:5], -v[6:7]
	s_delay_alu instid0(VALU_DEP_1) | instskip(SKIP_1) | instid1(VALU_DEP_2)
	v_div_scale_f64 v[6:7], null, v[0:1], v[0:1], v[4:5]
	v_div_scale_f64 v[20:21], vcc_lo, v[4:5], v[0:1], v[4:5]
	v_rcp_f64_e32 v[16:17], v[6:7]
	v_nop
	s_delay_alu instid0(TRANS32_DEP_1) | instskip(NEXT) | instid1(VALU_DEP_1)
	v_fma_f64 v[18:19], -v[6:7], v[16:17], 1.0
	v_fmac_f64_e32 v[16:17], v[16:17], v[18:19]
	s_delay_alu instid0(VALU_DEP_1) | instskip(NEXT) | instid1(VALU_DEP_1)
	v_fma_f64 v[18:19], -v[6:7], v[16:17], 1.0
	v_fmac_f64_e32 v[16:17], v[16:17], v[18:19]
	s_delay_alu instid0(VALU_DEP_1) | instskip(NEXT) | instid1(VALU_DEP_1)
	v_mul_f64_e32 v[18:19], v[20:21], v[16:17]
	v_fma_f64 v[6:7], -v[6:7], v[18:19], v[20:21]
	s_delay_alu instid0(VALU_DEP_1) | instskip(NEXT) | instid1(VALU_DEP_1)
	v_div_fmas_f64 v[6:7], v[6:7], v[16:17], v[18:19]
	v_div_fixup_f64 v[0:1], v[6:7], v[0:1], v[4:5]
	ds_store_b64 v14, v[0:1] offset:16
	s_wait_storecnt_dscnt 0x0
	ds_load_b64 v[4:5], v13 offset:16
	ds_load_b64 v[6:7], v12
	s_wait_dscnt 0x0
	v_fmac_f64_e32 v[6:7], v[0:1], v[4:5]
	ds_store_b64 v12, v[6:7]
.LBB25_87:
	s_or_b32 exec_lo, exec_lo, s1
	s_delay_alu instid0(SALU_CYCLE_1)
	s_mov_b32 s1, exec_lo
	s_wait_storecnt_dscnt 0x0
	v_cmpx_eq_u32_e32 3, v9
	s_cbranch_execz .LBB25_89
; %bb.88:
	v_mov_b32_e32 v18, 0
	ds_load_2addr_b64 v[4:7], v18 offset0:81 offset1:111
	s_wait_dscnt 0x0
	v_add_f64_e64 v[0:1], v[4:5], -v[6:7]
	s_delay_alu instid0(VALU_DEP_1) | instskip(SKIP_1) | instid1(VALU_DEP_1)
	v_cmp_gt_f64_e32 vcc_lo, 0, v[0:1]
	v_xor_b32_e32 v4, 0x80000000, v1
	v_cndmask_b32_e32 v1, v1, v4, vcc_lo
	s_delay_alu instid0(VALU_DEP_1) | instskip(SKIP_2) | instid1(SALU_CYCLE_1)
	v_cmp_gt_f64_e32 vcc_lo, 0x10000000, v[0:1]
	s_and_b32 s12, vcc_lo, exec_lo
	s_cselect_b32 s12, 0x100, 0
	v_ldexp_f64 v[0:1], v[0:1], s12
	s_cselect_b32 s12, 0xffffff80, 0
	s_delay_alu instid0(VALU_DEP_1) | instskip(SKIP_1) | instid1(TRANS32_DEP_1)
	v_rsq_f64_e32 v[4:5], v[0:1]
	v_cmp_class_f64_e64 vcc_lo, v[0:1], 0x260
	v_mul_f64_e32 v[6:7], v[0:1], v[4:5]
	v_mul_f64_e32 v[4:5], 0.5, v[4:5]
	s_delay_alu instid0(VALU_DEP_1) | instskip(NEXT) | instid1(VALU_DEP_1)
	v_fma_f64 v[16:17], -v[4:5], v[6:7], 0.5
	v_fmac_f64_e32 v[6:7], v[6:7], v[16:17]
	v_fmac_f64_e32 v[4:5], v[4:5], v[16:17]
	s_delay_alu instid0(VALU_DEP_2) | instskip(NEXT) | instid1(VALU_DEP_1)
	v_fma_f64 v[16:17], -v[6:7], v[6:7], v[0:1]
	v_fmac_f64_e32 v[6:7], v[16:17], v[4:5]
	s_delay_alu instid0(VALU_DEP_1) | instskip(NEXT) | instid1(VALU_DEP_1)
	v_fma_f64 v[16:17], -v[6:7], v[6:7], v[0:1]
	v_fmac_f64_e32 v[6:7], v[16:17], v[4:5]
	s_delay_alu instid0(VALU_DEP_1) | instskip(NEXT) | instid1(VALU_DEP_1)
	v_ldexp_f64 v[4:5], v[6:7], s12
	v_dual_cndmask_b32 v1, v5, v1 :: v_dual_cndmask_b32 v0, v4, v0
	ds_store_b64 v18, v[0:1] offset:648
.LBB25_89:
	s_or_b32 exec_lo, exec_lo, s1
	v_mov_b32_e32 v0, 0
	s_wait_dscnt 0x0
	ds_load_b64 v[0:1], v0 offset:648
	s_wait_dscnt 0x0
	v_cmp_neq_f64_e32 vcc_lo, 0, v[0:1]
	v_cndmask_b32_e32 v1, 0x3ff00000, v1, vcc_lo
	v_cndmask_b32_e32 v0, 0, v0, vcc_lo
	s_nor_b32 s12, vcc_lo, s0
	s_delay_alu instid0(SALU_CYCLE_1)
	s_and_saveexec_b32 s1, s12
	s_cbranch_execz .LBB25_93
; %bb.90:
	v_mbcnt_lo_u32_b32 v0, exec_lo, 0
	s_mov_b32 s12, exec_lo
	s_delay_alu instid0(VALU_DEP_1)
	v_cmpx_eq_u32_e32 0, v0
	s_cbranch_execz .LBB25_92
; %bb.91:
	v_dual_mov_b32 v0, 0 :: v_dual_mov_b32 v1, s5
	global_atomic_min_i32 v0, v1, s[10:11] scope:SCOPE_DEV
.LBB25_92:
	s_wait_xcnt 0x0
	s_or_b32 exec_lo, exec_lo, s12
	v_mov_b64_e32 v[0:1], 1.0
.LBB25_93:
	s_or_b32 exec_lo, exec_lo, s1
	s_delay_alu instid0(SALU_CYCLE_1)
	s_mov_b32 s1, exec_lo
	v_cmpx_lt_u32_e32 3, v9
	s_cbranch_execz .LBB25_95
; %bb.94:
	ds_load_b64 v[4:5], v14 offset:24
	ds_load_b64 v[6:7], v15 offset:24
	s_wait_dscnt 0x0
	v_add_f64_e64 v[4:5], v[4:5], -v[6:7]
	s_delay_alu instid0(VALU_DEP_1) | instskip(SKIP_1) | instid1(VALU_DEP_2)
	v_div_scale_f64 v[6:7], null, v[0:1], v[0:1], v[4:5]
	v_div_scale_f64 v[20:21], vcc_lo, v[4:5], v[0:1], v[4:5]
	v_rcp_f64_e32 v[16:17], v[6:7]
	v_nop
	s_delay_alu instid0(TRANS32_DEP_1) | instskip(NEXT) | instid1(VALU_DEP_1)
	v_fma_f64 v[18:19], -v[6:7], v[16:17], 1.0
	v_fmac_f64_e32 v[16:17], v[16:17], v[18:19]
	s_delay_alu instid0(VALU_DEP_1) | instskip(NEXT) | instid1(VALU_DEP_1)
	v_fma_f64 v[18:19], -v[6:7], v[16:17], 1.0
	v_fmac_f64_e32 v[16:17], v[16:17], v[18:19]
	s_delay_alu instid0(VALU_DEP_1) | instskip(NEXT) | instid1(VALU_DEP_1)
	v_mul_f64_e32 v[18:19], v[20:21], v[16:17]
	v_fma_f64 v[6:7], -v[6:7], v[18:19], v[20:21]
	s_delay_alu instid0(VALU_DEP_1) | instskip(NEXT) | instid1(VALU_DEP_1)
	v_div_fmas_f64 v[6:7], v[6:7], v[16:17], v[18:19]
	v_div_fixup_f64 v[0:1], v[6:7], v[0:1], v[4:5]
	ds_store_b64 v14, v[0:1] offset:24
	s_wait_storecnt_dscnt 0x0
	ds_load_b64 v[4:5], v13 offset:24
	ds_load_b64 v[6:7], v12
	s_wait_dscnt 0x0
	v_fmac_f64_e32 v[6:7], v[0:1], v[4:5]
	ds_store_b64 v12, v[6:7]
.LBB25_95:
	s_or_b32 exec_lo, exec_lo, s1
	s_delay_alu instid0(SALU_CYCLE_1)
	s_mov_b32 s1, exec_lo
	s_wait_storecnt_dscnt 0x0
	v_cmpx_eq_u32_e32 4, v9
	s_cbranch_execz .LBB25_97
; %bb.96:
	v_mov_b32_e32 v18, 0
	ds_load_2addr_b64 v[4:7], v18 offset0:88 offset1:118
	s_wait_dscnt 0x0
	v_add_f64_e64 v[0:1], v[4:5], -v[6:7]
	s_delay_alu instid0(VALU_DEP_1) | instskip(SKIP_1) | instid1(VALU_DEP_1)
	v_cmp_gt_f64_e32 vcc_lo, 0, v[0:1]
	v_xor_b32_e32 v4, 0x80000000, v1
	v_cndmask_b32_e32 v1, v1, v4, vcc_lo
	s_delay_alu instid0(VALU_DEP_1) | instskip(SKIP_2) | instid1(SALU_CYCLE_1)
	v_cmp_gt_f64_e32 vcc_lo, 0x10000000, v[0:1]
	s_and_b32 s12, vcc_lo, exec_lo
	s_cselect_b32 s12, 0x100, 0
	v_ldexp_f64 v[0:1], v[0:1], s12
	s_cselect_b32 s12, 0xffffff80, 0
	s_delay_alu instid0(VALU_DEP_1) | instskip(SKIP_1) | instid1(TRANS32_DEP_1)
	v_rsq_f64_e32 v[4:5], v[0:1]
	v_cmp_class_f64_e64 vcc_lo, v[0:1], 0x260
	v_mul_f64_e32 v[6:7], v[0:1], v[4:5]
	v_mul_f64_e32 v[4:5], 0.5, v[4:5]
	s_delay_alu instid0(VALU_DEP_1) | instskip(NEXT) | instid1(VALU_DEP_1)
	v_fma_f64 v[16:17], -v[4:5], v[6:7], 0.5
	v_fmac_f64_e32 v[6:7], v[6:7], v[16:17]
	v_fmac_f64_e32 v[4:5], v[4:5], v[16:17]
	s_delay_alu instid0(VALU_DEP_2) | instskip(NEXT) | instid1(VALU_DEP_1)
	v_fma_f64 v[16:17], -v[6:7], v[6:7], v[0:1]
	v_fmac_f64_e32 v[6:7], v[16:17], v[4:5]
	s_delay_alu instid0(VALU_DEP_1) | instskip(NEXT) | instid1(VALU_DEP_1)
	v_fma_f64 v[16:17], -v[6:7], v[6:7], v[0:1]
	v_fmac_f64_e32 v[6:7], v[16:17], v[4:5]
	s_delay_alu instid0(VALU_DEP_1) | instskip(NEXT) | instid1(VALU_DEP_1)
	v_ldexp_f64 v[4:5], v[6:7], s12
	v_dual_cndmask_b32 v1, v5, v1 :: v_dual_cndmask_b32 v0, v4, v0
	ds_store_b64 v18, v[0:1] offset:704
.LBB25_97:
	s_or_b32 exec_lo, exec_lo, s1
	v_mov_b32_e32 v0, 0
	s_wait_dscnt 0x0
	ds_load_b64 v[0:1], v0 offset:704
	s_wait_dscnt 0x0
	v_cmp_neq_f64_e32 vcc_lo, 0, v[0:1]
	v_cndmask_b32_e32 v1, 0x3ff00000, v1, vcc_lo
	v_cndmask_b32_e32 v0, 0, v0, vcc_lo
	s_nor_b32 s1, vcc_lo, s0
	s_delay_alu instid0(SALU_CYCLE_1)
	s_and_saveexec_b32 s0, s1
	s_cbranch_execz .LBB25_101
; %bb.98:
	v_mbcnt_lo_u32_b32 v0, exec_lo, 0
	s_mov_b32 s1, exec_lo
	s_delay_alu instid0(VALU_DEP_1)
	v_cmpx_eq_u32_e32 0, v0
	s_cbranch_execz .LBB25_100
; %bb.99:
	v_dual_mov_b32 v0, 0 :: v_dual_mov_b32 v1, s5
	global_atomic_min_i32 v0, v1, s[10:11] scope:SCOPE_DEV
.LBB25_100:
	s_wait_xcnt 0x0
	s_or_b32 exec_lo, exec_lo, s1
	v_mov_b64_e32 v[0:1], 1.0
.LBB25_101:
	s_or_b32 exec_lo, exec_lo, s0
	s_delay_alu instid0(SALU_CYCLE_1)
	s_mov_b32 s0, exec_lo
	v_cmpx_lt_u32_e32 4, v9
	s_cbranch_execz .LBB25_103
; %bb.102:
	ds_load_b64 v[4:5], v14 offset:32
	ds_load_b64 v[6:7], v15 offset:32
	s_wait_dscnt 0x0
	v_add_f64_e64 v[4:5], v[4:5], -v[6:7]
	s_delay_alu instid0(VALU_DEP_1) | instskip(SKIP_1) | instid1(VALU_DEP_2)
	v_div_scale_f64 v[6:7], null, v[0:1], v[0:1], v[4:5]
	v_div_scale_f64 v[20:21], vcc_lo, v[4:5], v[0:1], v[4:5]
	v_rcp_f64_e32 v[16:17], v[6:7]
	v_nop
	s_delay_alu instid0(TRANS32_DEP_1) | instskip(NEXT) | instid1(VALU_DEP_1)
	v_fma_f64 v[18:19], -v[6:7], v[16:17], 1.0
	v_fmac_f64_e32 v[16:17], v[16:17], v[18:19]
	s_delay_alu instid0(VALU_DEP_1) | instskip(NEXT) | instid1(VALU_DEP_1)
	v_fma_f64 v[18:19], -v[6:7], v[16:17], 1.0
	v_fmac_f64_e32 v[16:17], v[16:17], v[18:19]
	s_delay_alu instid0(VALU_DEP_1) | instskip(NEXT) | instid1(VALU_DEP_1)
	v_mul_f64_e32 v[18:19], v[20:21], v[16:17]
	v_fma_f64 v[6:7], -v[6:7], v[18:19], v[20:21]
	s_delay_alu instid0(VALU_DEP_1) | instskip(NEXT) | instid1(VALU_DEP_1)
	v_div_fmas_f64 v[6:7], v[6:7], v[16:17], v[18:19]
	v_div_fixup_f64 v[0:1], v[6:7], v[0:1], v[4:5]
	ds_store_b64 v14, v[0:1] offset:32
	s_wait_storecnt_dscnt 0x0
	ds_load_b64 v[4:5], v13 offset:32
	ds_load_b64 v[6:7], v12
	s_wait_dscnt 0x0
	v_fmac_f64_e32 v[6:7], v[0:1], v[4:5]
	ds_store_b64 v12, v[6:7]
.LBB25_103:
	s_or_b32 exec_lo, exec_lo, s0
	s_wait_storecnt_dscnt 0x0
	ds_load_b64 v[0:1], v2
	s_and_not1_b32 vcc_lo, exec_lo, s4
	s_cbranch_vccnz .LBB25_105
; %bb.104:
	v_mov_b32_e32 v10, v11
.LBB25_105:
	s_delay_alu instid0(VALU_DEP_1)
	v_add_nc_u32_e32 v2, s26, v10
	s_mov_b32 s0, 0
	s_mov_b32 s1, exec_lo
	s_wait_dscnt 0x0
	global_store_b64 v2, v[0:1], s[16:17] scale_offset
	s_wait_xcnt 0x0
	v_cmpx_eq_u32_e32 0, v3
	s_cbranch_execz .LBB25_107
; %bb.106:
	v_dual_mov_b32 v0, 0 :: v_dual_mov_b32 v1, 1
	s_add_nc_u64 s[4:5], s[6:7], s[2:3]
	global_wb scope:SCOPE_DEV
	s_wait_storecnt 0x0
	global_store_b32 v0, v1, s[4:5] scope:SCOPE_DEV
.LBB25_107:
	s_wait_xcnt 0x0
	s_or_b32 exec_lo, exec_lo, s1
	s_delay_alu instid0(SALU_CYCLE_1)
	s_and_b32 vcc_lo, exec_lo, s0
	s_cbranch_vccnz .LBB25_110
.LBB25_108:
	s_endpgm
.LBB25_109:
	s_cbranch_execz .LBB25_108
.LBB25_110:
	v_or_b32_e32 v0, v8, v9
	s_mov_b32 s0, exec_lo
	s_delay_alu instid0(VALU_DEP_1)
	v_cmpx_eq_u32_e32 0, v0
	s_cbranch_execz .LBB25_108
; %bb.111:
	v_mbcnt_lo_u32_b32 v0, exec_lo, 0
	s_mov_b32 s0, exec_lo
	s_delay_alu instid0(VALU_DEP_1)
	v_cmpx_eq_u32_e32 0, v0
	s_cbranch_execz .LBB25_113
; %bb.112:
	s_add_co_i32 s1, s8, s9
	s_delay_alu instid0(SALU_CYCLE_1)
	v_dual_mov_b32 v0, 0 :: v_dual_mov_b32 v1, s1
	global_atomic_min_i32 v0, v1, s[10:11] scope:SCOPE_DEV
.LBB25_113:
	s_wait_xcnt 0x0
	s_or_b32 exec_lo, exec_lo, s0
	v_dual_mov_b32 v0, 0 :: v_dual_mov_b32 v1, 1
	s_add_nc_u64 s[0:1], s[6:7], s[2:3]
	global_wb scope:SCOPE_DEV
	s_wait_storecnt 0x0
	global_store_b32 v0, v1, s[0:1] scope:SCOPE_DEV
	s_endpgm
	.section	.rodata,"a",@progbits
	.p2align	6, 0x0
	.amdhsa_kernel _ZN9rocsparseL26bsric0_2_8_unrolled_kernelILi25ELi32ELi5EdEEv20rocsparse_direction_iiPKiS3_PT2_S3_PiS3_S6_21rocsparse_index_base_
		.amdhsa_group_segment_fixed_size 1344
		.amdhsa_private_segment_fixed_size 0
		.amdhsa_kernarg_size 76
		.amdhsa_user_sgpr_count 2
		.amdhsa_user_sgpr_dispatch_ptr 0
		.amdhsa_user_sgpr_queue_ptr 0
		.amdhsa_user_sgpr_kernarg_segment_ptr 1
		.amdhsa_user_sgpr_dispatch_id 0
		.amdhsa_user_sgpr_kernarg_preload_length 0
		.amdhsa_user_sgpr_kernarg_preload_offset 0
		.amdhsa_user_sgpr_private_segment_size 0
		.amdhsa_wavefront_size32 1
		.amdhsa_uses_dynamic_stack 0
		.amdhsa_enable_private_segment 0
		.amdhsa_system_sgpr_workgroup_id_x 1
		.amdhsa_system_sgpr_workgroup_id_y 0
		.amdhsa_system_sgpr_workgroup_id_z 0
		.amdhsa_system_sgpr_workgroup_info 0
		.amdhsa_system_vgpr_workitem_id 1
		.amdhsa_next_free_vgpr 48
		.amdhsa_next_free_sgpr 37
		.amdhsa_named_barrier_count 0
		.amdhsa_reserve_vcc 1
		.amdhsa_float_round_mode_32 0
		.amdhsa_float_round_mode_16_64 0
		.amdhsa_float_denorm_mode_32 3
		.amdhsa_float_denorm_mode_16_64 3
		.amdhsa_fp16_overflow 0
		.amdhsa_memory_ordered 1
		.amdhsa_forward_progress 1
		.amdhsa_inst_pref_size 57
		.amdhsa_round_robin_scheduling 0
		.amdhsa_exception_fp_ieee_invalid_op 0
		.amdhsa_exception_fp_denorm_src 0
		.amdhsa_exception_fp_ieee_div_zero 0
		.amdhsa_exception_fp_ieee_overflow 0
		.amdhsa_exception_fp_ieee_underflow 0
		.amdhsa_exception_fp_ieee_inexact 0
		.amdhsa_exception_int_div_zero 0
	.end_amdhsa_kernel
	.section	.text._ZN9rocsparseL26bsric0_2_8_unrolled_kernelILi25ELi32ELi5EdEEv20rocsparse_direction_iiPKiS3_PT2_S3_PiS3_S6_21rocsparse_index_base_,"axG",@progbits,_ZN9rocsparseL26bsric0_2_8_unrolled_kernelILi25ELi32ELi5EdEEv20rocsparse_direction_iiPKiS3_PT2_S3_PiS3_S6_21rocsparse_index_base_,comdat
.Lfunc_end25:
	.size	_ZN9rocsparseL26bsric0_2_8_unrolled_kernelILi25ELi32ELi5EdEEv20rocsparse_direction_iiPKiS3_PT2_S3_PiS3_S6_21rocsparse_index_base_, .Lfunc_end25-_ZN9rocsparseL26bsric0_2_8_unrolled_kernelILi25ELi32ELi5EdEEv20rocsparse_direction_iiPKiS3_PT2_S3_PiS3_S6_21rocsparse_index_base_
                                        ; -- End function
	.set _ZN9rocsparseL26bsric0_2_8_unrolled_kernelILi25ELi32ELi5EdEEv20rocsparse_direction_iiPKiS3_PT2_S3_PiS3_S6_21rocsparse_index_base_.num_vgpr, 48
	.set _ZN9rocsparseL26bsric0_2_8_unrolled_kernelILi25ELi32ELi5EdEEv20rocsparse_direction_iiPKiS3_PT2_S3_PiS3_S6_21rocsparse_index_base_.num_agpr, 0
	.set _ZN9rocsparseL26bsric0_2_8_unrolled_kernelILi25ELi32ELi5EdEEv20rocsparse_direction_iiPKiS3_PT2_S3_PiS3_S6_21rocsparse_index_base_.numbered_sgpr, 37
	.set _ZN9rocsparseL26bsric0_2_8_unrolled_kernelILi25ELi32ELi5EdEEv20rocsparse_direction_iiPKiS3_PT2_S3_PiS3_S6_21rocsparse_index_base_.num_named_barrier, 0
	.set _ZN9rocsparseL26bsric0_2_8_unrolled_kernelILi25ELi32ELi5EdEEv20rocsparse_direction_iiPKiS3_PT2_S3_PiS3_S6_21rocsparse_index_base_.private_seg_size, 0
	.set _ZN9rocsparseL26bsric0_2_8_unrolled_kernelILi25ELi32ELi5EdEEv20rocsparse_direction_iiPKiS3_PT2_S3_PiS3_S6_21rocsparse_index_base_.uses_vcc, 1
	.set _ZN9rocsparseL26bsric0_2_8_unrolled_kernelILi25ELi32ELi5EdEEv20rocsparse_direction_iiPKiS3_PT2_S3_PiS3_S6_21rocsparse_index_base_.uses_flat_scratch, 0
	.set _ZN9rocsparseL26bsric0_2_8_unrolled_kernelILi25ELi32ELi5EdEEv20rocsparse_direction_iiPKiS3_PT2_S3_PiS3_S6_21rocsparse_index_base_.has_dyn_sized_stack, 0
	.set _ZN9rocsparseL26bsric0_2_8_unrolled_kernelILi25ELi32ELi5EdEEv20rocsparse_direction_iiPKiS3_PT2_S3_PiS3_S6_21rocsparse_index_base_.has_recursion, 0
	.set _ZN9rocsparseL26bsric0_2_8_unrolled_kernelILi25ELi32ELi5EdEEv20rocsparse_direction_iiPKiS3_PT2_S3_PiS3_S6_21rocsparse_index_base_.has_indirect_call, 0
	.section	.AMDGPU.csdata,"",@progbits
; Kernel info:
; codeLenInByte = 7288
; TotalNumSgprs: 39
; NumVgprs: 48
; ScratchSize: 0
; MemoryBound: 1
; FloatMode: 240
; IeeeMode: 1
; LDSByteSize: 1344 bytes/workgroup (compile time only)
; SGPRBlocks: 0
; VGPRBlocks: 2
; NumSGPRsForWavesPerEU: 39
; NumVGPRsForWavesPerEU: 48
; NamedBarCnt: 0
; Occupancy: 16
; WaveLimiterHint : 1
; COMPUTE_PGM_RSRC2:SCRATCH_EN: 0
; COMPUTE_PGM_RSRC2:USER_SGPR: 2
; COMPUTE_PGM_RSRC2:TRAP_HANDLER: 0
; COMPUTE_PGM_RSRC2:TGID_X_EN: 1
; COMPUTE_PGM_RSRC2:TGID_Y_EN: 0
; COMPUTE_PGM_RSRC2:TGID_Z_EN: 0
; COMPUTE_PGM_RSRC2:TIDIG_COMP_CNT: 1
	.section	.text._ZN9rocsparseL26bsric0_2_8_unrolled_kernelILi36ELi32ELi6EdEEv20rocsparse_direction_iiPKiS3_PT2_S3_PiS3_S6_21rocsparse_index_base_,"axG",@progbits,_ZN9rocsparseL26bsric0_2_8_unrolled_kernelILi36ELi32ELi6EdEEv20rocsparse_direction_iiPKiS3_PT2_S3_PiS3_S6_21rocsparse_index_base_,comdat
	.globl	_ZN9rocsparseL26bsric0_2_8_unrolled_kernelILi36ELi32ELi6EdEEv20rocsparse_direction_iiPKiS3_PT2_S3_PiS3_S6_21rocsparse_index_base_ ; -- Begin function _ZN9rocsparseL26bsric0_2_8_unrolled_kernelILi36ELi32ELi6EdEEv20rocsparse_direction_iiPKiS3_PT2_S3_PiS3_S6_21rocsparse_index_base_
	.p2align	8
	.type	_ZN9rocsparseL26bsric0_2_8_unrolled_kernelILi36ELi32ELi6EdEEv20rocsparse_direction_iiPKiS3_PT2_S3_PiS3_S6_21rocsparse_index_base_,@function
_ZN9rocsparseL26bsric0_2_8_unrolled_kernelILi36ELi32ELi6EdEEv20rocsparse_direction_iiPKiS3_PT2_S3_PiS3_S6_21rocsparse_index_base_: ; @_ZN9rocsparseL26bsric0_2_8_unrolled_kernelILi36ELi32ELi6EdEEv20rocsparse_direction_iiPKiS3_PT2_S3_PiS3_S6_21rocsparse_index_base_
; %bb.0:
	s_load_b256 s[4:11], s[0:1], 0x28
	s_bfe_u32 s2, ttmp6, 0x4000c
	s_and_b32 s3, ttmp6, 15
	s_add_co_i32 s2, s2, 1
	s_getreg_b32 s12, hwreg(HW_REG_IB_STS2, 6, 4)
	s_mul_i32 s2, ttmp9, s2
	v_and_b32_e32 v8, 0x3ff, v0
	s_add_co_i32 s3, s3, s2
	s_cmp_eq_u32 s12, 0
	v_bfe_u32 v9, v0, 10, 10
	s_cselect_b32 s2, ttmp9, s3
	s_wait_kmcnt 0x0
	s_load_b32 s8, s[8:9], s2 offset:0x0 scale_offset
	s_wait_kmcnt 0x0
	s_ashr_i32 s9, s8, 31
	s_delay_alu instid0(SALU_CYCLE_1) | instskip(NEXT) | instid1(SALU_CYCLE_1)
	s_lshl_b64 s[2:3], s[8:9], 2
	s_add_nc_u64 s[12:13], s[4:5], s[2:3]
	s_load_b32 s26, s[12:13], 0x0
	s_load_b32 s9, s[0:1], 0x48
	s_wait_kmcnt 0x0
	s_cmp_lg_u32 s26, -1
	s_cbranch_scc0 .LBB26_121
; %bb.1:
	s_clause 0x1
	s_load_b128 s[12:15], s[0:1], 0x10
	s_load_b64 s[16:17], s[0:1], 0x20
	v_mad_u32_u24 v10, v9, 6, v8
	v_mul_u32_u24_e32 v16, 6, v9
	s_wait_kmcnt 0x0
	s_add_nc_u64 s[18:19], s[12:13], s[2:3]
	s_load_b32 s19, s[18:19], 0x0
	s_wait_xcnt 0x0
	s_mov_b32 s18, exec_lo
	s_wait_kmcnt 0x0
	s_sub_co_i32 s27, s19, s9
	s_delay_alu instid0(SALU_CYCLE_1) | instskip(NEXT) | instid1(VALU_DEP_1)
	v_add_nc_u32_e32 v0, s27, v10
	v_cmpx_ge_i32_e64 s26, v0
	s_cbranch_execz .LBB26_14
; %bb.2:
	v_add_nc_u32_e32 v1, s19, v8
	s_add_co_i32 s20, s26, 1
	s_mov_b32 s21, -1
	s_delay_alu instid0(VALU_DEP_1) | instskip(NEXT) | instid1(VALU_DEP_1)
	v_add_nc_u32_e32 v2, v1, v16
	v_subrev_nc_u32_e32 v2, s9, v2
	s_delay_alu instid0(VALU_DEP_1) | instskip(SKIP_1) | instid1(VALU_DEP_1)
	v_add_max_i32_e64 v2, v2, 36, s20
	s_mov_b32 s20, exec_lo
	v_add_nc_u32_e32 v2, s9, v2
	s_delay_alu instid0(VALU_DEP_1) | instskip(NEXT) | instid1(VALU_DEP_1)
	v_sub_nc_u32_e32 v1, v2, v1
	v_subrev_nc_u32_e32 v1, 36, v1
	s_delay_alu instid0(VALU_DEP_1) | instskip(SKIP_1) | instid1(VALU_DEP_1)
	v_cmp_ne_u32_e32 vcc_lo, v1, v16
	v_cndmask_b32_e64 v2, 0, 1, vcc_lo
	v_or_b32_e32 v2, v16, v2
	s_delay_alu instid0(VALU_DEP_1) | instskip(NEXT) | instid1(VALU_DEP_1)
	v_sub_nc_u32_e32 v1, v1, v2
	v_mul_hi_u32 v1, 0x38e38e39, v1
	s_delay_alu instid0(VALU_DEP_1) | instskip(NEXT) | instid1(VALU_DEP_1)
	v_lshrrev_b32_e32 v1, 3, v1
	v_add_co_ci_u32_e64 v4, null, 0, v1, vcc_lo
	s_delay_alu instid0(VALU_DEP_1)
	v_cmpx_ne_u32_e32 0, v4
	s_cbranch_execz .LBB26_11
; %bb.3:
	v_add_nc_u32_e32 v1, -1, v4
	s_mov_b32 s21, exec_lo
	s_delay_alu instid0(VALU_DEP_1) | instskip(NEXT) | instid1(VALU_DEP_1)
	v_dual_lshrrev_b32 v2, 1, v1 :: v_dual_add_nc_u32 v1, 36, v0
	v_add_nc_u32_e32 v5, 1, v2
	s_delay_alu instid0(VALU_DEP_2)
	v_mov_b64_e32 v[2:3], v[0:1]
	v_cmpx_lt_u32_e32 14, v4
	s_cbranch_execz .LBB26_7
; %bb.4:
	v_mov_b64_e32 v[2:3], v[0:1]
	v_and_b32_e32 v6, -8, v5
	s_mov_b32 s22, 0
.LBB26_5:                               ; =>This Inner Loop Header: Depth=1
	s_clause 0x1
	global_load_b32 v1, v2, s[14:15] scale_offset
	global_load_b32 v7, v3, s[14:15] scale_offset
	v_add_nc_u32_e32 v18, 0x120, v3
	v_add_nc_u32_e32 v15, 0xd8, v3
	;; [unrolled: 1-line block ×14, first 2 shown]
	s_clause 0xd
	global_load_b32 v26, v18, s[14:15] scale_offset
	global_load_b32 v27, v15, s[14:15] scale_offset
	;; [unrolled: 1-line block ×14, first 2 shown]
	v_subrev_nc_u32_e32 v40, s27, v2
	v_subrev_nc_u32_e32 v41, s27, v3
	v_add_nc_u32_e32 v6, -8, v6
	s_wait_xcnt 0x9
	v_subrev_nc_u32_e32 v12, s27, v12
	v_subrev_nc_u32_e32 v11, s27, v11
	v_dual_lshlrev_b32 v40, 2, v40 :: v_dual_lshlrev_b32 v41, 2, v41
	s_wait_xcnt 0x8
	v_subrev_nc_u32_e32 v14, s27, v14
	v_subrev_nc_u32_e32 v13, s27, v13
	v_cmp_eq_u32_e32 vcc_lo, 0, v6
	s_wait_xcnt 0x7
	v_subrev_nc_u32_e32 v17, s27, v17
	v_add_nc_u32_e32 v3, 0x240, v3
	v_subrev_nc_u32_e32 v15, s27, v15
	v_subrev_nc_u32_e32 v18, s27, v18
	s_wait_xcnt 0x6
	v_subrev_nc_u32_e32 v19, s27, v19
	s_wait_xcnt 0x3
	;; [unrolled: 2-line block ×3, first 2 shown]
	v_subrev_nc_u32_e32 v21, s27, v21
	v_subrev_nc_u32_e32 v22, s27, v22
	s_wait_xcnt 0x1
	v_subrev_nc_u32_e32 v23, s27, v23
	v_subrev_nc_u32_e32 v24, s27, v24
	s_wait_xcnt 0x0
	v_subrev_nc_u32_e32 v25, s27, v25
	v_add_nc_u32_e32 v2, 0x240, v2
	v_dual_lshlrev_b32 v12, 2, v12 :: v_dual_lshlrev_b32 v11, 2, v11
	v_dual_lshlrev_b32 v14, 2, v14 :: v_dual_lshlrev_b32 v13, 2, v13
	v_lshlrev_b32_e32 v15, 2, v15
	s_or_b32 s22, vcc_lo, s22
	v_dual_lshlrev_b32 v17, 2, v17 :: v_dual_lshlrev_b32 v19, 2, v19
	v_dual_lshlrev_b32 v18, 2, v18 :: v_dual_lshlrev_b32 v21, 2, v21
	;; [unrolled: 1-line block ×4, first 2 shown]
	v_lshlrev_b32_e32 v24, 2, v24
	s_wait_loadcnt 0xf
	v_subrev_nc_u32_e32 v1, s9, v1
	s_wait_loadcnt 0xe
	v_subrev_nc_u32_e32 v7, s9, v7
	ds_store_b32 v40, v1 offset:1600
	ds_store_b32 v41, v7 offset:1600
	s_wait_loadcnt 0xa
	v_subrev_nc_u32_e32 v1, s9, v29
	s_wait_loadcnt 0x9
	v_subrev_nc_u32_e32 v7, s9, v30
	;; [unrolled: 2-line block ×3, first 2 shown]
	v_subrev_nc_u32_e32 v28, s9, v28
	s_wait_loadcnt 0x7
	v_subrev_nc_u32_e32 v30, s9, v32
	v_subrev_nc_u32_e32 v27, s9, v27
	;; [unrolled: 1-line block ×3, first 2 shown]
	s_wait_loadcnt 0x6
	v_subrev_nc_u32_e32 v31, s9, v33
	s_wait_loadcnt 0x3
	v_subrev_nc_u32_e32 v32, s9, v36
	;; [unrolled: 2-line block ×3, first 2 shown]
	v_subrev_nc_u32_e32 v35, s9, v35
	s_wait_loadcnt 0x1
	v_subrev_nc_u32_e32 v36, s9, v38
	v_subrev_nc_u32_e32 v34, s9, v34
	s_wait_loadcnt 0x0
	v_subrev_nc_u32_e32 v37, s9, v39
	ds_store_b32 v12, v7 offset:1600
	ds_store_b32 v11, v1 offset:1600
	;; [unrolled: 1-line block ×14, first 2 shown]
	s_and_not1_b32 exec_lo, exec_lo, s22
	s_cbranch_execnz .LBB26_5
; %bb.6:
	s_or_b32 exec_lo, exec_lo, s22
.LBB26_7:
	s_delay_alu instid0(SALU_CYCLE_1) | instskip(SKIP_3) | instid1(VALU_DEP_1)
	s_or_b32 exec_lo, exec_lo, s21
	v_and_b32_e32 v1, 7, v5
	s_mov_b32 s22, 0
	s_mov_b32 s21, exec_lo
	v_cmpx_ne_u32_e32 0, v1
	s_cbranch_execz .LBB26_10
; %bb.8:
	v_sub_nc_u32_e32 v1, 0, v1
.LBB26_9:                               ; =>This Inner Loop Header: Depth=1
	s_clause 0x1
	global_load_b32 v5, v3, s[14:15] scale_offset
	global_load_b32 v6, v2, s[14:15] scale_offset
	v_subrev_nc_u32_e32 v7, s27, v2
	v_subrev_nc_u32_e32 v11, s27, v3
	s_wait_xcnt 0x1
	v_add_nc_u32_e32 v3, 0x48, v3
	s_wait_xcnt 0x0
	v_add_nc_u32_e32 v2, 0x48, v2
	v_add_co_u32 v1, s23, v1, 1
	v_lshlrev_b32_e32 v7, 2, v7
	v_lshlrev_b32_e32 v11, 2, v11
	s_or_b32 s22, s23, s22
	s_wait_loadcnt 0x1
	v_subrev_nc_u32_e32 v5, s9, v5
	s_wait_loadcnt 0x0
	v_subrev_nc_u32_e32 v6, s9, v6
	ds_store_b32 v7, v6 offset:1600
	ds_store_b32 v11, v5 offset:1600
	s_and_not1_b32 exec_lo, exec_lo, s22
	s_cbranch_execnz .LBB26_9
.LBB26_10:
	s_or_b32 exec_lo, exec_lo, s21
	v_add_nc_u32_e32 v1, 1, v4
	s_delay_alu instid0(VALU_DEP_1) | instskip(NEXT) | instid1(VALU_DEP_1)
	v_and_b32_e32 v2, 0x1ffffffe, v1
	v_mad_u32 v0, v2, 36, v0
	v_cmp_ne_u32_e32 vcc_lo, v1, v2
	s_or_not1_b32 s21, vcc_lo, exec_lo
.LBB26_11:
	s_or_b32 exec_lo, exec_lo, s20
	s_delay_alu instid0(SALU_CYCLE_1)
	s_and_b32 exec_lo, exec_lo, s21
	s_cbranch_execz .LBB26_14
; %bb.12:
	s_delay_alu instid0(VALU_DEP_2) | instskip(NEXT) | instid1(VALU_DEP_1)
	v_add_nc_u32_e32 v1, s9, v0
	v_subrev_nc_u32_e32 v2, s19, v1
	v_ashrrev_i32_e32 v1, 31, v0
	s_mov_b32 s19, 0
	s_delay_alu instid0(VALU_DEP_2) | instskip(NEXT) | instid1(VALU_DEP_2)
	v_lshl_add_u32 v4, v2, 2, 0x640
	v_lshl_add_u64 v[2:3], v[0:1], 2, s[14:15]
.LBB26_13:                              ; =>This Inner Loop Header: Depth=1
	global_load_b32 v1, v[2:3], off
	v_add_nc_u32_e32 v0, 36, v0
	s_wait_xcnt 0x0
	v_add_nc_u64_e32 v[2:3], 0x90, v[2:3]
	s_delay_alu instid0(VALU_DEP_2)
	v_cmp_lt_i32_e32 vcc_lo, s26, v0
	s_or_b32 s19, vcc_lo, s19
	s_wait_loadcnt 0x0
	v_subrev_nc_u32_e32 v1, s9, v1
	ds_store_b32 v4, v1
	v_add_nc_u32_e32 v4, 0x90, v4
	s_and_not1_b32 exec_lo, exec_lo, s19
	s_cbranch_execnz .LBB26_13
.LBB26_14:
	s_or_b32 exec_lo, exec_lo, s18
	s_load_b32 s1, s[0:1], 0x0
	v_mad_u32_u24 v15, v9, 56, 0x3f0
	v_mov_b64_e32 v[0:1], 0
	v_mad_u32_u24 v11, v8, 6, v9
	v_mad_u32_u24 v14, v9, 56, 0x2a0
	;; [unrolled: 1-line block ×3, first 2 shown]
	v_lshl_add_u32 v12, v8, 3, v15
	s_cmp_ge_i32 s27, s26
	ds_store_b64 v12, v[0:1]
	s_wait_dscnt 0x0
	s_cbranch_scc1 .LBB26_65
; %bb.15:
	s_wait_kmcnt 0x0
	s_cmp_lg_u32 s1, 0
	v_dual_lshlrev_b32 v0, 3, v8 :: v_dual_bitop2_b32 v1, v8, v9 bitop3:0x54
	v_mad_u32_u24 v18, v9, 56, 0x150
	v_mad_u32_u24 v2, v8, 6, v9
	s_cselect_b32 s28, -1, 0
	s_cmp_eq_u32 s1, 0
	v_mul_u32_u24_e32 v17, 6, v8
	s_cselect_b32 vcc_lo, -1, 0
	v_dual_add_nc_u32 v19, v14, v0 :: v_dual_mov_b32 v23, 0
	v_mad_u32_u24 v20, v9, 56, v0
	v_add_nc_u32_e32 v21, v18, v0
	v_cmp_ne_u32_e64 s0, 0, v1
	v_cndmask_b32_e32 v22, v2, v10, vcc_lo
	s_mov_b32 s18, s27
	s_branch .LBB26_19
.LBB26_16:                              ;   in Loop: Header=BB26_19 Depth=1
	s_wait_xcnt 0x0
	s_or_b32 exec_lo, exec_lo, s21
	v_mov_b64_e32 v[4:5], 1.0
.LBB26_17:                              ;   in Loop: Header=BB26_19 Depth=1
	s_or_b32 exec_lo, exec_lo, s20
	ds_load_2addr_b64 v[24:27], v14 offset1:1
	ds_load_2addr_b64 v[28:31], v23 offset0:35 offset1:36
	ds_load_b64 v[6:7], v18 offset:40
	s_add_co_i32 s18, s18, 1
	s_delay_alu instid0(SALU_CYCLE_1) | instskip(SKIP_3) | instid1(VALU_DEP_1)
	s_cmp_ge_i32 s18, s26
	s_cselect_b32 s24, -1, 0
	s_wait_dscnt 0x0
	v_fmac_f64_e32 v[6:7], v[28:29], v[24:25]
	v_fmac_f64_e32 v[6:7], v[30:31], v[26:27]
	ds_load_2addr_b64 v[24:27], v14 offset0:2 offset1:3
	ds_load_2addr_b64 v[28:31], v23 offset0:37 offset1:38
	s_wait_dscnt 0x0
	v_fmac_f64_e32 v[6:7], v[28:29], v[24:25]
	s_delay_alu instid0(VALU_DEP_1) | instskip(SKIP_4) | instid1(VALU_DEP_1)
	v_fmac_f64_e32 v[6:7], v[30:31], v[26:27]
	ds_load_b64 v[24:25], v23 offset:312
	ds_load_b64 v[26:27], v14 offset:32
	s_wait_dscnt 0x0
	v_fmac_f64_e32 v[6:7], v[24:25], v[26:27]
	v_add_f64_e64 v[2:3], v[2:3], -v[6:7]
	s_delay_alu instid0(VALU_DEP_1) | instskip(SKIP_1) | instid1(VALU_DEP_2)
	v_div_scale_f64 v[6:7], null, v[4:5], v[4:5], v[2:3]
	v_div_scale_f64 v[28:29], vcc_lo, v[2:3], v[4:5], v[2:3]
	v_rcp_f64_e32 v[24:25], v[6:7]
	v_nop
	s_delay_alu instid0(TRANS32_DEP_1) | instskip(NEXT) | instid1(VALU_DEP_1)
	v_fma_f64 v[26:27], -v[6:7], v[24:25], 1.0
	v_fmac_f64_e32 v[24:25], v[24:25], v[26:27]
	s_delay_alu instid0(VALU_DEP_1) | instskip(NEXT) | instid1(VALU_DEP_1)
	v_fma_f64 v[26:27], -v[6:7], v[24:25], 1.0
	v_fmac_f64_e32 v[24:25], v[24:25], v[26:27]
	s_delay_alu instid0(VALU_DEP_1) | instskip(NEXT) | instid1(VALU_DEP_1)
	v_mul_f64_e32 v[26:27], v[28:29], v[24:25]
	v_fma_f64 v[6:7], -v[6:7], v[26:27], v[28:29]
	s_delay_alu instid0(VALU_DEP_1) | instskip(NEXT) | instid1(VALU_DEP_1)
	v_div_fmas_f64 v[6:7], v[6:7], v[24:25], v[26:27]
	v_div_fixup_f64 v[2:3], v[6:7], v[4:5], v[2:3]
	ds_store_b64 v14, v[2:3] offset:40
	s_wait_storecnt_dscnt 0x0
	ds_load_b64 v[4:5], v13 offset:40
	ds_load_b64 v[6:7], v12
	s_wait_dscnt 0x0
	v_fmac_f64_e32 v[6:7], v[2:3], v[4:5]
	ds_store_b64 v12, v[6:7]
	s_wait_dscnt 0x0
	ds_load_b64 v[2:3], v19
	s_wait_dscnt 0x0
	global_store_b64 v[0:1], v[2:3], off
	global_wb scope:SCOPE_DEV
	s_wait_storecnt 0x0
	global_inv scope:SCOPE_DEV
.LBB26_18:                              ;   in Loop: Header=BB26_19 Depth=1
	s_and_b32 vcc_lo, exec_lo, s24
	s_cbranch_vccnz .LBB26_65
.LBB26_19:                              ; =>This Loop Header: Depth=1
                                        ;     Child Loop BB26_22 Depth 2
                                        ;     Child Loop BB26_33 Depth 2
	;; [unrolled: 1-line block ×3, first 2 shown]
	s_ashr_i32 s19, s18, 31
	s_delay_alu instid0(SALU_CYCLE_1) | instskip(NEXT) | instid1(SALU_CYCLE_1)
	s_lshl_b64 s[20:21], s[18:19], 2
	s_add_nc_u64 s[20:21], s[14:15], s[20:21]
	s_load_b32 s19, s[20:21], 0x0
	s_wait_kmcnt 0x0
	s_sub_co_i32 s22, s19, s9
	s_delay_alu instid0(SALU_CYCLE_1) | instskip(SKIP_2) | instid1(SALU_CYCLE_1)
	s_ashr_i32 s23, s22, 31
	s_wait_xcnt 0x0
	s_lshl_b64 s[20:21], s[22:23], 2
	s_add_nc_u64 s[24:25], s[4:5], s[20:21]
	s_load_b32 s23, s[24:25], 0x0
	s_wait_xcnt 0x0
	s_mov_b32 s24, -1
	s_wait_kmcnt 0x0
	s_cmp_eq_u32 s23, -1
	s_cbranch_scc1 .LBB26_18
; %bb.20:                               ;   in Loop: Header=BB26_19 Depth=1
	v_mad_u32 v0, s18, 36, v22
	s_add_nc_u64 s[24:25], s[12:13], s[20:21]
	ds_load_b32 v1, v23 offset:1600
	s_load_b32 s24, s[24:25], 0x0
	global_load_b64 v[2:3], v0, s[16:17] scale_offset
	s_wait_dscnt 0x0
	v_cmp_ge_i32_e32 vcc_lo, s22, v1
	s_wait_kmcnt 0x0
	s_sub_co_i32 s24, s24, s9
	s_delay_alu instid0(SALU_CYCLE_1) | instskip(SKIP_1) | instid1(SALU_CYCLE_1)
	s_cmp_le_i32 s24, s23
	s_cselect_b32 s25, -1, 0
	s_and_b32 s25, s25, vcc_lo
	s_delay_alu instid0(SALU_CYCLE_1)
	s_and_not1_b32 vcc_lo, exec_lo, s25
	s_mov_b32 s25, 0
	s_wait_loadcnt 0x0
	ds_store_b64 v19, v[2:3]
	s_cbranch_vccnz .LBB26_32
; %bb.21:                               ;   in Loop: Header=BB26_19 Depth=1
	s_mov_b32 s29, 0
	s_mov_b32 s30, 0
.LBB26_22:                              ;   Parent Loop BB26_19 Depth=1
                                        ; =>  This Inner Loop Header: Depth=2
	s_ashr_i32 s25, s24, 31
	s_lshl_b32 s31, s30, 2
	s_lshl_b64 s[34:35], s[24:25], 2
	v_mov_b32_e32 v1, s31
	s_add_nc_u64 s[34:35], s[14:15], s[34:35]
                                        ; implicit-def: $sgpr33
	s_load_b32 s25, s[34:35], 0x0
	s_wait_xcnt 0x0
	s_mov_b32 s35, -1
	ds_load_b32 v1, v1 offset:1600
                                        ; implicit-def: $sgpr34
	s_wait_kmcnt 0x0
	s_sub_co_i32 s36, s25, s9
                                        ; implicit-def: $sgpr25
	s_wait_dscnt 0x0
	v_readfirstlane_b32 s31, v1
	v_cmp_ge_i32_e32 vcc_lo, s36, v1
	s_cbranch_vccz .LBB26_28
; %bb.23:                               ;   in Loop: Header=BB26_22 Depth=2
	s_cmp_le_i32 s36, s31
                                        ; implicit-def: $sgpr25
                                        ; implicit-def: $sgpr34
                                        ; implicit-def: $sgpr33
	s_cbranch_scc0 .LBB26_25
; %bb.24:                               ;   in Loop: Header=BB26_22 Depth=2
	s_add_co_i32 s25, s30, s27
	s_lshl_b32 s33, s29, 2
	s_mul_i32 s25, s25, 36
	s_mul_i32 s34, s24, 36
	s_delay_alu instid0(SALU_CYCLE_1)
	v_dual_mov_b32 v1, s25 :: v_dual_mov_b32 v2, s34
	v_add_nc_u32_e64 v3, 0x400, s33
	s_add_co_i32 s33, s30, 1
	s_add_co_i32 s34, s24, 1
	;; [unrolled: 1-line block ×3, first 2 shown]
	s_mov_b32 s35, 0
	ds_store_2addr_b32 v3, v2, v1 offset0:80 offset1:112
.LBB26_25:                              ;   in Loop: Header=BB26_22 Depth=2
	s_and_not1_b32 vcc_lo, exec_lo, s35
	s_cbranch_vccnz .LBB26_27
; %bb.26:                               ;   in Loop: Header=BB26_22 Depth=2
	s_add_co_i32 s33, s30, 1
	s_mov_b32 s25, s29
	s_mov_b32 s34, s24
.LBB26_27:                              ;   in Loop: Header=BB26_22 Depth=2
	s_mov_b32 s35, 0
.LBB26_28:                              ;   in Loop: Header=BB26_22 Depth=2
	s_delay_alu instid0(SALU_CYCLE_1)
	s_and_not1_b32 vcc_lo, exec_lo, s35
	s_cbranch_vccnz .LBB26_30
; %bb.29:                               ;   in Loop: Header=BB26_22 Depth=2
	s_add_co_i32 s34, s24, 1
	s_mov_b32 s33, s30
	s_mov_b32 s25, s29
.LBB26_30:                              ;   in Loop: Header=BB26_22 Depth=2
	s_cmp_le_i32 s34, s23
	s_cselect_b32 s24, -1, 0
	s_cmp_le_i32 s31, s22
	s_cselect_b32 s29, -1, 0
	s_delay_alu instid0(SALU_CYCLE_1) | instskip(NEXT) | instid1(SALU_CYCLE_1)
	s_and_b32 s24, s24, s29
	s_and_b32 vcc_lo, exec_lo, s24
	s_cbranch_vccz .LBB26_32
; %bb.31:                               ;   in Loop: Header=BB26_22 Depth=2
	s_mov_b32 s29, s25
	s_mov_b32 s24, s34
	;; [unrolled: 1-line block ×3, first 2 shown]
	s_branch .LBB26_22
.LBB26_32:                              ;   in Loop: Header=BB26_19 Depth=1
	v_ashrrev_i32_e32 v1, 31, v0
	s_add_nc_u64 s[20:21], s[6:7], s[20:21]
	s_wait_dscnt 0x0
	s_wait_xcnt 0x0
	s_delay_alu instid0(VALU_DEP_1)
	v_lshl_add_u64 v[0:1], v[0:1], 3, s[16:17]
.LBB26_33:                              ;   Parent Loop BB26_19 Depth=1
                                        ; =>  This Inner Loop Header: Depth=2
	global_load_b32 v2, v23, s[20:21] scope:SCOPE_DEV
	s_wait_loadcnt 0x0
	v_cmp_eq_u32_e32 vcc_lo, 0, v2
	s_cbranch_vccnz .LBB26_33
; %bb.34:                               ;   in Loop: Header=BB26_19 Depth=1
	v_mad_u32 v2, s23, 36, v22
	global_inv scope:SCOPE_DEV
	v_mov_b64_e32 v[6:7], 0
	s_cmp_lt_i32 s25, 2
	global_load_b64 v[2:3], v2, s[16:17] scale_offset
	s_wait_loadcnt 0x0
	ds_store_b64 v20, v[2:3]
	s_wait_dscnt 0x0
	s_cbranch_scc1 .LBB26_42
; %bb.35:                               ;   in Loop: Header=BB26_19 Depth=1
	v_mov_b64_e32 v[2:3], 0
	s_add_co_i32 s20, s25, -1
	s_movk_i32 s21, 0x540
.LBB26_36:                              ;   Parent Loop BB26_19 Depth=1
                                        ; =>  This Inner Loop Header: Depth=2
	s_wait_dscnt 0x0
	v_mov_b32_e32 v4, s21
	s_and_b32 vcc_lo, exec_lo, s28
	s_mov_b32 s22, -1
                                        ; implicit-def: $vgpr6_vgpr7
	ds_load_2addr_b32 v[4:5], v4 offset1:32
	s_cbranch_vccz .LBB26_39
; %bb.37:                               ;   in Loop: Header=BB26_36 Depth=2
	s_wait_dscnt 0x0
	v_dual_add_nc_u32 v42, v4, v8 :: v_dual_add_nc_u32 v43, v5, v9
	s_clause 0x1
	global_load_b64 v[6:7], v42, s[16:17] scale_offset
	global_load_b64 v[24:25], v43, s[16:17] scale_offset
	v_dual_add_nc_u32 v30, 6, v42 :: v_dual_add_nc_u32 v31, 6, v43
	v_dual_add_nc_u32 v34, 12, v42 :: v_dual_add_nc_u32 v35, 12, v43
	s_clause 0x3
	global_load_b64 v[26:27], v30, s[16:17] scale_offset
	global_load_b64 v[28:29], v31, s[16:17] scale_offset
	;; [unrolled: 1-line block ×4, first 2 shown]
	v_dual_add_nc_u32 v38, 18, v42 :: v_dual_add_nc_u32 v39, 18, v43
	s_clause 0x1
	global_load_b64 v[34:35], v38, s[16:17] scale_offset
	global_load_b64 v[36:37], v39, s[16:17] scale_offset
	v_dual_add_nc_u32 v44, 24, v42 :: v_dual_add_nc_u32 v45, 24, v43
	s_clause 0x1
	global_load_b64 v[38:39], v44, s[16:17] scale_offset
	global_load_b64 v[40:41], v45, s[16:17] scale_offset
	;; [unrolled: 4-line block ×3, first 2 shown]
	s_wait_loadcnt 0xa
	v_fma_f64 v[6:7], v[6:7], v[24:25], v[2:3]
	s_wait_loadcnt 0x8
	s_delay_alu instid0(VALU_DEP_1) | instskip(SKIP_1) | instid1(VALU_DEP_1)
	v_fmac_f64_e32 v[6:7], v[26:27], v[28:29]
	s_wait_loadcnt 0x6
	v_fmac_f64_e32 v[6:7], v[30:31], v[32:33]
	s_wait_loadcnt 0x4
	s_delay_alu instid0(VALU_DEP_1) | instskip(SKIP_1) | instid1(VALU_DEP_1)
	v_fmac_f64_e32 v[6:7], v[34:35], v[36:37]
	s_wait_loadcnt 0x2
	v_fmac_f64_e32 v[6:7], v[38:39], v[40:41]
	s_wait_loadcnt 0x0
	s_delay_alu instid0(VALU_DEP_1)
	v_fmac_f64_e32 v[6:7], v[42:43], v[44:45]
	s_cbranch_execz .LBB26_40
.LBB26_38:                              ;   in Loop: Header=BB26_36 Depth=2
	s_add_co_i32 s20, s20, -1
	s_add_co_i32 s21, s21, 4
	s_cmp_eq_u32 s20, 0
	s_cbranch_scc0 .LBB26_41
	s_branch .LBB26_42
.LBB26_39:                              ;   in Loop: Header=BB26_36 Depth=2
	s_and_not1_b32 vcc_lo, exec_lo, s22
	s_cbranch_vccnz .LBB26_38
.LBB26_40:                              ;   in Loop: Header=BB26_36 Depth=2
	s_wait_dscnt 0x0
	v_dual_add_nc_u32 v6, v5, v16 :: v_dual_add_nc_u32 v4, v4, v17
	s_delay_alu instid0(VALU_DEP_1) | instskip(NEXT) | instid1(VALU_DEP_1)
	v_dual_ashrrev_i32 v7, 31, v6 :: v_dual_ashrrev_i32 v5, 31, v4
	v_lshl_add_u64 v[44:45], v[6:7], 3, s[16:17]
	s_delay_alu instid0(VALU_DEP_2)
	v_lshl_add_u64 v[46:47], v[4:5], 3, s[16:17]
	s_clause 0x5
	global_load_b128 v[4:7], v[44:45], off
	global_load_b128 v[24:27], v[46:47], off
	global_load_b128 v[28:31], v[46:47], off offset:16
	global_load_b128 v[32:35], v[44:45], off offset:16
	;; [unrolled: 1-line block ×4, first 2 shown]
	s_wait_loadcnt 0x4
	v_fmac_f64_e32 v[2:3], v[24:25], v[4:5]
	s_delay_alu instid0(VALU_DEP_1) | instskip(SKIP_1) | instid1(VALU_DEP_1)
	v_fmac_f64_e32 v[2:3], v[26:27], v[6:7]
	s_wait_loadcnt 0x2
	v_fmac_f64_e32 v[2:3], v[28:29], v[32:33]
	s_delay_alu instid0(VALU_DEP_1) | instskip(SKIP_1) | instid1(VALU_DEP_1)
	v_fmac_f64_e32 v[2:3], v[30:31], v[34:35]
	s_wait_loadcnt 0x0
	v_fmac_f64_e32 v[2:3], v[36:37], v[40:41]
	s_delay_alu instid0(VALU_DEP_1) | instskip(NEXT) | instid1(VALU_DEP_1)
	v_fmac_f64_e32 v[2:3], v[38:39], v[42:43]
	v_mov_b64_e32 v[6:7], v[2:3]
	s_add_co_i32 s20, s20, -1
	s_add_co_i32 s21, s21, 4
	s_cmp_eq_u32 s20, 0
	s_cbranch_scc1 .LBB26_42
.LBB26_41:                              ;   in Loop: Header=BB26_36 Depth=2
	s_delay_alu instid0(VALU_DEP_1)
	v_mov_b64_e32 v[2:3], v[6:7]
	s_branch .LBB26_36
.LBB26_42:                              ;   in Loop: Header=BB26_19 Depth=1
	ds_store_b64 v21, v[6:7]
	s_wait_dscnt 0x0
	ds_load_b64 v[4:5], v23
	ds_load_b64 v[2:3], v14
	s_wait_dscnt 0x1
	v_cmp_neq_f64_e32 vcc_lo, 0, v[4:5]
	v_cndmask_b32_e32 v5, 0x3ff00000, v5, vcc_lo
	v_cndmask_b32_e32 v4, 0, v4, vcc_lo
	s_nor_b32 s21, vcc_lo, s0
	s_delay_alu instid0(SALU_CYCLE_1)
	s_and_saveexec_b32 s20, s21
	s_cbranch_execz .LBB26_46
; %bb.43:                               ;   in Loop: Header=BB26_19 Depth=1
	v_mbcnt_lo_u32_b32 v4, exec_lo, 0
	s_mov_b32 s21, exec_lo
	s_delay_alu instid0(VALU_DEP_1)
	v_cmpx_eq_u32_e32 0, v4
	s_cbranch_execz .LBB26_45
; %bb.44:                               ;   in Loop: Header=BB26_19 Depth=1
	v_mov_b32_e32 v4, s19
	global_atomic_min_i32 v23, v4, s[10:11] scope:SCOPE_DEV
.LBB26_45:                              ;   in Loop: Header=BB26_19 Depth=1
	s_wait_xcnt 0x0
	s_or_b32 exec_lo, exec_lo, s21
	v_mov_b64_e32 v[4:5], 1.0
.LBB26_46:                              ;   in Loop: Header=BB26_19 Depth=1
	s_or_b32 exec_lo, exec_lo, s20
	ds_load_b64 v[6:7], v18
	s_wait_dscnt 0x0
	v_add_f64_e64 v[2:3], v[2:3], -v[6:7]
	s_delay_alu instid0(VALU_DEP_1) | instskip(SKIP_1) | instid1(VALU_DEP_2)
	v_div_scale_f64 v[6:7], null, v[4:5], v[4:5], v[2:3]
	v_div_scale_f64 v[28:29], vcc_lo, v[2:3], v[4:5], v[2:3]
	v_rcp_f64_e32 v[24:25], v[6:7]
	v_nop
	s_delay_alu instid0(TRANS32_DEP_1) | instskip(NEXT) | instid1(VALU_DEP_1)
	v_fma_f64 v[26:27], -v[6:7], v[24:25], 1.0
	v_fmac_f64_e32 v[24:25], v[24:25], v[26:27]
	s_delay_alu instid0(VALU_DEP_1) | instskip(NEXT) | instid1(VALU_DEP_1)
	v_fma_f64 v[26:27], -v[6:7], v[24:25], 1.0
	v_fmac_f64_e32 v[24:25], v[24:25], v[26:27]
	s_delay_alu instid0(VALU_DEP_1) | instskip(NEXT) | instid1(VALU_DEP_1)
	v_mul_f64_e32 v[26:27], v[28:29], v[24:25]
	v_fma_f64 v[6:7], -v[6:7], v[26:27], v[28:29]
	s_delay_alu instid0(VALU_DEP_1) | instskip(NEXT) | instid1(VALU_DEP_1)
	v_div_fmas_f64 v[6:7], v[6:7], v[24:25], v[26:27]
	v_div_fixup_f64 v[2:3], v[6:7], v[4:5], v[2:3]
	ds_store_b64 v14, v[2:3]
	s_wait_storecnt_dscnt 0x0
	ds_load_b64 v[4:5], v13
	ds_load_b64 v[6:7], v12
	s_wait_dscnt 0x0
	v_fmac_f64_e32 v[6:7], v[2:3], v[4:5]
	ds_store_b64 v12, v[6:7]
	s_wait_dscnt 0x0
	ds_load_b64 v[4:5], v23 offset:64
	ds_load_b64 v[2:3], v14 offset:8
	s_wait_dscnt 0x1
	v_cmp_neq_f64_e32 vcc_lo, 0, v[4:5]
	v_cndmask_b32_e32 v5, 0x3ff00000, v5, vcc_lo
	v_cndmask_b32_e32 v4, 0, v4, vcc_lo
	s_nor_b32 s21, vcc_lo, s0
	s_delay_alu instid0(SALU_CYCLE_1)
	s_and_saveexec_b32 s20, s21
	s_cbranch_execz .LBB26_50
; %bb.47:                               ;   in Loop: Header=BB26_19 Depth=1
	v_mbcnt_lo_u32_b32 v4, exec_lo, 0
	s_mov_b32 s21, exec_lo
	s_delay_alu instid0(VALU_DEP_1)
	v_cmpx_eq_u32_e32 0, v4
	s_cbranch_execz .LBB26_49
; %bb.48:                               ;   in Loop: Header=BB26_19 Depth=1
	v_mov_b32_e32 v4, s19
	global_atomic_min_i32 v23, v4, s[10:11] scope:SCOPE_DEV
.LBB26_49:                              ;   in Loop: Header=BB26_19 Depth=1
	s_wait_xcnt 0x0
	s_or_b32 exec_lo, exec_lo, s21
	v_mov_b64_e32 v[4:5], 1.0
.LBB26_50:                              ;   in Loop: Header=BB26_19 Depth=1
	s_or_b32 exec_lo, exec_lo, s20
	ds_load_b64 v[6:7], v23 offset:56
	ds_load_b64 v[24:25], v14
	ds_load_b64 v[26:27], v18 offset:8
	s_wait_dscnt 0x0
	v_fmac_f64_e32 v[26:27], v[6:7], v[24:25]
	s_delay_alu instid0(VALU_DEP_1) | instskip(NEXT) | instid1(VALU_DEP_1)
	v_add_f64_e64 v[2:3], v[2:3], -v[26:27]
	v_div_scale_f64 v[6:7], null, v[4:5], v[4:5], v[2:3]
	v_div_scale_f64 v[28:29], vcc_lo, v[2:3], v[4:5], v[2:3]
	s_delay_alu instid0(VALU_DEP_2) | instskip(SKIP_1) | instid1(TRANS32_DEP_1)
	v_rcp_f64_e32 v[24:25], v[6:7]
	v_nop
	v_fma_f64 v[26:27], -v[6:7], v[24:25], 1.0
	s_delay_alu instid0(VALU_DEP_1) | instskip(NEXT) | instid1(VALU_DEP_1)
	v_fmac_f64_e32 v[24:25], v[24:25], v[26:27]
	v_fma_f64 v[26:27], -v[6:7], v[24:25], 1.0
	s_delay_alu instid0(VALU_DEP_1) | instskip(NEXT) | instid1(VALU_DEP_1)
	v_fmac_f64_e32 v[24:25], v[24:25], v[26:27]
	v_mul_f64_e32 v[26:27], v[28:29], v[24:25]
	s_delay_alu instid0(VALU_DEP_1) | instskip(NEXT) | instid1(VALU_DEP_1)
	v_fma_f64 v[6:7], -v[6:7], v[26:27], v[28:29]
	v_div_fmas_f64 v[6:7], v[6:7], v[24:25], v[26:27]
	s_delay_alu instid0(VALU_DEP_1)
	v_div_fixup_f64 v[2:3], v[6:7], v[4:5], v[2:3]
	ds_store_b64 v14, v[2:3] offset:8
	s_wait_storecnt_dscnt 0x0
	ds_load_b64 v[4:5], v13 offset:8
	ds_load_b64 v[6:7], v12
	s_wait_dscnt 0x0
	v_fmac_f64_e32 v[6:7], v[2:3], v[4:5]
	ds_store_b64 v12, v[6:7]
	s_wait_dscnt 0x0
	ds_load_b64 v[4:5], v23 offset:128
	ds_load_b64 v[2:3], v14 offset:16
	s_wait_dscnt 0x1
	v_cmp_neq_f64_e32 vcc_lo, 0, v[4:5]
	v_cndmask_b32_e32 v5, 0x3ff00000, v5, vcc_lo
	v_cndmask_b32_e32 v4, 0, v4, vcc_lo
	s_nor_b32 s21, vcc_lo, s0
	s_delay_alu instid0(SALU_CYCLE_1)
	s_and_saveexec_b32 s20, s21
	s_cbranch_execz .LBB26_54
; %bb.51:                               ;   in Loop: Header=BB26_19 Depth=1
	v_mbcnt_lo_u32_b32 v4, exec_lo, 0
	s_mov_b32 s21, exec_lo
	s_delay_alu instid0(VALU_DEP_1)
	v_cmpx_eq_u32_e32 0, v4
	s_cbranch_execz .LBB26_53
; %bb.52:                               ;   in Loop: Header=BB26_19 Depth=1
	v_mov_b32_e32 v4, s19
	global_atomic_min_i32 v23, v4, s[10:11] scope:SCOPE_DEV
.LBB26_53:                              ;   in Loop: Header=BB26_19 Depth=1
	s_wait_xcnt 0x0
	s_or_b32 exec_lo, exec_lo, s21
	v_mov_b64_e32 v[4:5], 1.0
.LBB26_54:                              ;   in Loop: Header=BB26_19 Depth=1
	s_or_b32 exec_lo, exec_lo, s20
	ds_load_2addr_b64 v[24:27], v14 offset1:1
	ds_load_b128 v[28:31], v23 offset:112
	ds_load_b64 v[6:7], v18 offset:16
	s_wait_dscnt 0x0
	v_fmac_f64_e32 v[6:7], v[28:29], v[24:25]
	s_delay_alu instid0(VALU_DEP_1) | instskip(NEXT) | instid1(VALU_DEP_1)
	v_fmac_f64_e32 v[6:7], v[30:31], v[26:27]
	v_add_f64_e64 v[2:3], v[2:3], -v[6:7]
	s_delay_alu instid0(VALU_DEP_1) | instskip(SKIP_1) | instid1(VALU_DEP_2)
	v_div_scale_f64 v[6:7], null, v[4:5], v[4:5], v[2:3]
	v_div_scale_f64 v[28:29], vcc_lo, v[2:3], v[4:5], v[2:3]
	v_rcp_f64_e32 v[24:25], v[6:7]
	v_nop
	s_delay_alu instid0(TRANS32_DEP_1) | instskip(NEXT) | instid1(VALU_DEP_1)
	v_fma_f64 v[26:27], -v[6:7], v[24:25], 1.0
	v_fmac_f64_e32 v[24:25], v[24:25], v[26:27]
	s_delay_alu instid0(VALU_DEP_1) | instskip(NEXT) | instid1(VALU_DEP_1)
	v_fma_f64 v[26:27], -v[6:7], v[24:25], 1.0
	v_fmac_f64_e32 v[24:25], v[24:25], v[26:27]
	s_delay_alu instid0(VALU_DEP_1) | instskip(NEXT) | instid1(VALU_DEP_1)
	v_mul_f64_e32 v[26:27], v[28:29], v[24:25]
	v_fma_f64 v[6:7], -v[6:7], v[26:27], v[28:29]
	s_delay_alu instid0(VALU_DEP_1) | instskip(NEXT) | instid1(VALU_DEP_1)
	v_div_fmas_f64 v[6:7], v[6:7], v[24:25], v[26:27]
	v_div_fixup_f64 v[2:3], v[6:7], v[4:5], v[2:3]
	ds_store_b64 v14, v[2:3] offset:16
	s_wait_storecnt_dscnt 0x0
	ds_load_b64 v[4:5], v13 offset:16
	ds_load_b64 v[6:7], v12
	s_wait_dscnt 0x0
	v_fmac_f64_e32 v[6:7], v[2:3], v[4:5]
	ds_store_b64 v12, v[6:7]
	s_wait_dscnt 0x0
	ds_load_b64 v[4:5], v23 offset:192
	ds_load_b64 v[2:3], v14 offset:24
	s_wait_dscnt 0x1
	v_cmp_neq_f64_e32 vcc_lo, 0, v[4:5]
	v_cndmask_b32_e32 v5, 0x3ff00000, v5, vcc_lo
	v_cndmask_b32_e32 v4, 0, v4, vcc_lo
	s_nor_b32 s21, vcc_lo, s0
	s_delay_alu instid0(SALU_CYCLE_1)
	s_and_saveexec_b32 s20, s21
	s_cbranch_execz .LBB26_58
; %bb.55:                               ;   in Loop: Header=BB26_19 Depth=1
	v_mbcnt_lo_u32_b32 v4, exec_lo, 0
	s_mov_b32 s21, exec_lo
	s_delay_alu instid0(VALU_DEP_1)
	v_cmpx_eq_u32_e32 0, v4
	s_cbranch_execz .LBB26_57
; %bb.56:                               ;   in Loop: Header=BB26_19 Depth=1
	v_mov_b32_e32 v4, s19
	global_atomic_min_i32 v23, v4, s[10:11] scope:SCOPE_DEV
.LBB26_57:                              ;   in Loop: Header=BB26_19 Depth=1
	s_wait_xcnt 0x0
	s_or_b32 exec_lo, exec_lo, s21
	v_mov_b64_e32 v[4:5], 1.0
.LBB26_58:                              ;   in Loop: Header=BB26_19 Depth=1
	s_or_b32 exec_lo, exec_lo, s20
	ds_load_2addr_b64 v[24:27], v14 offset1:1
	ds_load_2addr_b64 v[28:31], v23 offset0:21 offset1:22
	ds_load_b64 v[6:7], v18 offset:24
	s_wait_dscnt 0x0
	v_fmac_f64_e32 v[6:7], v[28:29], v[24:25]
	s_delay_alu instid0(VALU_DEP_1) | instskip(SKIP_4) | instid1(VALU_DEP_1)
	v_fmac_f64_e32 v[6:7], v[30:31], v[26:27]
	ds_load_b64 v[24:25], v23 offset:184
	ds_load_b64 v[26:27], v14 offset:16
	s_wait_dscnt 0x0
	v_fmac_f64_e32 v[6:7], v[24:25], v[26:27]
	v_add_f64_e64 v[2:3], v[2:3], -v[6:7]
	s_delay_alu instid0(VALU_DEP_1) | instskip(SKIP_1) | instid1(VALU_DEP_2)
	v_div_scale_f64 v[6:7], null, v[4:5], v[4:5], v[2:3]
	v_div_scale_f64 v[28:29], vcc_lo, v[2:3], v[4:5], v[2:3]
	v_rcp_f64_e32 v[24:25], v[6:7]
	v_nop
	s_delay_alu instid0(TRANS32_DEP_1) | instskip(NEXT) | instid1(VALU_DEP_1)
	v_fma_f64 v[26:27], -v[6:7], v[24:25], 1.0
	v_fmac_f64_e32 v[24:25], v[24:25], v[26:27]
	s_delay_alu instid0(VALU_DEP_1) | instskip(NEXT) | instid1(VALU_DEP_1)
	v_fma_f64 v[26:27], -v[6:7], v[24:25], 1.0
	v_fmac_f64_e32 v[24:25], v[24:25], v[26:27]
	s_delay_alu instid0(VALU_DEP_1) | instskip(NEXT) | instid1(VALU_DEP_1)
	v_mul_f64_e32 v[26:27], v[28:29], v[24:25]
	v_fma_f64 v[6:7], -v[6:7], v[26:27], v[28:29]
	s_delay_alu instid0(VALU_DEP_1) | instskip(NEXT) | instid1(VALU_DEP_1)
	v_div_fmas_f64 v[6:7], v[6:7], v[24:25], v[26:27]
	v_div_fixup_f64 v[2:3], v[6:7], v[4:5], v[2:3]
	ds_store_b64 v14, v[2:3] offset:24
	s_wait_storecnt_dscnt 0x0
	ds_load_b64 v[4:5], v13 offset:24
	ds_load_b64 v[6:7], v12
	s_wait_dscnt 0x0
	v_fmac_f64_e32 v[6:7], v[2:3], v[4:5]
	ds_store_b64 v12, v[6:7]
	s_wait_dscnt 0x0
	ds_load_b64 v[4:5], v23 offset:256
	ds_load_b64 v[2:3], v14 offset:32
	s_wait_dscnt 0x1
	v_cmp_neq_f64_e32 vcc_lo, 0, v[4:5]
	v_cndmask_b32_e32 v5, 0x3ff00000, v5, vcc_lo
	v_cndmask_b32_e32 v4, 0, v4, vcc_lo
	s_nor_b32 s21, vcc_lo, s0
	s_delay_alu instid0(SALU_CYCLE_1)
	s_and_saveexec_b32 s20, s21
	s_cbranch_execz .LBB26_62
; %bb.59:                               ;   in Loop: Header=BB26_19 Depth=1
	v_mbcnt_lo_u32_b32 v4, exec_lo, 0
	s_mov_b32 s21, exec_lo
	s_delay_alu instid0(VALU_DEP_1)
	v_cmpx_eq_u32_e32 0, v4
	s_cbranch_execz .LBB26_61
; %bb.60:                               ;   in Loop: Header=BB26_19 Depth=1
	v_mov_b32_e32 v4, s19
	global_atomic_min_i32 v23, v4, s[10:11] scope:SCOPE_DEV
.LBB26_61:                              ;   in Loop: Header=BB26_19 Depth=1
	s_wait_xcnt 0x0
	s_or_b32 exec_lo, exec_lo, s21
	v_mov_b64_e32 v[4:5], 1.0
.LBB26_62:                              ;   in Loop: Header=BB26_19 Depth=1
	s_or_b32 exec_lo, exec_lo, s20
	ds_load_2addr_b64 v[24:27], v14 offset1:1
	ds_load_b128 v[28:31], v23 offset:224
	ds_load_b64 v[6:7], v18 offset:32
	s_wait_dscnt 0x0
	v_fmac_f64_e32 v[6:7], v[28:29], v[24:25]
	s_delay_alu instid0(VALU_DEP_1) | instskip(SKIP_4) | instid1(VALU_DEP_1)
	v_fmac_f64_e32 v[6:7], v[30:31], v[26:27]
	ds_load_b128 v[24:27], v23 offset:240
	ds_load_2addr_b64 v[28:31], v14 offset0:2 offset1:3
	s_wait_dscnt 0x0
	v_fmac_f64_e32 v[6:7], v[24:25], v[28:29]
	v_fmac_f64_e32 v[6:7], v[26:27], v[30:31]
	s_delay_alu instid0(VALU_DEP_1) | instskip(NEXT) | instid1(VALU_DEP_1)
	v_add_f64_e64 v[2:3], v[2:3], -v[6:7]
	v_div_scale_f64 v[6:7], null, v[4:5], v[4:5], v[2:3]
	v_div_scale_f64 v[28:29], vcc_lo, v[2:3], v[4:5], v[2:3]
	s_delay_alu instid0(VALU_DEP_2) | instskip(SKIP_1) | instid1(TRANS32_DEP_1)
	v_rcp_f64_e32 v[24:25], v[6:7]
	v_nop
	v_fma_f64 v[26:27], -v[6:7], v[24:25], 1.0
	s_delay_alu instid0(VALU_DEP_1) | instskip(NEXT) | instid1(VALU_DEP_1)
	v_fmac_f64_e32 v[24:25], v[24:25], v[26:27]
	v_fma_f64 v[26:27], -v[6:7], v[24:25], 1.0
	s_delay_alu instid0(VALU_DEP_1) | instskip(NEXT) | instid1(VALU_DEP_1)
	v_fmac_f64_e32 v[24:25], v[24:25], v[26:27]
	v_mul_f64_e32 v[26:27], v[28:29], v[24:25]
	s_delay_alu instid0(VALU_DEP_1) | instskip(NEXT) | instid1(VALU_DEP_1)
	v_fma_f64 v[6:7], -v[6:7], v[26:27], v[28:29]
	v_div_fmas_f64 v[6:7], v[6:7], v[24:25], v[26:27]
	s_delay_alu instid0(VALU_DEP_1)
	v_div_fixup_f64 v[2:3], v[6:7], v[4:5], v[2:3]
	ds_store_b64 v14, v[2:3] offset:32
	s_wait_storecnt_dscnt 0x0
	ds_load_b64 v[4:5], v13 offset:32
	ds_load_b64 v[6:7], v12
	s_wait_dscnt 0x0
	v_fmac_f64_e32 v[6:7], v[2:3], v[4:5]
	ds_store_b64 v12, v[6:7]
	s_wait_dscnt 0x0
	ds_load_b64 v[4:5], v23 offset:320
	ds_load_b64 v[2:3], v14 offset:40
	s_wait_dscnt 0x1
	v_cmp_neq_f64_e32 vcc_lo, 0, v[4:5]
	v_cndmask_b32_e32 v5, 0x3ff00000, v5, vcc_lo
	v_cndmask_b32_e32 v4, 0, v4, vcc_lo
	s_nor_b32 s21, vcc_lo, s0
	s_delay_alu instid0(SALU_CYCLE_1)
	s_and_saveexec_b32 s20, s21
	s_cbranch_execz .LBB26_17
; %bb.63:                               ;   in Loop: Header=BB26_19 Depth=1
	v_mbcnt_lo_u32_b32 v4, exec_lo, 0
	s_mov_b32 s21, exec_lo
	s_delay_alu instid0(VALU_DEP_1)
	v_cmpx_eq_u32_e32 0, v4
	s_cbranch_execz .LBB26_16
; %bb.64:                               ;   in Loop: Header=BB26_19 Depth=1
	v_mov_b32_e32 v4, s19
	global_atomic_min_i32 v23, v4, s[10:11] scope:SCOPE_DEV
	s_branch .LBB26_16
.LBB26_65:
	s_wait_xcnt 0x0
	v_mov_b32_e32 v0, v10
	s_wait_kmcnt 0x0
	s_cmp_lg_u32 s1, 0
	s_cselect_b32 s4, -1, 0
	s_cmp_eq_u32 s1, 0
	s_cbranch_scc1 .LBB26_67
; %bb.66:
	v_mad_u32_u24 v0, v8, 6, v9
.LBB26_67:
	s_mul_i32 s26, s26, 36
	v_lshl_add_u32 v2, v8, 3, v14
	s_delay_alu instid0(VALU_DEP_2)
	v_add_nc_u32_e32 v0, s26, v0
	s_mov_b32 s1, exec_lo
	v_cmp_ne_u32_e32 vcc_lo, 0, v9
	global_load_b64 v[0:1], v0, s[16:17] scale_offset
	s_wait_loadcnt 0x0
	ds_store_b64 v2, v[0:1]
	s_wait_dscnt 0x0
	v_cmpx_eq_u32_e32 0, v9
	s_cbranch_execz .LBB26_69
; %bb.68:
	v_mov_b32_e32 v3, 0
	ds_load_2addr_b64 v[4:7], v3 offset0:84 offset1:126
	s_wait_dscnt 0x0
	v_add_f64_e64 v[0:1], v[4:5], -v[6:7]
	s_delay_alu instid0(VALU_DEP_1) | instskip(SKIP_1) | instid1(VALU_DEP_1)
	v_cmp_gt_f64_e64 s0, 0, v[0:1]
	v_xor_b32_e32 v4, 0x80000000, v1
	v_cndmask_b32_e64 v1, v1, v4, s0
	s_delay_alu instid0(VALU_DEP_1) | instskip(SKIP_2) | instid1(SALU_CYCLE_1)
	v_cmp_gt_f64_e64 s0, 0x10000000, v[0:1]
	s_and_b32 s0, s0, exec_lo
	s_cselect_b32 s0, 0x100, 0
	v_ldexp_f64 v[0:1], v[0:1], s0
	s_cselect_b32 s0, 0xffffff80, 0
	s_delay_alu instid0(VALU_DEP_1) | instskip(SKIP_1) | instid1(TRANS32_DEP_1)
	v_rsq_f64_e32 v[4:5], v[0:1]
	v_nop
	v_mul_f64_e32 v[6:7], v[0:1], v[4:5]
	v_mul_f64_e32 v[4:5], 0.5, v[4:5]
	s_delay_alu instid0(VALU_DEP_1) | instskip(NEXT) | instid1(VALU_DEP_1)
	v_fma_f64 v[16:17], -v[4:5], v[6:7], 0.5
	v_fmac_f64_e32 v[6:7], v[6:7], v[16:17]
	v_fmac_f64_e32 v[4:5], v[4:5], v[16:17]
	s_delay_alu instid0(VALU_DEP_2) | instskip(NEXT) | instid1(VALU_DEP_1)
	v_fma_f64 v[16:17], -v[6:7], v[6:7], v[0:1]
	v_fmac_f64_e32 v[6:7], v[16:17], v[4:5]
	s_delay_alu instid0(VALU_DEP_1) | instskip(NEXT) | instid1(VALU_DEP_1)
	v_fma_f64 v[16:17], -v[6:7], v[6:7], v[0:1]
	v_fmac_f64_e32 v[6:7], v[16:17], v[4:5]
	s_delay_alu instid0(VALU_DEP_1) | instskip(SKIP_1) | instid1(VALU_DEP_1)
	v_ldexp_f64 v[4:5], v[6:7], s0
	v_cmp_class_f64_e64 s0, v[0:1], 0x260
	v_dual_cndmask_b32 v1, v5, v1, s0 :: v_dual_cndmask_b32 v0, v4, v0, s0
	ds_store_b64 v3, v[0:1] offset:672
.LBB26_69:
	s_or_b32 exec_lo, exec_lo, s1
	v_dual_mov_b32 v0, 0 :: v_dual_bitop2_b32 v3, v8, v9 bitop3:0x54
	s_wait_dscnt 0x0
	s_add_co_i32 s5, s8, s9
	ds_load_b64 v[0:1], v0 offset:672
	v_cmp_ne_u32_e64 s0, 0, v3
	s_wait_dscnt 0x0
	v_cmp_neq_f64_e64 s1, 0, v[0:1]
	s_delay_alu instid0(VALU_DEP_1) | instskip(SKIP_2) | instid1(SALU_CYCLE_1)
	v_cndmask_b32_e64 v1, 0x3ff00000, v1, s1
	v_cndmask_b32_e64 v0, 0, v0, s1
	s_nor_b32 s1, s1, s0
	s_and_saveexec_b32 s12, s1
	s_cbranch_execz .LBB26_73
; %bb.70:
	v_mbcnt_lo_u32_b32 v0, exec_lo, 0
	s_mov_b32 s13, exec_lo
	s_delay_alu instid0(VALU_DEP_1)
	v_cmpx_eq_u32_e32 0, v0
	s_cbranch_execz .LBB26_72
; %bb.71:
	v_dual_mov_b32 v0, 0 :: v_dual_mov_b32 v1, s5
	global_atomic_min_i32 v0, v1, s[10:11] scope:SCOPE_DEV
.LBB26_72:
	s_wait_xcnt 0x0
	s_or_b32 exec_lo, exec_lo, s13
	v_mov_b64_e32 v[0:1], 1.0
.LBB26_73:
	s_or_b32 exec_lo, exec_lo, s12
	s_and_saveexec_b32 s1, vcc_lo
	s_cbranch_execz .LBB26_75
; %bb.74:
	ds_load_b64 v[4:5], v14
	ds_load_b64 v[6:7], v15
	s_wait_dscnt 0x0
	v_add_f64_e64 v[4:5], v[4:5], -v[6:7]
	s_delay_alu instid0(VALU_DEP_1) | instskip(SKIP_1) | instid1(VALU_DEP_2)
	v_div_scale_f64 v[6:7], null, v[0:1], v[0:1], v[4:5]
	v_div_scale_f64 v[20:21], vcc_lo, v[4:5], v[0:1], v[4:5]
	v_rcp_f64_e32 v[16:17], v[6:7]
	v_nop
	s_delay_alu instid0(TRANS32_DEP_1) | instskip(NEXT) | instid1(VALU_DEP_1)
	v_fma_f64 v[18:19], -v[6:7], v[16:17], 1.0
	v_fmac_f64_e32 v[16:17], v[16:17], v[18:19]
	s_delay_alu instid0(VALU_DEP_1) | instskip(NEXT) | instid1(VALU_DEP_1)
	v_fma_f64 v[18:19], -v[6:7], v[16:17], 1.0
	v_fmac_f64_e32 v[16:17], v[16:17], v[18:19]
	s_delay_alu instid0(VALU_DEP_1) | instskip(NEXT) | instid1(VALU_DEP_1)
	v_mul_f64_e32 v[18:19], v[20:21], v[16:17]
	v_fma_f64 v[6:7], -v[6:7], v[18:19], v[20:21]
	s_delay_alu instid0(VALU_DEP_1) | instskip(NEXT) | instid1(VALU_DEP_1)
	v_div_fmas_f64 v[6:7], v[6:7], v[16:17], v[18:19]
	v_div_fixup_f64 v[0:1], v[6:7], v[0:1], v[4:5]
	ds_store_b64 v14, v[0:1]
	s_wait_storecnt_dscnt 0x0
	ds_load_b64 v[4:5], v13
	ds_load_b64 v[6:7], v12
	s_wait_dscnt 0x0
	v_fmac_f64_e32 v[6:7], v[0:1], v[4:5]
	ds_store_b64 v12, v[6:7]
.LBB26_75:
	s_or_b32 exec_lo, exec_lo, s1
	s_delay_alu instid0(SALU_CYCLE_1)
	s_mov_b32 s1, exec_lo
	s_wait_storecnt_dscnt 0x0
	v_cmpx_eq_u32_e32 1, v9
	s_cbranch_execz .LBB26_77
; %bb.76:
	v_mov_b32_e32 v18, 0
	ds_load_2addr_b64 v[4:7], v18 offset0:92 offset1:134
	s_wait_dscnt 0x0
	v_add_f64_e64 v[0:1], v[4:5], -v[6:7]
	s_delay_alu instid0(VALU_DEP_1) | instskip(SKIP_1) | instid1(VALU_DEP_1)
	v_cmp_gt_f64_e32 vcc_lo, 0, v[0:1]
	v_xor_b32_e32 v4, 0x80000000, v1
	v_cndmask_b32_e32 v1, v1, v4, vcc_lo
	s_delay_alu instid0(VALU_DEP_1) | instskip(SKIP_2) | instid1(SALU_CYCLE_1)
	v_cmp_gt_f64_e32 vcc_lo, 0x10000000, v[0:1]
	s_and_b32 s12, vcc_lo, exec_lo
	s_cselect_b32 s12, 0x100, 0
	v_ldexp_f64 v[0:1], v[0:1], s12
	s_cselect_b32 s12, 0xffffff80, 0
	s_delay_alu instid0(VALU_DEP_1) | instskip(SKIP_1) | instid1(TRANS32_DEP_1)
	v_rsq_f64_e32 v[4:5], v[0:1]
	v_cmp_class_f64_e64 vcc_lo, v[0:1], 0x260
	v_mul_f64_e32 v[6:7], v[0:1], v[4:5]
	v_mul_f64_e32 v[4:5], 0.5, v[4:5]
	s_delay_alu instid0(VALU_DEP_1) | instskip(NEXT) | instid1(VALU_DEP_1)
	v_fma_f64 v[16:17], -v[4:5], v[6:7], 0.5
	v_fmac_f64_e32 v[6:7], v[6:7], v[16:17]
	v_fmac_f64_e32 v[4:5], v[4:5], v[16:17]
	s_delay_alu instid0(VALU_DEP_2) | instskip(NEXT) | instid1(VALU_DEP_1)
	v_fma_f64 v[16:17], -v[6:7], v[6:7], v[0:1]
	v_fmac_f64_e32 v[6:7], v[16:17], v[4:5]
	s_delay_alu instid0(VALU_DEP_1) | instskip(NEXT) | instid1(VALU_DEP_1)
	v_fma_f64 v[16:17], -v[6:7], v[6:7], v[0:1]
	v_fmac_f64_e32 v[6:7], v[16:17], v[4:5]
	s_delay_alu instid0(VALU_DEP_1) | instskip(NEXT) | instid1(VALU_DEP_1)
	v_ldexp_f64 v[4:5], v[6:7], s12
	v_dual_cndmask_b32 v1, v5, v1 :: v_dual_cndmask_b32 v0, v4, v0
	ds_store_b64 v18, v[0:1] offset:736
.LBB26_77:
	s_or_b32 exec_lo, exec_lo, s1
	v_mov_b32_e32 v0, 0
	s_wait_dscnt 0x0
	ds_load_b64 v[0:1], v0 offset:736
	s_wait_dscnt 0x0
	v_cmp_neq_f64_e32 vcc_lo, 0, v[0:1]
	v_cndmask_b32_e32 v1, 0x3ff00000, v1, vcc_lo
	v_cndmask_b32_e32 v0, 0, v0, vcc_lo
	s_nor_b32 s12, vcc_lo, s0
	s_delay_alu instid0(SALU_CYCLE_1)
	s_and_saveexec_b32 s1, s12
	s_cbranch_execz .LBB26_81
; %bb.78:
	v_mbcnt_lo_u32_b32 v0, exec_lo, 0
	s_mov_b32 s12, exec_lo
	s_delay_alu instid0(VALU_DEP_1)
	v_cmpx_eq_u32_e32 0, v0
	s_cbranch_execz .LBB26_80
; %bb.79:
	v_dual_mov_b32 v0, 0 :: v_dual_mov_b32 v1, s5
	global_atomic_min_i32 v0, v1, s[10:11] scope:SCOPE_DEV
.LBB26_80:
	s_wait_xcnt 0x0
	s_or_b32 exec_lo, exec_lo, s12
	v_mov_b64_e32 v[0:1], 1.0
.LBB26_81:
	s_or_b32 exec_lo, exec_lo, s1
	s_delay_alu instid0(SALU_CYCLE_1)
	s_mov_b32 s1, exec_lo
	v_cmpx_lt_u32_e32 1, v9
	s_cbranch_execz .LBB26_83
; %bb.82:
	ds_load_b64 v[4:5], v14 offset:8
	ds_load_b64 v[6:7], v15 offset:8
	s_wait_dscnt 0x0
	v_add_f64_e64 v[4:5], v[4:5], -v[6:7]
	s_delay_alu instid0(VALU_DEP_1) | instskip(SKIP_1) | instid1(VALU_DEP_2)
	v_div_scale_f64 v[6:7], null, v[0:1], v[0:1], v[4:5]
	v_div_scale_f64 v[20:21], vcc_lo, v[4:5], v[0:1], v[4:5]
	v_rcp_f64_e32 v[16:17], v[6:7]
	v_nop
	s_delay_alu instid0(TRANS32_DEP_1) | instskip(NEXT) | instid1(VALU_DEP_1)
	v_fma_f64 v[18:19], -v[6:7], v[16:17], 1.0
	v_fmac_f64_e32 v[16:17], v[16:17], v[18:19]
	s_delay_alu instid0(VALU_DEP_1) | instskip(NEXT) | instid1(VALU_DEP_1)
	v_fma_f64 v[18:19], -v[6:7], v[16:17], 1.0
	v_fmac_f64_e32 v[16:17], v[16:17], v[18:19]
	s_delay_alu instid0(VALU_DEP_1) | instskip(NEXT) | instid1(VALU_DEP_1)
	v_mul_f64_e32 v[18:19], v[20:21], v[16:17]
	v_fma_f64 v[6:7], -v[6:7], v[18:19], v[20:21]
	s_delay_alu instid0(VALU_DEP_1) | instskip(NEXT) | instid1(VALU_DEP_1)
	v_div_fmas_f64 v[6:7], v[6:7], v[16:17], v[18:19]
	v_div_fixup_f64 v[0:1], v[6:7], v[0:1], v[4:5]
	ds_store_b64 v14, v[0:1] offset:8
	s_wait_storecnt_dscnt 0x0
	ds_load_b64 v[4:5], v13 offset:8
	ds_load_b64 v[6:7], v12
	s_wait_dscnt 0x0
	v_fmac_f64_e32 v[6:7], v[0:1], v[4:5]
	ds_store_b64 v12, v[6:7]
.LBB26_83:
	s_or_b32 exec_lo, exec_lo, s1
	s_delay_alu instid0(SALU_CYCLE_1)
	s_mov_b32 s1, exec_lo
	s_wait_storecnt_dscnt 0x0
	v_cmpx_eq_u32_e32 2, v9
	s_cbranch_execz .LBB26_85
; %bb.84:
	v_mov_b32_e32 v18, 0
	ds_load_2addr_b64 v[4:7], v18 offset0:100 offset1:142
	s_wait_dscnt 0x0
	v_add_f64_e64 v[0:1], v[4:5], -v[6:7]
	s_delay_alu instid0(VALU_DEP_1) | instskip(SKIP_1) | instid1(VALU_DEP_1)
	v_cmp_gt_f64_e32 vcc_lo, 0, v[0:1]
	v_xor_b32_e32 v4, 0x80000000, v1
	v_cndmask_b32_e32 v1, v1, v4, vcc_lo
	s_delay_alu instid0(VALU_DEP_1) | instskip(SKIP_2) | instid1(SALU_CYCLE_1)
	v_cmp_gt_f64_e32 vcc_lo, 0x10000000, v[0:1]
	s_and_b32 s12, vcc_lo, exec_lo
	s_cselect_b32 s12, 0x100, 0
	v_ldexp_f64 v[0:1], v[0:1], s12
	s_cselect_b32 s12, 0xffffff80, 0
	s_delay_alu instid0(VALU_DEP_1) | instskip(SKIP_1) | instid1(TRANS32_DEP_1)
	v_rsq_f64_e32 v[4:5], v[0:1]
	v_cmp_class_f64_e64 vcc_lo, v[0:1], 0x260
	v_mul_f64_e32 v[6:7], v[0:1], v[4:5]
	v_mul_f64_e32 v[4:5], 0.5, v[4:5]
	s_delay_alu instid0(VALU_DEP_1) | instskip(NEXT) | instid1(VALU_DEP_1)
	v_fma_f64 v[16:17], -v[4:5], v[6:7], 0.5
	v_fmac_f64_e32 v[6:7], v[6:7], v[16:17]
	v_fmac_f64_e32 v[4:5], v[4:5], v[16:17]
	s_delay_alu instid0(VALU_DEP_2) | instskip(NEXT) | instid1(VALU_DEP_1)
	v_fma_f64 v[16:17], -v[6:7], v[6:7], v[0:1]
	v_fmac_f64_e32 v[6:7], v[16:17], v[4:5]
	s_delay_alu instid0(VALU_DEP_1) | instskip(NEXT) | instid1(VALU_DEP_1)
	v_fma_f64 v[16:17], -v[6:7], v[6:7], v[0:1]
	v_fmac_f64_e32 v[6:7], v[16:17], v[4:5]
	s_delay_alu instid0(VALU_DEP_1) | instskip(NEXT) | instid1(VALU_DEP_1)
	v_ldexp_f64 v[4:5], v[6:7], s12
	v_dual_cndmask_b32 v1, v5, v1 :: v_dual_cndmask_b32 v0, v4, v0
	ds_store_b64 v18, v[0:1] offset:800
.LBB26_85:
	s_or_b32 exec_lo, exec_lo, s1
	v_mov_b32_e32 v0, 0
	s_wait_dscnt 0x0
	ds_load_b64 v[0:1], v0 offset:800
	s_wait_dscnt 0x0
	v_cmp_neq_f64_e32 vcc_lo, 0, v[0:1]
	v_cndmask_b32_e32 v1, 0x3ff00000, v1, vcc_lo
	v_cndmask_b32_e32 v0, 0, v0, vcc_lo
	s_nor_b32 s12, vcc_lo, s0
	s_delay_alu instid0(SALU_CYCLE_1)
	s_and_saveexec_b32 s1, s12
	s_cbranch_execz .LBB26_89
; %bb.86:
	v_mbcnt_lo_u32_b32 v0, exec_lo, 0
	s_mov_b32 s12, exec_lo
	s_delay_alu instid0(VALU_DEP_1)
	v_cmpx_eq_u32_e32 0, v0
	s_cbranch_execz .LBB26_88
; %bb.87:
	v_dual_mov_b32 v0, 0 :: v_dual_mov_b32 v1, s5
	global_atomic_min_i32 v0, v1, s[10:11] scope:SCOPE_DEV
.LBB26_88:
	s_wait_xcnt 0x0
	s_or_b32 exec_lo, exec_lo, s12
	v_mov_b64_e32 v[0:1], 1.0
.LBB26_89:
	s_or_b32 exec_lo, exec_lo, s1
	s_delay_alu instid0(SALU_CYCLE_1)
	s_mov_b32 s1, exec_lo
	v_cmpx_lt_u32_e32 2, v9
	s_cbranch_execz .LBB26_91
; %bb.90:
	ds_load_b64 v[4:5], v14 offset:16
	ds_load_b64 v[6:7], v15 offset:16
	s_wait_dscnt 0x0
	v_add_f64_e64 v[4:5], v[4:5], -v[6:7]
	s_delay_alu instid0(VALU_DEP_1) | instskip(SKIP_1) | instid1(VALU_DEP_2)
	v_div_scale_f64 v[6:7], null, v[0:1], v[0:1], v[4:5]
	v_div_scale_f64 v[20:21], vcc_lo, v[4:5], v[0:1], v[4:5]
	v_rcp_f64_e32 v[16:17], v[6:7]
	v_nop
	s_delay_alu instid0(TRANS32_DEP_1) | instskip(NEXT) | instid1(VALU_DEP_1)
	v_fma_f64 v[18:19], -v[6:7], v[16:17], 1.0
	v_fmac_f64_e32 v[16:17], v[16:17], v[18:19]
	s_delay_alu instid0(VALU_DEP_1) | instskip(NEXT) | instid1(VALU_DEP_1)
	v_fma_f64 v[18:19], -v[6:7], v[16:17], 1.0
	v_fmac_f64_e32 v[16:17], v[16:17], v[18:19]
	s_delay_alu instid0(VALU_DEP_1) | instskip(NEXT) | instid1(VALU_DEP_1)
	v_mul_f64_e32 v[18:19], v[20:21], v[16:17]
	v_fma_f64 v[6:7], -v[6:7], v[18:19], v[20:21]
	s_delay_alu instid0(VALU_DEP_1) | instskip(NEXT) | instid1(VALU_DEP_1)
	v_div_fmas_f64 v[6:7], v[6:7], v[16:17], v[18:19]
	v_div_fixup_f64 v[0:1], v[6:7], v[0:1], v[4:5]
	ds_store_b64 v14, v[0:1] offset:16
	s_wait_storecnt_dscnt 0x0
	ds_load_b64 v[4:5], v13 offset:16
	ds_load_b64 v[6:7], v12
	s_wait_dscnt 0x0
	v_fmac_f64_e32 v[6:7], v[0:1], v[4:5]
	ds_store_b64 v12, v[6:7]
.LBB26_91:
	s_or_b32 exec_lo, exec_lo, s1
	s_delay_alu instid0(SALU_CYCLE_1)
	s_mov_b32 s1, exec_lo
	s_wait_storecnt_dscnt 0x0
	v_cmpx_eq_u32_e32 3, v9
	s_cbranch_execz .LBB26_93
; %bb.92:
	v_mov_b32_e32 v18, 0
	ds_load_2addr_b64 v[4:7], v18 offset0:108 offset1:150
	s_wait_dscnt 0x0
	v_add_f64_e64 v[0:1], v[4:5], -v[6:7]
	s_delay_alu instid0(VALU_DEP_1) | instskip(SKIP_1) | instid1(VALU_DEP_1)
	v_cmp_gt_f64_e32 vcc_lo, 0, v[0:1]
	v_xor_b32_e32 v4, 0x80000000, v1
	v_cndmask_b32_e32 v1, v1, v4, vcc_lo
	s_delay_alu instid0(VALU_DEP_1) | instskip(SKIP_2) | instid1(SALU_CYCLE_1)
	v_cmp_gt_f64_e32 vcc_lo, 0x10000000, v[0:1]
	s_and_b32 s12, vcc_lo, exec_lo
	s_cselect_b32 s12, 0x100, 0
	v_ldexp_f64 v[0:1], v[0:1], s12
	s_cselect_b32 s12, 0xffffff80, 0
	s_delay_alu instid0(VALU_DEP_1) | instskip(SKIP_1) | instid1(TRANS32_DEP_1)
	v_rsq_f64_e32 v[4:5], v[0:1]
	v_cmp_class_f64_e64 vcc_lo, v[0:1], 0x260
	v_mul_f64_e32 v[6:7], v[0:1], v[4:5]
	v_mul_f64_e32 v[4:5], 0.5, v[4:5]
	s_delay_alu instid0(VALU_DEP_1) | instskip(NEXT) | instid1(VALU_DEP_1)
	v_fma_f64 v[16:17], -v[4:5], v[6:7], 0.5
	v_fmac_f64_e32 v[6:7], v[6:7], v[16:17]
	v_fmac_f64_e32 v[4:5], v[4:5], v[16:17]
	s_delay_alu instid0(VALU_DEP_2) | instskip(NEXT) | instid1(VALU_DEP_1)
	v_fma_f64 v[16:17], -v[6:7], v[6:7], v[0:1]
	v_fmac_f64_e32 v[6:7], v[16:17], v[4:5]
	s_delay_alu instid0(VALU_DEP_1) | instskip(NEXT) | instid1(VALU_DEP_1)
	v_fma_f64 v[16:17], -v[6:7], v[6:7], v[0:1]
	v_fmac_f64_e32 v[6:7], v[16:17], v[4:5]
	s_delay_alu instid0(VALU_DEP_1) | instskip(NEXT) | instid1(VALU_DEP_1)
	v_ldexp_f64 v[4:5], v[6:7], s12
	v_dual_cndmask_b32 v1, v5, v1 :: v_dual_cndmask_b32 v0, v4, v0
	ds_store_b64 v18, v[0:1] offset:864
.LBB26_93:
	s_or_b32 exec_lo, exec_lo, s1
	v_mov_b32_e32 v0, 0
	s_wait_dscnt 0x0
	ds_load_b64 v[0:1], v0 offset:864
	s_wait_dscnt 0x0
	v_cmp_neq_f64_e32 vcc_lo, 0, v[0:1]
	v_cndmask_b32_e32 v1, 0x3ff00000, v1, vcc_lo
	v_cndmask_b32_e32 v0, 0, v0, vcc_lo
	s_nor_b32 s12, vcc_lo, s0
	s_delay_alu instid0(SALU_CYCLE_1)
	s_and_saveexec_b32 s1, s12
	s_cbranch_execz .LBB26_97
; %bb.94:
	v_mbcnt_lo_u32_b32 v0, exec_lo, 0
	s_mov_b32 s12, exec_lo
	s_delay_alu instid0(VALU_DEP_1)
	v_cmpx_eq_u32_e32 0, v0
	s_cbranch_execz .LBB26_96
; %bb.95:
	v_dual_mov_b32 v0, 0 :: v_dual_mov_b32 v1, s5
	global_atomic_min_i32 v0, v1, s[10:11] scope:SCOPE_DEV
.LBB26_96:
	s_wait_xcnt 0x0
	s_or_b32 exec_lo, exec_lo, s12
	v_mov_b64_e32 v[0:1], 1.0
.LBB26_97:
	s_or_b32 exec_lo, exec_lo, s1
	s_delay_alu instid0(SALU_CYCLE_1)
	s_mov_b32 s1, exec_lo
	v_cmpx_lt_u32_e32 3, v9
	s_cbranch_execz .LBB26_99
; %bb.98:
	ds_load_b64 v[4:5], v14 offset:24
	ds_load_b64 v[6:7], v15 offset:24
	s_wait_dscnt 0x0
	v_add_f64_e64 v[4:5], v[4:5], -v[6:7]
	s_delay_alu instid0(VALU_DEP_1) | instskip(SKIP_1) | instid1(VALU_DEP_2)
	v_div_scale_f64 v[6:7], null, v[0:1], v[0:1], v[4:5]
	v_div_scale_f64 v[20:21], vcc_lo, v[4:5], v[0:1], v[4:5]
	v_rcp_f64_e32 v[16:17], v[6:7]
	v_nop
	s_delay_alu instid0(TRANS32_DEP_1) | instskip(NEXT) | instid1(VALU_DEP_1)
	v_fma_f64 v[18:19], -v[6:7], v[16:17], 1.0
	v_fmac_f64_e32 v[16:17], v[16:17], v[18:19]
	s_delay_alu instid0(VALU_DEP_1) | instskip(NEXT) | instid1(VALU_DEP_1)
	v_fma_f64 v[18:19], -v[6:7], v[16:17], 1.0
	v_fmac_f64_e32 v[16:17], v[16:17], v[18:19]
	s_delay_alu instid0(VALU_DEP_1) | instskip(NEXT) | instid1(VALU_DEP_1)
	v_mul_f64_e32 v[18:19], v[20:21], v[16:17]
	v_fma_f64 v[6:7], -v[6:7], v[18:19], v[20:21]
	s_delay_alu instid0(VALU_DEP_1) | instskip(NEXT) | instid1(VALU_DEP_1)
	v_div_fmas_f64 v[6:7], v[6:7], v[16:17], v[18:19]
	v_div_fixup_f64 v[0:1], v[6:7], v[0:1], v[4:5]
	ds_store_b64 v14, v[0:1] offset:24
	s_wait_storecnt_dscnt 0x0
	ds_load_b64 v[4:5], v13 offset:24
	ds_load_b64 v[6:7], v12
	s_wait_dscnt 0x0
	v_fmac_f64_e32 v[6:7], v[0:1], v[4:5]
	ds_store_b64 v12, v[6:7]
.LBB26_99:
	s_or_b32 exec_lo, exec_lo, s1
	s_delay_alu instid0(SALU_CYCLE_1)
	s_mov_b32 s1, exec_lo
	s_wait_storecnt_dscnt 0x0
	v_cmpx_eq_u32_e32 4, v9
	s_cbranch_execz .LBB26_101
; %bb.100:
	v_mov_b32_e32 v18, 0
	ds_load_2addr_b64 v[4:7], v18 offset0:116 offset1:158
	s_wait_dscnt 0x0
	v_add_f64_e64 v[0:1], v[4:5], -v[6:7]
	s_delay_alu instid0(VALU_DEP_1) | instskip(SKIP_1) | instid1(VALU_DEP_1)
	v_cmp_gt_f64_e32 vcc_lo, 0, v[0:1]
	v_xor_b32_e32 v4, 0x80000000, v1
	v_cndmask_b32_e32 v1, v1, v4, vcc_lo
	s_delay_alu instid0(VALU_DEP_1) | instskip(SKIP_2) | instid1(SALU_CYCLE_1)
	v_cmp_gt_f64_e32 vcc_lo, 0x10000000, v[0:1]
	s_and_b32 s12, vcc_lo, exec_lo
	s_cselect_b32 s12, 0x100, 0
	v_ldexp_f64 v[0:1], v[0:1], s12
	s_cselect_b32 s12, 0xffffff80, 0
	s_delay_alu instid0(VALU_DEP_1) | instskip(SKIP_1) | instid1(TRANS32_DEP_1)
	v_rsq_f64_e32 v[4:5], v[0:1]
	v_cmp_class_f64_e64 vcc_lo, v[0:1], 0x260
	v_mul_f64_e32 v[6:7], v[0:1], v[4:5]
	v_mul_f64_e32 v[4:5], 0.5, v[4:5]
	s_delay_alu instid0(VALU_DEP_1) | instskip(NEXT) | instid1(VALU_DEP_1)
	v_fma_f64 v[16:17], -v[4:5], v[6:7], 0.5
	v_fmac_f64_e32 v[6:7], v[6:7], v[16:17]
	v_fmac_f64_e32 v[4:5], v[4:5], v[16:17]
	s_delay_alu instid0(VALU_DEP_2) | instskip(NEXT) | instid1(VALU_DEP_1)
	v_fma_f64 v[16:17], -v[6:7], v[6:7], v[0:1]
	v_fmac_f64_e32 v[6:7], v[16:17], v[4:5]
	s_delay_alu instid0(VALU_DEP_1) | instskip(NEXT) | instid1(VALU_DEP_1)
	v_fma_f64 v[16:17], -v[6:7], v[6:7], v[0:1]
	v_fmac_f64_e32 v[6:7], v[16:17], v[4:5]
	s_delay_alu instid0(VALU_DEP_1) | instskip(NEXT) | instid1(VALU_DEP_1)
	v_ldexp_f64 v[4:5], v[6:7], s12
	v_dual_cndmask_b32 v1, v5, v1 :: v_dual_cndmask_b32 v0, v4, v0
	ds_store_b64 v18, v[0:1] offset:928
.LBB26_101:
	s_or_b32 exec_lo, exec_lo, s1
	v_mov_b32_e32 v0, 0
	s_wait_dscnt 0x0
	ds_load_b64 v[0:1], v0 offset:928
	s_wait_dscnt 0x0
	v_cmp_neq_f64_e32 vcc_lo, 0, v[0:1]
	v_cndmask_b32_e32 v1, 0x3ff00000, v1, vcc_lo
	v_cndmask_b32_e32 v0, 0, v0, vcc_lo
	s_nor_b32 s12, vcc_lo, s0
	s_delay_alu instid0(SALU_CYCLE_1)
	s_and_saveexec_b32 s1, s12
	s_cbranch_execz .LBB26_105
; %bb.102:
	v_mbcnt_lo_u32_b32 v0, exec_lo, 0
	s_mov_b32 s12, exec_lo
	s_delay_alu instid0(VALU_DEP_1)
	v_cmpx_eq_u32_e32 0, v0
	s_cbranch_execz .LBB26_104
; %bb.103:
	v_dual_mov_b32 v0, 0 :: v_dual_mov_b32 v1, s5
	global_atomic_min_i32 v0, v1, s[10:11] scope:SCOPE_DEV
.LBB26_104:
	s_wait_xcnt 0x0
	s_or_b32 exec_lo, exec_lo, s12
	v_mov_b64_e32 v[0:1], 1.0
.LBB26_105:
	s_or_b32 exec_lo, exec_lo, s1
	s_delay_alu instid0(SALU_CYCLE_1)
	s_mov_b32 s1, exec_lo
	v_cmpx_lt_u32_e32 4, v9
	s_cbranch_execz .LBB26_107
; %bb.106:
	ds_load_b64 v[4:5], v14 offset:32
	ds_load_b64 v[6:7], v15 offset:32
	s_wait_dscnt 0x0
	v_add_f64_e64 v[4:5], v[4:5], -v[6:7]
	s_delay_alu instid0(VALU_DEP_1) | instskip(SKIP_1) | instid1(VALU_DEP_2)
	v_div_scale_f64 v[6:7], null, v[0:1], v[0:1], v[4:5]
	v_div_scale_f64 v[20:21], vcc_lo, v[4:5], v[0:1], v[4:5]
	v_rcp_f64_e32 v[16:17], v[6:7]
	v_nop
	s_delay_alu instid0(TRANS32_DEP_1) | instskip(NEXT) | instid1(VALU_DEP_1)
	v_fma_f64 v[18:19], -v[6:7], v[16:17], 1.0
	v_fmac_f64_e32 v[16:17], v[16:17], v[18:19]
	s_delay_alu instid0(VALU_DEP_1) | instskip(NEXT) | instid1(VALU_DEP_1)
	v_fma_f64 v[18:19], -v[6:7], v[16:17], 1.0
	v_fmac_f64_e32 v[16:17], v[16:17], v[18:19]
	s_delay_alu instid0(VALU_DEP_1) | instskip(NEXT) | instid1(VALU_DEP_1)
	v_mul_f64_e32 v[18:19], v[20:21], v[16:17]
	v_fma_f64 v[6:7], -v[6:7], v[18:19], v[20:21]
	s_delay_alu instid0(VALU_DEP_1) | instskip(NEXT) | instid1(VALU_DEP_1)
	v_div_fmas_f64 v[6:7], v[6:7], v[16:17], v[18:19]
	v_div_fixup_f64 v[0:1], v[6:7], v[0:1], v[4:5]
	ds_store_b64 v14, v[0:1] offset:32
	s_wait_storecnt_dscnt 0x0
	ds_load_b64 v[4:5], v13 offset:32
	ds_load_b64 v[6:7], v12
	s_wait_dscnt 0x0
	v_fmac_f64_e32 v[6:7], v[0:1], v[4:5]
	ds_store_b64 v12, v[6:7]
.LBB26_107:
	s_or_b32 exec_lo, exec_lo, s1
	s_delay_alu instid0(SALU_CYCLE_1)
	s_mov_b32 s1, exec_lo
	s_wait_storecnt_dscnt 0x0
	v_cmpx_eq_u32_e32 5, v9
	s_cbranch_execz .LBB26_109
; %bb.108:
	v_mov_b32_e32 v18, 0
	ds_load_2addr_b64 v[4:7], v18 offset0:124 offset1:166
	s_wait_dscnt 0x0
	v_add_f64_e64 v[0:1], v[4:5], -v[6:7]
	s_delay_alu instid0(VALU_DEP_1) | instskip(SKIP_1) | instid1(VALU_DEP_1)
	v_cmp_gt_f64_e32 vcc_lo, 0, v[0:1]
	v_xor_b32_e32 v4, 0x80000000, v1
	v_cndmask_b32_e32 v1, v1, v4, vcc_lo
	s_delay_alu instid0(VALU_DEP_1) | instskip(SKIP_2) | instid1(SALU_CYCLE_1)
	v_cmp_gt_f64_e32 vcc_lo, 0x10000000, v[0:1]
	s_and_b32 s12, vcc_lo, exec_lo
	s_cselect_b32 s12, 0x100, 0
	v_ldexp_f64 v[0:1], v[0:1], s12
	s_cselect_b32 s12, 0xffffff80, 0
	s_delay_alu instid0(VALU_DEP_1) | instskip(SKIP_1) | instid1(TRANS32_DEP_1)
	v_rsq_f64_e32 v[4:5], v[0:1]
	v_cmp_class_f64_e64 vcc_lo, v[0:1], 0x260
	v_mul_f64_e32 v[6:7], v[0:1], v[4:5]
	v_mul_f64_e32 v[4:5], 0.5, v[4:5]
	s_delay_alu instid0(VALU_DEP_1) | instskip(NEXT) | instid1(VALU_DEP_1)
	v_fma_f64 v[16:17], -v[4:5], v[6:7], 0.5
	v_fmac_f64_e32 v[6:7], v[6:7], v[16:17]
	v_fmac_f64_e32 v[4:5], v[4:5], v[16:17]
	s_delay_alu instid0(VALU_DEP_2) | instskip(NEXT) | instid1(VALU_DEP_1)
	v_fma_f64 v[16:17], -v[6:7], v[6:7], v[0:1]
	v_fmac_f64_e32 v[6:7], v[16:17], v[4:5]
	s_delay_alu instid0(VALU_DEP_1) | instskip(NEXT) | instid1(VALU_DEP_1)
	v_fma_f64 v[16:17], -v[6:7], v[6:7], v[0:1]
	v_fmac_f64_e32 v[6:7], v[16:17], v[4:5]
	s_delay_alu instid0(VALU_DEP_1) | instskip(NEXT) | instid1(VALU_DEP_1)
	v_ldexp_f64 v[4:5], v[6:7], s12
	v_dual_cndmask_b32 v1, v5, v1 :: v_dual_cndmask_b32 v0, v4, v0
	ds_store_b64 v18, v[0:1] offset:992
.LBB26_109:
	s_or_b32 exec_lo, exec_lo, s1
	v_mov_b32_e32 v0, 0
	s_wait_dscnt 0x0
	ds_load_b64 v[0:1], v0 offset:992
	s_wait_dscnt 0x0
	v_cmp_neq_f64_e32 vcc_lo, 0, v[0:1]
	v_cndmask_b32_e32 v1, 0x3ff00000, v1, vcc_lo
	v_cndmask_b32_e32 v0, 0, v0, vcc_lo
	s_nor_b32 s1, vcc_lo, s0
	s_delay_alu instid0(SALU_CYCLE_1)
	s_and_saveexec_b32 s0, s1
	s_cbranch_execz .LBB26_113
; %bb.110:
	v_mbcnt_lo_u32_b32 v0, exec_lo, 0
	s_mov_b32 s1, exec_lo
	s_delay_alu instid0(VALU_DEP_1)
	v_cmpx_eq_u32_e32 0, v0
	s_cbranch_execz .LBB26_112
; %bb.111:
	v_dual_mov_b32 v0, 0 :: v_dual_mov_b32 v1, s5
	global_atomic_min_i32 v0, v1, s[10:11] scope:SCOPE_DEV
.LBB26_112:
	s_wait_xcnt 0x0
	s_or_b32 exec_lo, exec_lo, s1
	v_mov_b64_e32 v[0:1], 1.0
.LBB26_113:
	s_or_b32 exec_lo, exec_lo, s0
	s_delay_alu instid0(SALU_CYCLE_1)
	s_mov_b32 s0, exec_lo
	v_cmpx_lt_u32_e32 5, v9
	s_cbranch_execz .LBB26_115
; %bb.114:
	ds_load_b64 v[4:5], v14 offset:40
	ds_load_b64 v[6:7], v15 offset:40
	s_wait_dscnt 0x0
	v_add_f64_e64 v[4:5], v[4:5], -v[6:7]
	s_delay_alu instid0(VALU_DEP_1) | instskip(SKIP_1) | instid1(VALU_DEP_2)
	v_div_scale_f64 v[6:7], null, v[0:1], v[0:1], v[4:5]
	v_div_scale_f64 v[20:21], vcc_lo, v[4:5], v[0:1], v[4:5]
	v_rcp_f64_e32 v[16:17], v[6:7]
	v_nop
	s_delay_alu instid0(TRANS32_DEP_1) | instskip(NEXT) | instid1(VALU_DEP_1)
	v_fma_f64 v[18:19], -v[6:7], v[16:17], 1.0
	v_fmac_f64_e32 v[16:17], v[16:17], v[18:19]
	s_delay_alu instid0(VALU_DEP_1) | instskip(NEXT) | instid1(VALU_DEP_1)
	v_fma_f64 v[18:19], -v[6:7], v[16:17], 1.0
	v_fmac_f64_e32 v[16:17], v[16:17], v[18:19]
	s_delay_alu instid0(VALU_DEP_1) | instskip(NEXT) | instid1(VALU_DEP_1)
	v_mul_f64_e32 v[18:19], v[20:21], v[16:17]
	v_fma_f64 v[6:7], -v[6:7], v[18:19], v[20:21]
	s_delay_alu instid0(VALU_DEP_1) | instskip(NEXT) | instid1(VALU_DEP_1)
	v_div_fmas_f64 v[6:7], v[6:7], v[16:17], v[18:19]
	v_div_fixup_f64 v[0:1], v[6:7], v[0:1], v[4:5]
	ds_store_b64 v14, v[0:1] offset:40
	s_wait_storecnt_dscnt 0x0
	ds_load_b64 v[4:5], v13 offset:40
	ds_load_b64 v[6:7], v12
	s_wait_dscnt 0x0
	v_fmac_f64_e32 v[6:7], v[0:1], v[4:5]
	ds_store_b64 v12, v[6:7]
.LBB26_115:
	s_or_b32 exec_lo, exec_lo, s0
	s_wait_storecnt_dscnt 0x0
	ds_load_b64 v[0:1], v2
	s_and_not1_b32 vcc_lo, exec_lo, s4
	s_cbranch_vccnz .LBB26_117
; %bb.116:
	v_mov_b32_e32 v10, v11
.LBB26_117:
	s_delay_alu instid0(VALU_DEP_1)
	v_add_nc_u32_e32 v2, s26, v10
	s_mov_b32 s0, 0
	s_mov_b32 s1, exec_lo
	s_wait_dscnt 0x0
	global_store_b64 v2, v[0:1], s[16:17] scale_offset
	s_wait_xcnt 0x0
	v_cmpx_eq_u32_e32 0, v3
	s_cbranch_execz .LBB26_119
; %bb.118:
	v_dual_mov_b32 v0, 0 :: v_dual_mov_b32 v1, 1
	s_add_nc_u64 s[4:5], s[6:7], s[2:3]
	global_wb scope:SCOPE_DEV
	s_wait_storecnt 0x0
	global_store_b32 v0, v1, s[4:5] scope:SCOPE_DEV
.LBB26_119:
	s_wait_xcnt 0x0
	s_or_b32 exec_lo, exec_lo, s1
	s_delay_alu instid0(SALU_CYCLE_1)
	s_and_b32 vcc_lo, exec_lo, s0
	s_cbranch_vccnz .LBB26_122
.LBB26_120:
	s_endpgm
.LBB26_121:
	s_cbranch_execz .LBB26_120
.LBB26_122:
	v_or_b32_e32 v0, v8, v9
	s_mov_b32 s0, exec_lo
	s_delay_alu instid0(VALU_DEP_1)
	v_cmpx_eq_u32_e32 0, v0
	s_cbranch_execz .LBB26_120
; %bb.123:
	v_mbcnt_lo_u32_b32 v0, exec_lo, 0
	s_mov_b32 s0, exec_lo
	s_delay_alu instid0(VALU_DEP_1)
	v_cmpx_eq_u32_e32 0, v0
	s_cbranch_execz .LBB26_125
; %bb.124:
	s_add_co_i32 s1, s8, s9
	s_delay_alu instid0(SALU_CYCLE_1)
	v_dual_mov_b32 v0, 0 :: v_dual_mov_b32 v1, s1
	global_atomic_min_i32 v0, v1, s[10:11] scope:SCOPE_DEV
.LBB26_125:
	s_wait_xcnt 0x0
	s_or_b32 exec_lo, exec_lo, s0
	v_dual_mov_b32 v0, 0 :: v_dual_mov_b32 v1, 1
	s_add_nc_u64 s[0:1], s[6:7], s[2:3]
	global_wb scope:SCOPE_DEV
	s_wait_storecnt 0x0
	global_store_b32 v0, v1, s[0:1] scope:SCOPE_DEV
	s_endpgm
	.section	.rodata,"a",@progbits
	.p2align	6, 0x0
	.amdhsa_kernel _ZN9rocsparseL26bsric0_2_8_unrolled_kernelILi36ELi32ELi6EdEEv20rocsparse_direction_iiPKiS3_PT2_S3_PiS3_S6_21rocsparse_index_base_
		.amdhsa_group_segment_fixed_size 1728
		.amdhsa_private_segment_fixed_size 0
		.amdhsa_kernarg_size 76
		.amdhsa_user_sgpr_count 2
		.amdhsa_user_sgpr_dispatch_ptr 0
		.amdhsa_user_sgpr_queue_ptr 0
		.amdhsa_user_sgpr_kernarg_segment_ptr 1
		.amdhsa_user_sgpr_dispatch_id 0
		.amdhsa_user_sgpr_kernarg_preload_length 0
		.amdhsa_user_sgpr_kernarg_preload_offset 0
		.amdhsa_user_sgpr_private_segment_size 0
		.amdhsa_wavefront_size32 1
		.amdhsa_uses_dynamic_stack 0
		.amdhsa_enable_private_segment 0
		.amdhsa_system_sgpr_workgroup_id_x 1
		.amdhsa_system_sgpr_workgroup_id_y 0
		.amdhsa_system_sgpr_workgroup_id_z 0
		.amdhsa_system_sgpr_workgroup_info 0
		.amdhsa_system_vgpr_workitem_id 1
		.amdhsa_next_free_vgpr 48
		.amdhsa_next_free_sgpr 37
		.amdhsa_named_barrier_count 0
		.amdhsa_reserve_vcc 1
		.amdhsa_float_round_mode_32 0
		.amdhsa_float_round_mode_16_64 0
		.amdhsa_float_denorm_mode_32 3
		.amdhsa_float_denorm_mode_16_64 3
		.amdhsa_fp16_overflow 0
		.amdhsa_memory_ordered 1
		.amdhsa_forward_progress 1
		.amdhsa_inst_pref_size 65
		.amdhsa_round_robin_scheduling 0
		.amdhsa_exception_fp_ieee_invalid_op 0
		.amdhsa_exception_fp_denorm_src 0
		.amdhsa_exception_fp_ieee_div_zero 0
		.amdhsa_exception_fp_ieee_overflow 0
		.amdhsa_exception_fp_ieee_underflow 0
		.amdhsa_exception_fp_ieee_inexact 0
		.amdhsa_exception_int_div_zero 0
	.end_amdhsa_kernel
	.section	.text._ZN9rocsparseL26bsric0_2_8_unrolled_kernelILi36ELi32ELi6EdEEv20rocsparse_direction_iiPKiS3_PT2_S3_PiS3_S6_21rocsparse_index_base_,"axG",@progbits,_ZN9rocsparseL26bsric0_2_8_unrolled_kernelILi36ELi32ELi6EdEEv20rocsparse_direction_iiPKiS3_PT2_S3_PiS3_S6_21rocsparse_index_base_,comdat
.Lfunc_end26:
	.size	_ZN9rocsparseL26bsric0_2_8_unrolled_kernelILi36ELi32ELi6EdEEv20rocsparse_direction_iiPKiS3_PT2_S3_PiS3_S6_21rocsparse_index_base_, .Lfunc_end26-_ZN9rocsparseL26bsric0_2_8_unrolled_kernelILi36ELi32ELi6EdEEv20rocsparse_direction_iiPKiS3_PT2_S3_PiS3_S6_21rocsparse_index_base_
                                        ; -- End function
	.set _ZN9rocsparseL26bsric0_2_8_unrolled_kernelILi36ELi32ELi6EdEEv20rocsparse_direction_iiPKiS3_PT2_S3_PiS3_S6_21rocsparse_index_base_.num_vgpr, 48
	.set _ZN9rocsparseL26bsric0_2_8_unrolled_kernelILi36ELi32ELi6EdEEv20rocsparse_direction_iiPKiS3_PT2_S3_PiS3_S6_21rocsparse_index_base_.num_agpr, 0
	.set _ZN9rocsparseL26bsric0_2_8_unrolled_kernelILi36ELi32ELi6EdEEv20rocsparse_direction_iiPKiS3_PT2_S3_PiS3_S6_21rocsparse_index_base_.numbered_sgpr, 37
	.set _ZN9rocsparseL26bsric0_2_8_unrolled_kernelILi36ELi32ELi6EdEEv20rocsparse_direction_iiPKiS3_PT2_S3_PiS3_S6_21rocsparse_index_base_.num_named_barrier, 0
	.set _ZN9rocsparseL26bsric0_2_8_unrolled_kernelILi36ELi32ELi6EdEEv20rocsparse_direction_iiPKiS3_PT2_S3_PiS3_S6_21rocsparse_index_base_.private_seg_size, 0
	.set _ZN9rocsparseL26bsric0_2_8_unrolled_kernelILi36ELi32ELi6EdEEv20rocsparse_direction_iiPKiS3_PT2_S3_PiS3_S6_21rocsparse_index_base_.uses_vcc, 1
	.set _ZN9rocsparseL26bsric0_2_8_unrolled_kernelILi36ELi32ELi6EdEEv20rocsparse_direction_iiPKiS3_PT2_S3_PiS3_S6_21rocsparse_index_base_.uses_flat_scratch, 0
	.set _ZN9rocsparseL26bsric0_2_8_unrolled_kernelILi36ELi32ELi6EdEEv20rocsparse_direction_iiPKiS3_PT2_S3_PiS3_S6_21rocsparse_index_base_.has_dyn_sized_stack, 0
	.set _ZN9rocsparseL26bsric0_2_8_unrolled_kernelILi36ELi32ELi6EdEEv20rocsparse_direction_iiPKiS3_PT2_S3_PiS3_S6_21rocsparse_index_base_.has_recursion, 0
	.set _ZN9rocsparseL26bsric0_2_8_unrolled_kernelILi36ELi32ELi6EdEEv20rocsparse_direction_iiPKiS3_PT2_S3_PiS3_S6_21rocsparse_index_base_.has_indirect_call, 0
	.section	.AMDGPU.csdata,"",@progbits
; Kernel info:
; codeLenInByte = 8236
; TotalNumSgprs: 39
; NumVgprs: 48
; ScratchSize: 0
; MemoryBound: 1
; FloatMode: 240
; IeeeMode: 1
; LDSByteSize: 1728 bytes/workgroup (compile time only)
; SGPRBlocks: 0
; VGPRBlocks: 2
; NumSGPRsForWavesPerEU: 39
; NumVGPRsForWavesPerEU: 48
; NamedBarCnt: 0
; Occupancy: 16
; WaveLimiterHint : 1
; COMPUTE_PGM_RSRC2:SCRATCH_EN: 0
; COMPUTE_PGM_RSRC2:USER_SGPR: 2
; COMPUTE_PGM_RSRC2:TRAP_HANDLER: 0
; COMPUTE_PGM_RSRC2:TGID_X_EN: 1
; COMPUTE_PGM_RSRC2:TGID_Y_EN: 0
; COMPUTE_PGM_RSRC2:TGID_Z_EN: 0
; COMPUTE_PGM_RSRC2:TIDIG_COMP_CNT: 1
	.section	.text._ZN9rocsparseL26bsric0_2_8_unrolled_kernelILi49ELi32ELi7EdEEv20rocsparse_direction_iiPKiS3_PT2_S3_PiS3_S6_21rocsparse_index_base_,"axG",@progbits,_ZN9rocsparseL26bsric0_2_8_unrolled_kernelILi49ELi32ELi7EdEEv20rocsparse_direction_iiPKiS3_PT2_S3_PiS3_S6_21rocsparse_index_base_,comdat
	.globl	_ZN9rocsparseL26bsric0_2_8_unrolled_kernelILi49ELi32ELi7EdEEv20rocsparse_direction_iiPKiS3_PT2_S3_PiS3_S6_21rocsparse_index_base_ ; -- Begin function _ZN9rocsparseL26bsric0_2_8_unrolled_kernelILi49ELi32ELi7EdEEv20rocsparse_direction_iiPKiS3_PT2_S3_PiS3_S6_21rocsparse_index_base_
	.p2align	8
	.type	_ZN9rocsparseL26bsric0_2_8_unrolled_kernelILi49ELi32ELi7EdEEv20rocsparse_direction_iiPKiS3_PT2_S3_PiS3_S6_21rocsparse_index_base_,@function
_ZN9rocsparseL26bsric0_2_8_unrolled_kernelILi49ELi32ELi7EdEEv20rocsparse_direction_iiPKiS3_PT2_S3_PiS3_S6_21rocsparse_index_base_: ; @_ZN9rocsparseL26bsric0_2_8_unrolled_kernelILi49ELi32ELi7EdEEv20rocsparse_direction_iiPKiS3_PT2_S3_PiS3_S6_21rocsparse_index_base_
; %bb.0:
	s_load_b256 s[4:11], s[0:1], 0x28
	s_bfe_u32 s2, ttmp6, 0x4000c
	s_and_b32 s3, ttmp6, 15
	s_add_co_i32 s2, s2, 1
	s_getreg_b32 s12, hwreg(HW_REG_IB_STS2, 6, 4)
	s_mul_i32 s2, ttmp9, s2
	v_and_b32_e32 v8, 0x3ff, v0
	s_add_co_i32 s3, s3, s2
	s_cmp_eq_u32 s12, 0
	v_bfe_u32 v9, v0, 10, 10
	s_cselect_b32 s2, ttmp9, s3
	s_wait_kmcnt 0x0
	s_load_b32 s8, s[8:9], s2 offset:0x0 scale_offset
	s_wait_kmcnt 0x0
	s_ashr_i32 s9, s8, 31
	s_delay_alu instid0(SALU_CYCLE_1) | instskip(NEXT) | instid1(SALU_CYCLE_1)
	s_lshl_b64 s[2:3], s[8:9], 2
	s_add_nc_u64 s[12:13], s[4:5], s[2:3]
	s_load_b32 s26, s[12:13], 0x0
	s_load_b32 s9, s[0:1], 0x48
	s_wait_kmcnt 0x0
	s_cmp_lg_u32 s26, -1
	s_cbranch_scc0 .LBB27_133
; %bb.1:
	s_clause 0x1
	s_load_b128 s[12:15], s[0:1], 0x10
	s_load_b64 s[16:17], s[0:1], 0x20
	v_mad_u32_u24 v10, v9, 7, v8
	v_mul_u32_u24_e32 v15, 7, v9
	s_wait_kmcnt 0x0
	s_add_nc_u64 s[18:19], s[12:13], s[2:3]
	s_load_b32 s19, s[18:19], 0x0
	s_wait_xcnt 0x0
	s_mov_b32 s18, exec_lo
	s_wait_kmcnt 0x0
	s_sub_co_i32 s27, s19, s9
	s_delay_alu instid0(SALU_CYCLE_1) | instskip(NEXT) | instid1(VALU_DEP_1)
	v_add_nc_u32_e32 v0, s27, v10
	v_cmpx_ge_i32_e64 s26, v0
	s_cbranch_execz .LBB27_14
; %bb.2:
	v_add_nc_u32_e32 v1, s19, v8
	s_add_co_i32 s20, s26, 1
	s_mov_b32 s21, -1
	s_delay_alu instid0(VALU_DEP_1) | instskip(NEXT) | instid1(VALU_DEP_1)
	v_add_nc_u32_e32 v2, v1, v15
	v_subrev_nc_u32_e32 v2, s9, v2
	s_delay_alu instid0(VALU_DEP_1) | instskip(SKIP_1) | instid1(VALU_DEP_1)
	v_add_max_i32_e64 v2, v2, 49, s20
	s_mov_b32 s20, exec_lo
	v_add_nc_u32_e32 v2, s9, v2
	s_delay_alu instid0(VALU_DEP_1) | instskip(NEXT) | instid1(VALU_DEP_1)
	v_sub_nc_u32_e32 v1, v2, v1
	v_subrev_nc_u32_e32 v1, 49, v1
	s_delay_alu instid0(VALU_DEP_1) | instskip(SKIP_1) | instid1(VALU_DEP_1)
	v_cmp_ne_u32_e32 vcc_lo, v1, v15
	v_add_co_ci_u32_e64 v2, null, 0, v15, vcc_lo
	v_sub_nc_u32_e32 v1, v1, v2
	s_delay_alu instid0(VALU_DEP_1) | instskip(NEXT) | instid1(VALU_DEP_1)
	v_mul_hi_u32 v1, 0x5397829d, v1
	v_lshrrev_b32_e32 v1, 4, v1
	s_delay_alu instid0(VALU_DEP_1) | instskip(NEXT) | instid1(VALU_DEP_1)
	v_add_co_ci_u32_e64 v4, null, 0, v1, vcc_lo
	v_cmpx_ne_u32_e32 0, v4
	s_cbranch_execz .LBB27_11
; %bb.3:
	v_add_nc_u32_e32 v1, -1, v4
	s_mov_b32 s21, exec_lo
	s_delay_alu instid0(VALU_DEP_1) | instskip(NEXT) | instid1(VALU_DEP_1)
	v_dual_lshrrev_b32 v2, 1, v1 :: v_dual_add_nc_u32 v1, 49, v0
	v_add_nc_u32_e32 v5, 1, v2
	s_delay_alu instid0(VALU_DEP_2)
	v_mov_b64_e32 v[2:3], v[0:1]
	v_cmpx_lt_u32_e32 14, v4
	s_cbranch_execz .LBB27_7
; %bb.4:
	v_mov_b64_e32 v[2:3], v[0:1]
	v_and_b32_e32 v6, -8, v5
	s_mov_b32 s22, 0
.LBB27_5:                               ; =>This Inner Loop Header: Depth=1
	s_clause 0x1
	global_load_b32 v1, v2, s[14:15] scale_offset
	global_load_b32 v7, v3, s[14:15] scale_offset
	v_add_nc_u32_e32 v18, 0x188, v3
	v_add_nc_u32_e32 v16, 0x126, v3
	;; [unrolled: 1-line block ×14, first 2 shown]
	s_clause 0xd
	global_load_b32 v26, v18, s[14:15] scale_offset
	global_load_b32 v27, v16, s[14:15] scale_offset
	;; [unrolled: 1-line block ×14, first 2 shown]
	v_subrev_nc_u32_e32 v40, s27, v2
	v_subrev_nc_u32_e32 v41, s27, v3
	v_add_nc_u32_e32 v6, -8, v6
	s_wait_xcnt 0x9
	v_subrev_nc_u32_e32 v12, s27, v12
	v_subrev_nc_u32_e32 v11, s27, v11
	v_dual_lshlrev_b32 v40, 2, v40 :: v_dual_lshlrev_b32 v41, 2, v41
	s_wait_xcnt 0x8
	v_subrev_nc_u32_e32 v14, s27, v14
	v_subrev_nc_u32_e32 v13, s27, v13
	v_cmp_eq_u32_e32 vcc_lo, 0, v6
	s_wait_xcnt 0x7
	v_subrev_nc_u32_e32 v17, s27, v17
	v_add_nc_u32_e32 v3, 0x310, v3
	v_subrev_nc_u32_e32 v16, s27, v16
	v_subrev_nc_u32_e32 v18, s27, v18
	s_wait_xcnt 0x6
	v_subrev_nc_u32_e32 v19, s27, v19
	s_wait_xcnt 0x3
	;; [unrolled: 2-line block ×3, first 2 shown]
	v_subrev_nc_u32_e32 v21, s27, v21
	v_subrev_nc_u32_e32 v22, s27, v22
	s_wait_xcnt 0x1
	v_subrev_nc_u32_e32 v23, s27, v23
	v_subrev_nc_u32_e32 v24, s27, v24
	s_wait_xcnt 0x0
	v_subrev_nc_u32_e32 v25, s27, v25
	v_add_nc_u32_e32 v2, 0x310, v2
	v_dual_lshlrev_b32 v12, 2, v12 :: v_dual_lshlrev_b32 v11, 2, v11
	v_dual_lshlrev_b32 v14, 2, v14 :: v_dual_lshlrev_b32 v13, 2, v13
	v_lshlrev_b32_e32 v16, 2, v16
	s_or_b32 s22, vcc_lo, s22
	v_dual_lshlrev_b32 v17, 2, v17 :: v_dual_lshlrev_b32 v19, 2, v19
	v_dual_lshlrev_b32 v18, 2, v18 :: v_dual_lshlrev_b32 v21, 2, v21
	;; [unrolled: 1-line block ×4, first 2 shown]
	v_lshlrev_b32_e32 v24, 2, v24
	s_wait_loadcnt 0xf
	v_subrev_nc_u32_e32 v1, s9, v1
	s_wait_loadcnt 0xe
	v_subrev_nc_u32_e32 v7, s9, v7
	ds_store_b32 v40, v1 offset:2048
	ds_store_b32 v41, v7 offset:2048
	s_wait_loadcnt 0xa
	v_subrev_nc_u32_e32 v1, s9, v29
	s_wait_loadcnt 0x9
	v_subrev_nc_u32_e32 v7, s9, v30
	;; [unrolled: 2-line block ×3, first 2 shown]
	v_subrev_nc_u32_e32 v28, s9, v28
	s_wait_loadcnt 0x7
	v_subrev_nc_u32_e32 v30, s9, v32
	v_subrev_nc_u32_e32 v27, s9, v27
	;; [unrolled: 1-line block ×3, first 2 shown]
	s_wait_loadcnt 0x6
	v_subrev_nc_u32_e32 v31, s9, v33
	s_wait_loadcnt 0x3
	v_subrev_nc_u32_e32 v32, s9, v36
	;; [unrolled: 2-line block ×3, first 2 shown]
	v_subrev_nc_u32_e32 v35, s9, v35
	s_wait_loadcnt 0x1
	v_subrev_nc_u32_e32 v36, s9, v38
	v_subrev_nc_u32_e32 v34, s9, v34
	s_wait_loadcnt 0x0
	v_subrev_nc_u32_e32 v37, s9, v39
	ds_store_b32 v12, v7 offset:2048
	ds_store_b32 v11, v1 offset:2048
	;; [unrolled: 1-line block ×14, first 2 shown]
	s_and_not1_b32 exec_lo, exec_lo, s22
	s_cbranch_execnz .LBB27_5
; %bb.6:
	s_or_b32 exec_lo, exec_lo, s22
.LBB27_7:
	s_delay_alu instid0(SALU_CYCLE_1) | instskip(SKIP_3) | instid1(VALU_DEP_1)
	s_or_b32 exec_lo, exec_lo, s21
	v_and_b32_e32 v1, 7, v5
	s_mov_b32 s22, 0
	s_mov_b32 s21, exec_lo
	v_cmpx_ne_u32_e32 0, v1
	s_cbranch_execz .LBB27_10
; %bb.8:
	v_sub_nc_u32_e32 v1, 0, v1
.LBB27_9:                               ; =>This Inner Loop Header: Depth=1
	s_clause 0x1
	global_load_b32 v5, v3, s[14:15] scale_offset
	global_load_b32 v6, v2, s[14:15] scale_offset
	v_subrev_nc_u32_e32 v7, s27, v2
	v_subrev_nc_u32_e32 v11, s27, v3
	s_wait_xcnt 0x1
	v_add_nc_u32_e32 v3, 0x62, v3
	s_wait_xcnt 0x0
	v_add_nc_u32_e32 v2, 0x62, v2
	v_add_co_u32 v1, s23, v1, 1
	v_lshlrev_b32_e32 v7, 2, v7
	v_lshlrev_b32_e32 v11, 2, v11
	s_or_b32 s22, s23, s22
	s_wait_loadcnt 0x1
	v_subrev_nc_u32_e32 v5, s9, v5
	s_wait_loadcnt 0x0
	v_subrev_nc_u32_e32 v6, s9, v6
	ds_store_b32 v7, v6 offset:2048
	ds_store_b32 v11, v5 offset:2048
	s_and_not1_b32 exec_lo, exec_lo, s22
	s_cbranch_execnz .LBB27_9
.LBB27_10:
	s_or_b32 exec_lo, exec_lo, s21
	v_add_nc_u32_e32 v1, 1, v4
	s_delay_alu instid0(VALU_DEP_1) | instskip(NEXT) | instid1(VALU_DEP_1)
	v_and_b32_e32 v2, 0x1ffffffe, v1
	v_mad_u32 v0, v2, 49, v0
	v_cmp_ne_u32_e32 vcc_lo, v1, v2
	s_or_not1_b32 s21, vcc_lo, exec_lo
.LBB27_11:
	s_or_b32 exec_lo, exec_lo, s20
	s_delay_alu instid0(SALU_CYCLE_1)
	s_and_b32 exec_lo, exec_lo, s21
	s_cbranch_execz .LBB27_14
; %bb.12:
	s_delay_alu instid0(VALU_DEP_2) | instskip(NEXT) | instid1(VALU_DEP_1)
	v_add_nc_u32_e32 v1, s9, v0
	v_subrev_nc_u32_e32 v2, s19, v1
	v_ashrrev_i32_e32 v1, 31, v0
	s_mov_b32 s19, 0
	s_delay_alu instid0(VALU_DEP_2) | instskip(NEXT) | instid1(VALU_DEP_2)
	v_lshl_add_u32 v4, v2, 2, 0x800
	v_lshl_add_u64 v[2:3], v[0:1], 2, s[14:15]
.LBB27_13:                              ; =>This Inner Loop Header: Depth=1
	global_load_b32 v1, v[2:3], off
	v_add_nc_u32_e32 v0, 49, v0
	s_wait_xcnt 0x0
	v_add_nc_u64_e32 v[2:3], 0xc4, v[2:3]
	s_delay_alu instid0(VALU_DEP_2)
	v_cmp_lt_i32_e32 vcc_lo, s26, v0
	s_or_b32 s19, vcc_lo, s19
	s_wait_loadcnt 0x0
	v_subrev_nc_u32_e32 v1, s9, v1
	ds_store_b32 v4, v1
	v_add_nc_u32_e32 v4, 0xc4, v4
	s_and_not1_b32 exec_lo, exec_lo, s19
	s_cbranch_execnz .LBB27_13
.LBB27_14:
	s_or_b32 exec_lo, exec_lo, s18
	s_load_b32 s1, s[0:1], 0x0
	v_lshl_add_u32 v14, v9, 6, 0x540
	v_mov_b64_e32 v[0:1], 0
	v_mad_u32_u24 v11, v8, 7, v9
	v_lshl_add_u32 v13, v8, 6, 0x380
	s_cmp_ge_i32 s27, s26
	v_lshl_add_u32 v12, v8, 3, v14
	ds_store_b64 v12, v[0:1]
	s_wait_dscnt 0x0
	s_cbranch_scc1 .LBB27_69
; %bb.15:
	s_wait_kmcnt 0x0
	s_cmp_lg_u32 s1, 0
	v_dual_lshlrev_b32 v0, 6, v9 :: v_dual_lshlrev_b32 v2, 3, v8
	v_mad_u32_u24 v1, v8, 7, v9
	s_cselect_b32 s28, -1, 0
	s_cmp_eq_u32 s1, 0
	s_delay_alu instid0(VALU_DEP_2)
	v_dual_mov_b32 v23, 0 :: v_dual_add_nc_u32 v18, 0x1c0, v0
	s_cselect_b32 vcc_lo, -1, 0
	v_dual_cndmask_b32 v22, v1, v10 :: v_dual_add_nc_u32 v17, 0x380, v0
	v_or_b32_e32 v3, v8, v9
	v_mul_u32_u24_e32 v16, 7, v8
	v_dual_add_nc_u32 v20, v0, v2 :: v_dual_add_nc_u32 v21, v18, v2
	s_delay_alu instid0(VALU_DEP_4) | instskip(NEXT) | instid1(VALU_DEP_4)
	v_add_nc_u32_e32 v19, v17, v2
	v_cmp_ne_u32_e64 s0, 0, v3
	s_mov_b32 s18, s27
	s_branch .LBB27_19
.LBB27_16:                              ;   in Loop: Header=BB27_19 Depth=1
	s_wait_xcnt 0x0
	s_or_b32 exec_lo, exec_lo, s21
	v_mov_b64_e32 v[4:5], 1.0
.LBB27_17:                              ;   in Loop: Header=BB27_19 Depth=1
	s_or_b32 exec_lo, exec_lo, s20
	ds_load_b128 v[24:27], v17
	ds_load_b64 v[6:7], v18 offset:48
	ds_load_b128 v[28:31], v23 offset:384
	ds_load_b128 v[32:35], v23 offset:400
	;; [unrolled: 1-line block ×3, first 2 shown]
	s_add_co_i32 s18, s18, 1
	s_delay_alu instid0(SALU_CYCLE_1) | instskip(SKIP_3) | instid1(VALU_DEP_1)
	s_cmp_ge_i32 s18, s26
	s_cselect_b32 s24, -1, 0
	s_wait_dscnt 0x2
	v_fmac_f64_e32 v[6:7], v[28:29], v[24:25]
	v_fmac_f64_e32 v[6:7], v[30:31], v[26:27]
	ds_load_b128 v[24:27], v17 offset:32
	ds_load_b128 v[28:31], v23 offset:416
	s_wait_dscnt 0x2
	v_fmac_f64_e32 v[6:7], v[32:33], v[36:37]
	s_delay_alu instid0(VALU_DEP_1) | instskip(SKIP_1) | instid1(VALU_DEP_1)
	v_fmac_f64_e32 v[6:7], v[34:35], v[38:39]
	s_wait_dscnt 0x0
	v_fmac_f64_e32 v[6:7], v[28:29], v[24:25]
	s_delay_alu instid0(VALU_DEP_1) | instskip(NEXT) | instid1(VALU_DEP_1)
	v_fmac_f64_e32 v[6:7], v[30:31], v[26:27]
	v_add_f64_e64 v[2:3], v[2:3], -v[6:7]
	s_delay_alu instid0(VALU_DEP_1) | instskip(SKIP_1) | instid1(VALU_DEP_2)
	v_div_scale_f64 v[6:7], null, v[4:5], v[4:5], v[2:3]
	v_div_scale_f64 v[28:29], vcc_lo, v[2:3], v[4:5], v[2:3]
	v_rcp_f64_e32 v[24:25], v[6:7]
	v_nop
	s_delay_alu instid0(TRANS32_DEP_1) | instskip(NEXT) | instid1(VALU_DEP_1)
	v_fma_f64 v[26:27], -v[6:7], v[24:25], 1.0
	v_fmac_f64_e32 v[24:25], v[24:25], v[26:27]
	s_delay_alu instid0(VALU_DEP_1) | instskip(NEXT) | instid1(VALU_DEP_1)
	v_fma_f64 v[26:27], -v[6:7], v[24:25], 1.0
	v_fmac_f64_e32 v[24:25], v[24:25], v[26:27]
	s_delay_alu instid0(VALU_DEP_1) | instskip(NEXT) | instid1(VALU_DEP_1)
	v_mul_f64_e32 v[26:27], v[28:29], v[24:25]
	v_fma_f64 v[6:7], -v[6:7], v[26:27], v[28:29]
	s_delay_alu instid0(VALU_DEP_1) | instskip(NEXT) | instid1(VALU_DEP_1)
	v_div_fmas_f64 v[6:7], v[6:7], v[24:25], v[26:27]
	v_div_fixup_f64 v[2:3], v[6:7], v[4:5], v[2:3]
	ds_store_b64 v17, v[2:3] offset:48
	s_wait_storecnt_dscnt 0x0
	ds_load_b64 v[4:5], v13 offset:48
	ds_load_b64 v[6:7], v12
	s_wait_dscnt 0x0
	v_fmac_f64_e32 v[6:7], v[2:3], v[4:5]
	ds_store_b64 v12, v[6:7]
	s_wait_dscnt 0x0
	ds_load_b64 v[2:3], v19
	s_wait_dscnt 0x0
	global_store_b64 v[0:1], v[2:3], off
	global_wb scope:SCOPE_DEV
	s_wait_storecnt 0x0
	global_inv scope:SCOPE_DEV
.LBB27_18:                              ;   in Loop: Header=BB27_19 Depth=1
	s_and_b32 vcc_lo, exec_lo, s24
	s_cbranch_vccnz .LBB27_69
.LBB27_19:                              ; =>This Loop Header: Depth=1
                                        ;     Child Loop BB27_22 Depth 2
                                        ;     Child Loop BB27_33 Depth 2
	;; [unrolled: 1-line block ×3, first 2 shown]
	s_ashr_i32 s19, s18, 31
	s_delay_alu instid0(SALU_CYCLE_1) | instskip(NEXT) | instid1(SALU_CYCLE_1)
	s_lshl_b64 s[20:21], s[18:19], 2
	s_add_nc_u64 s[20:21], s[14:15], s[20:21]
	s_load_b32 s19, s[20:21], 0x0
	s_wait_kmcnt 0x0
	s_sub_co_i32 s22, s19, s9
	s_delay_alu instid0(SALU_CYCLE_1) | instskip(SKIP_2) | instid1(SALU_CYCLE_1)
	s_ashr_i32 s23, s22, 31
	s_wait_xcnt 0x0
	s_lshl_b64 s[20:21], s[22:23], 2
	s_add_nc_u64 s[24:25], s[4:5], s[20:21]
	s_load_b32 s23, s[24:25], 0x0
	s_wait_xcnt 0x0
	s_mov_b32 s24, -1
	s_wait_kmcnt 0x0
	s_cmp_eq_u32 s23, -1
	s_cbranch_scc1 .LBB27_18
; %bb.20:                               ;   in Loop: Header=BB27_19 Depth=1
	v_mad_u32 v0, s18, 49, v22
	s_add_nc_u64 s[24:25], s[12:13], s[20:21]
	ds_load_b32 v1, v23 offset:2048
	s_load_b32 s24, s[24:25], 0x0
	global_load_b64 v[2:3], v0, s[16:17] scale_offset
	s_wait_dscnt 0x0
	v_cmp_ge_i32_e32 vcc_lo, s22, v1
	s_wait_kmcnt 0x0
	s_sub_co_i32 s24, s24, s9
	s_delay_alu instid0(SALU_CYCLE_1) | instskip(SKIP_1) | instid1(SALU_CYCLE_1)
	s_cmp_le_i32 s24, s23
	s_cselect_b32 s25, -1, 0
	s_and_b32 s25, s25, vcc_lo
	s_delay_alu instid0(SALU_CYCLE_1)
	s_and_not1_b32 vcc_lo, exec_lo, s25
	s_mov_b32 s25, 0
	s_wait_loadcnt 0x0
	ds_store_b64 v19, v[2:3]
	s_cbranch_vccnz .LBB27_32
; %bb.21:                               ;   in Loop: Header=BB27_19 Depth=1
	s_mov_b32 s29, 0
	s_mov_b32 s30, 0
.LBB27_22:                              ;   Parent Loop BB27_19 Depth=1
                                        ; =>  This Inner Loop Header: Depth=2
	s_ashr_i32 s25, s24, 31
	s_lshl_b32 s31, s30, 2
	s_lshl_b64 s[34:35], s[24:25], 2
	v_mov_b32_e32 v1, s31
	s_add_nc_u64 s[34:35], s[14:15], s[34:35]
                                        ; implicit-def: $sgpr33
	s_load_b32 s25, s[34:35], 0x0
	s_wait_xcnt 0x0
	s_mov_b32 s35, -1
	ds_load_b32 v1, v1 offset:2048
                                        ; implicit-def: $sgpr34
	s_wait_kmcnt 0x0
	s_sub_co_i32 s36, s25, s9
                                        ; implicit-def: $sgpr25
	s_wait_dscnt 0x0
	v_readfirstlane_b32 s31, v1
	v_cmp_ge_i32_e32 vcc_lo, s36, v1
	s_cbranch_vccz .LBB27_28
; %bb.23:                               ;   in Loop: Header=BB27_22 Depth=2
	s_cmp_le_i32 s36, s31
                                        ; implicit-def: $sgpr25
                                        ; implicit-def: $sgpr34
                                        ; implicit-def: $sgpr33
	s_cbranch_scc0 .LBB27_25
; %bb.24:                               ;   in Loop: Header=BB27_22 Depth=2
	s_add_co_i32 s25, s30, s27
	s_lshl_b32 s33, s29, 2
	s_mul_i32 s25, s25, 49
	s_mul_i32 s34, s24, 49
	s_delay_alu instid0(SALU_CYCLE_1)
	v_dual_mov_b32 v1, s25 :: v_dual_mov_b32 v2, s34
	v_add_nc_u32_e64 v3, 0x400, s33
	s_add_co_i32 s33, s30, 1
	s_add_co_i32 s34, s24, 1
	;; [unrolled: 1-line block ×3, first 2 shown]
	s_mov_b32 s35, 0
	ds_store_2addr_b32 v3, v2, v1 offset0:192 offset1:224
.LBB27_25:                              ;   in Loop: Header=BB27_22 Depth=2
	s_and_not1_b32 vcc_lo, exec_lo, s35
	s_cbranch_vccnz .LBB27_27
; %bb.26:                               ;   in Loop: Header=BB27_22 Depth=2
	s_add_co_i32 s33, s30, 1
	s_mov_b32 s25, s29
	s_mov_b32 s34, s24
.LBB27_27:                              ;   in Loop: Header=BB27_22 Depth=2
	s_mov_b32 s35, 0
.LBB27_28:                              ;   in Loop: Header=BB27_22 Depth=2
	s_delay_alu instid0(SALU_CYCLE_1)
	s_and_not1_b32 vcc_lo, exec_lo, s35
	s_cbranch_vccnz .LBB27_30
; %bb.29:                               ;   in Loop: Header=BB27_22 Depth=2
	s_add_co_i32 s34, s24, 1
	s_mov_b32 s33, s30
	s_mov_b32 s25, s29
.LBB27_30:                              ;   in Loop: Header=BB27_22 Depth=2
	s_cmp_le_i32 s34, s23
	s_cselect_b32 s24, -1, 0
	s_cmp_le_i32 s31, s22
	s_cselect_b32 s29, -1, 0
	s_delay_alu instid0(SALU_CYCLE_1) | instskip(NEXT) | instid1(SALU_CYCLE_1)
	s_and_b32 s24, s24, s29
	s_and_b32 vcc_lo, exec_lo, s24
	s_cbranch_vccz .LBB27_32
; %bb.31:                               ;   in Loop: Header=BB27_22 Depth=2
	s_mov_b32 s29, s25
	s_mov_b32 s24, s34
	;; [unrolled: 1-line block ×3, first 2 shown]
	s_branch .LBB27_22
.LBB27_32:                              ;   in Loop: Header=BB27_19 Depth=1
	v_ashrrev_i32_e32 v1, 31, v0
	s_add_nc_u64 s[20:21], s[6:7], s[20:21]
	s_wait_dscnt 0x0
	s_wait_xcnt 0x0
	s_delay_alu instid0(VALU_DEP_1)
	v_lshl_add_u64 v[0:1], v[0:1], 3, s[16:17]
.LBB27_33:                              ;   Parent Loop BB27_19 Depth=1
                                        ; =>  This Inner Loop Header: Depth=2
	global_load_b32 v2, v23, s[20:21] scope:SCOPE_DEV
	s_wait_loadcnt 0x0
	v_cmp_eq_u32_e32 vcc_lo, 0, v2
	s_cbranch_vccnz .LBB27_33
; %bb.34:                               ;   in Loop: Header=BB27_19 Depth=1
	v_mad_u32 v2, s23, 49, v22
	global_inv scope:SCOPE_DEV
	v_mov_b64_e32 v[6:7], 0
	s_cmp_lt_i32 s25, 2
	global_load_b64 v[2:3], v2, s[16:17] scale_offset
	s_wait_loadcnt 0x0
	ds_store_b64 v20, v[2:3]
	s_wait_dscnt 0x0
	s_cbranch_scc1 .LBB27_42
; %bb.35:                               ;   in Loop: Header=BB27_19 Depth=1
	v_mov_b64_e32 v[2:3], 0
	s_add_co_i32 s20, s25, -1
	s_movk_i32 s21, 0x700
.LBB27_36:                              ;   Parent Loop BB27_19 Depth=1
                                        ; =>  This Inner Loop Header: Depth=2
	s_wait_dscnt 0x0
	v_mov_b32_e32 v4, s21
	s_and_b32 vcc_lo, exec_lo, s28
	s_mov_b32 s22, -1
                                        ; implicit-def: $vgpr6_vgpr7
	ds_load_2addr_b32 v[4:5], v4 offset1:32
	s_cbranch_vccz .LBB27_39
; %bb.37:                               ;   in Loop: Header=BB27_36 Depth=2
	s_wait_dscnt 0x0
	v_dual_add_nc_u32 v46, v4, v8 :: v_dual_add_nc_u32 v47, v5, v9
	s_clause 0x1
	global_load_b64 v[6:7], v46, s[16:17] scale_offset
	global_load_b64 v[24:25], v47, s[16:17] scale_offset
	v_dual_add_nc_u32 v30, 7, v46 :: v_dual_add_nc_u32 v31, 7, v47
	v_dual_add_nc_u32 v34, 14, v46 :: v_dual_add_nc_u32 v35, 14, v47
	s_clause 0x3
	global_load_b64 v[26:27], v30, s[16:17] scale_offset
	global_load_b64 v[28:29], v31, s[16:17] scale_offset
	;; [unrolled: 1-line block ×4, first 2 shown]
	v_dual_add_nc_u32 v38, 21, v46 :: v_dual_add_nc_u32 v39, 21, v47
	s_clause 0x1
	global_load_b64 v[34:35], v38, s[16:17] scale_offset
	global_load_b64 v[36:37], v39, s[16:17] scale_offset
	v_dual_add_nc_u32 v42, 28, v46 :: v_dual_add_nc_u32 v43, 28, v47
	s_clause 0x1
	global_load_b64 v[38:39], v42, s[16:17] scale_offset
	global_load_b64 v[40:41], v43, s[16:17] scale_offset
	;; [unrolled: 4-line block ×4, first 2 shown]
	s_wait_loadcnt 0xc
	v_fma_f64 v[6:7], v[6:7], v[24:25], v[2:3]
	s_wait_loadcnt 0xa
	s_delay_alu instid0(VALU_DEP_1) | instskip(SKIP_1) | instid1(VALU_DEP_1)
	v_fmac_f64_e32 v[6:7], v[26:27], v[28:29]
	s_wait_loadcnt 0x8
	v_fmac_f64_e32 v[6:7], v[30:31], v[32:33]
	s_wait_loadcnt 0x6
	s_delay_alu instid0(VALU_DEP_1) | instskip(SKIP_1) | instid1(VALU_DEP_1)
	v_fmac_f64_e32 v[6:7], v[34:35], v[36:37]
	s_wait_loadcnt 0x4
	v_fmac_f64_e32 v[6:7], v[38:39], v[40:41]
	;; [unrolled: 5-line block ×3, first 2 shown]
	s_cbranch_execz .LBB27_40
.LBB27_38:                              ;   in Loop: Header=BB27_36 Depth=2
	s_add_co_i32 s20, s20, -1
	s_add_co_i32 s21, s21, 4
	s_cmp_eq_u32 s20, 0
	s_cbranch_scc0 .LBB27_41
	s_branch .LBB27_42
.LBB27_39:                              ;   in Loop: Header=BB27_36 Depth=2
	s_and_not1_b32 vcc_lo, exec_lo, s22
	s_cbranch_vccnz .LBB27_38
.LBB27_40:                              ;   in Loop: Header=BB27_36 Depth=2
	s_wait_dscnt 0x0
	v_dual_add_nc_u32 v44, v4, v16 :: v_dual_add_nc_u32 v46, v5, v15
	s_delay_alu instid0(VALU_DEP_1) | instskip(NEXT) | instid1(VALU_DEP_1)
	v_dual_ashrrev_i32 v45, 31, v44 :: v_dual_ashrrev_i32 v47, 31, v46
	v_lshl_add_u64 v[48:49], v[44:45], 3, s[16:17]
	s_delay_alu instid0(VALU_DEP_2)
	v_lshl_add_u64 v[50:51], v[46:47], 3, s[16:17]
	s_clause 0x7
	global_load_b128 v[4:7], v[48:49], off
	global_load_b128 v[24:27], v[50:51], off
	global_load_b128 v[28:31], v[50:51], off offset:16
	global_load_b128 v[32:35], v[48:49], off offset:16
	;; [unrolled: 1-line block ×4, first 2 shown]
	global_load_b64 v[52:53], v44, s[16:17] offset:48 scale_offset
	global_load_b64 v[54:55], v46, s[16:17] offset:48 scale_offset
	s_wait_loadcnt 0x6
	v_fmac_f64_e32 v[2:3], v[4:5], v[24:25]
	s_delay_alu instid0(VALU_DEP_1) | instskip(SKIP_1) | instid1(VALU_DEP_1)
	v_fmac_f64_e32 v[2:3], v[6:7], v[26:27]
	s_wait_loadcnt 0x4
	v_fmac_f64_e32 v[2:3], v[32:33], v[28:29]
	s_delay_alu instid0(VALU_DEP_1) | instskip(SKIP_1) | instid1(VALU_DEP_1)
	v_fmac_f64_e32 v[2:3], v[34:35], v[30:31]
	;; [unrolled: 4-line block ×3, first 2 shown]
	s_wait_loadcnt 0x0
	v_fmac_f64_e32 v[2:3], v[52:53], v[54:55]
	s_delay_alu instid0(VALU_DEP_1)
	v_mov_b64_e32 v[6:7], v[2:3]
	s_add_co_i32 s20, s20, -1
	s_add_co_i32 s21, s21, 4
	s_cmp_eq_u32 s20, 0
	s_cbranch_scc1 .LBB27_42
.LBB27_41:                              ;   in Loop: Header=BB27_36 Depth=2
	s_delay_alu instid0(VALU_DEP_1)
	v_mov_b64_e32 v[2:3], v[6:7]
	s_branch .LBB27_36
.LBB27_42:                              ;   in Loop: Header=BB27_19 Depth=1
	ds_store_b64 v21, v[6:7]
	s_wait_dscnt 0x0
	ds_load_b64 v[4:5], v23
	ds_load_b64 v[2:3], v17
	s_wait_dscnt 0x1
	v_cmp_neq_f64_e32 vcc_lo, 0, v[4:5]
	v_cndmask_b32_e32 v5, 0x3ff00000, v5, vcc_lo
	v_cndmask_b32_e32 v4, 0, v4, vcc_lo
	s_nor_b32 s21, vcc_lo, s0
	s_delay_alu instid0(SALU_CYCLE_1)
	s_and_saveexec_b32 s20, s21
	s_cbranch_execz .LBB27_46
; %bb.43:                               ;   in Loop: Header=BB27_19 Depth=1
	v_mbcnt_lo_u32_b32 v4, exec_lo, 0
	s_mov_b32 s21, exec_lo
	s_delay_alu instid0(VALU_DEP_1)
	v_cmpx_eq_u32_e32 0, v4
	s_cbranch_execz .LBB27_45
; %bb.44:                               ;   in Loop: Header=BB27_19 Depth=1
	v_mov_b32_e32 v4, s19
	global_atomic_min_i32 v23, v4, s[10:11] scope:SCOPE_DEV
.LBB27_45:                              ;   in Loop: Header=BB27_19 Depth=1
	s_wait_xcnt 0x0
	s_or_b32 exec_lo, exec_lo, s21
	v_mov_b64_e32 v[4:5], 1.0
.LBB27_46:                              ;   in Loop: Header=BB27_19 Depth=1
	s_or_b32 exec_lo, exec_lo, s20
	ds_load_b64 v[6:7], v18
	s_wait_dscnt 0x0
	v_add_f64_e64 v[2:3], v[2:3], -v[6:7]
	s_delay_alu instid0(VALU_DEP_1) | instskip(SKIP_1) | instid1(VALU_DEP_2)
	v_div_scale_f64 v[6:7], null, v[4:5], v[4:5], v[2:3]
	v_div_scale_f64 v[28:29], vcc_lo, v[2:3], v[4:5], v[2:3]
	v_rcp_f64_e32 v[24:25], v[6:7]
	v_nop
	s_delay_alu instid0(TRANS32_DEP_1) | instskip(NEXT) | instid1(VALU_DEP_1)
	v_fma_f64 v[26:27], -v[6:7], v[24:25], 1.0
	v_fmac_f64_e32 v[24:25], v[24:25], v[26:27]
	s_delay_alu instid0(VALU_DEP_1) | instskip(NEXT) | instid1(VALU_DEP_1)
	v_fma_f64 v[26:27], -v[6:7], v[24:25], 1.0
	v_fmac_f64_e32 v[24:25], v[24:25], v[26:27]
	s_delay_alu instid0(VALU_DEP_1) | instskip(NEXT) | instid1(VALU_DEP_1)
	v_mul_f64_e32 v[26:27], v[28:29], v[24:25]
	v_fma_f64 v[6:7], -v[6:7], v[26:27], v[28:29]
	s_delay_alu instid0(VALU_DEP_1) | instskip(NEXT) | instid1(VALU_DEP_1)
	v_div_fmas_f64 v[6:7], v[6:7], v[24:25], v[26:27]
	v_div_fixup_f64 v[2:3], v[6:7], v[4:5], v[2:3]
	ds_store_b64 v17, v[2:3]
	s_wait_storecnt_dscnt 0x0
	ds_load_b64 v[4:5], v13
	ds_load_b64 v[6:7], v12
	s_wait_dscnt 0x0
	v_fmac_f64_e32 v[6:7], v[2:3], v[4:5]
	ds_store_b64 v12, v[6:7]
	s_wait_dscnt 0x0
	ds_load_b64 v[4:5], v23 offset:72
	ds_load_b64 v[2:3], v17 offset:8
	s_wait_dscnt 0x1
	v_cmp_neq_f64_e32 vcc_lo, 0, v[4:5]
	v_cndmask_b32_e32 v5, 0x3ff00000, v5, vcc_lo
	v_cndmask_b32_e32 v4, 0, v4, vcc_lo
	s_nor_b32 s21, vcc_lo, s0
	s_delay_alu instid0(SALU_CYCLE_1)
	s_and_saveexec_b32 s20, s21
	s_cbranch_execz .LBB27_50
; %bb.47:                               ;   in Loop: Header=BB27_19 Depth=1
	v_mbcnt_lo_u32_b32 v4, exec_lo, 0
	s_mov_b32 s21, exec_lo
	s_delay_alu instid0(VALU_DEP_1)
	v_cmpx_eq_u32_e32 0, v4
	s_cbranch_execz .LBB27_49
; %bb.48:                               ;   in Loop: Header=BB27_19 Depth=1
	v_mov_b32_e32 v4, s19
	global_atomic_min_i32 v23, v4, s[10:11] scope:SCOPE_DEV
.LBB27_49:                              ;   in Loop: Header=BB27_19 Depth=1
	s_wait_xcnt 0x0
	s_or_b32 exec_lo, exec_lo, s21
	v_mov_b64_e32 v[4:5], 1.0
.LBB27_50:                              ;   in Loop: Header=BB27_19 Depth=1
	s_or_b32 exec_lo, exec_lo, s20
	ds_load_b64 v[6:7], v23 offset:64
	ds_load_b64 v[24:25], v17
	ds_load_b64 v[26:27], v18 offset:8
	s_wait_dscnt 0x0
	v_fmac_f64_e32 v[26:27], v[6:7], v[24:25]
	s_delay_alu instid0(VALU_DEP_1) | instskip(NEXT) | instid1(VALU_DEP_1)
	v_add_f64_e64 v[2:3], v[2:3], -v[26:27]
	v_div_scale_f64 v[6:7], null, v[4:5], v[4:5], v[2:3]
	v_div_scale_f64 v[28:29], vcc_lo, v[2:3], v[4:5], v[2:3]
	s_delay_alu instid0(VALU_DEP_2) | instskip(SKIP_1) | instid1(TRANS32_DEP_1)
	v_rcp_f64_e32 v[24:25], v[6:7]
	v_nop
	v_fma_f64 v[26:27], -v[6:7], v[24:25], 1.0
	s_delay_alu instid0(VALU_DEP_1) | instskip(NEXT) | instid1(VALU_DEP_1)
	v_fmac_f64_e32 v[24:25], v[24:25], v[26:27]
	v_fma_f64 v[26:27], -v[6:7], v[24:25], 1.0
	s_delay_alu instid0(VALU_DEP_1) | instskip(NEXT) | instid1(VALU_DEP_1)
	v_fmac_f64_e32 v[24:25], v[24:25], v[26:27]
	v_mul_f64_e32 v[26:27], v[28:29], v[24:25]
	s_delay_alu instid0(VALU_DEP_1) | instskip(NEXT) | instid1(VALU_DEP_1)
	v_fma_f64 v[6:7], -v[6:7], v[26:27], v[28:29]
	v_div_fmas_f64 v[6:7], v[6:7], v[24:25], v[26:27]
	s_delay_alu instid0(VALU_DEP_1)
	v_div_fixup_f64 v[2:3], v[6:7], v[4:5], v[2:3]
	ds_store_b64 v17, v[2:3] offset:8
	s_wait_storecnt_dscnt 0x0
	ds_load_b64 v[4:5], v13 offset:8
	ds_load_b64 v[6:7], v12
	s_wait_dscnt 0x0
	v_fmac_f64_e32 v[6:7], v[2:3], v[4:5]
	ds_store_b64 v12, v[6:7]
	s_wait_dscnt 0x0
	ds_load_b64 v[4:5], v23 offset:144
	ds_load_b64 v[2:3], v17 offset:16
	s_wait_dscnt 0x1
	v_cmp_neq_f64_e32 vcc_lo, 0, v[4:5]
	v_cndmask_b32_e32 v5, 0x3ff00000, v5, vcc_lo
	v_cndmask_b32_e32 v4, 0, v4, vcc_lo
	s_nor_b32 s21, vcc_lo, s0
	s_delay_alu instid0(SALU_CYCLE_1)
	s_and_saveexec_b32 s20, s21
	s_cbranch_execz .LBB27_54
; %bb.51:                               ;   in Loop: Header=BB27_19 Depth=1
	v_mbcnt_lo_u32_b32 v4, exec_lo, 0
	s_mov_b32 s21, exec_lo
	s_delay_alu instid0(VALU_DEP_1)
	v_cmpx_eq_u32_e32 0, v4
	s_cbranch_execz .LBB27_53
; %bb.52:                               ;   in Loop: Header=BB27_19 Depth=1
	v_mov_b32_e32 v4, s19
	global_atomic_min_i32 v23, v4, s[10:11] scope:SCOPE_DEV
.LBB27_53:                              ;   in Loop: Header=BB27_19 Depth=1
	s_wait_xcnt 0x0
	s_or_b32 exec_lo, exec_lo, s21
	v_mov_b64_e32 v[4:5], 1.0
.LBB27_54:                              ;   in Loop: Header=BB27_19 Depth=1
	s_or_b32 exec_lo, exec_lo, s20
	ds_load_b128 v[24:27], v23 offset:128
	ds_load_b128 v[28:31], v17
	ds_load_b64 v[6:7], v18 offset:16
	s_wait_dscnt 0x0
	v_fmac_f64_e32 v[6:7], v[24:25], v[28:29]
	s_delay_alu instid0(VALU_DEP_1) | instskip(NEXT) | instid1(VALU_DEP_1)
	v_fmac_f64_e32 v[6:7], v[26:27], v[30:31]
	v_add_f64_e64 v[2:3], v[2:3], -v[6:7]
	s_delay_alu instid0(VALU_DEP_1) | instskip(SKIP_1) | instid1(VALU_DEP_2)
	v_div_scale_f64 v[6:7], null, v[4:5], v[4:5], v[2:3]
	v_div_scale_f64 v[28:29], vcc_lo, v[2:3], v[4:5], v[2:3]
	v_rcp_f64_e32 v[24:25], v[6:7]
	v_nop
	s_delay_alu instid0(TRANS32_DEP_1) | instskip(NEXT) | instid1(VALU_DEP_1)
	v_fma_f64 v[26:27], -v[6:7], v[24:25], 1.0
	v_fmac_f64_e32 v[24:25], v[24:25], v[26:27]
	s_delay_alu instid0(VALU_DEP_1) | instskip(NEXT) | instid1(VALU_DEP_1)
	v_fma_f64 v[26:27], -v[6:7], v[24:25], 1.0
	v_fmac_f64_e32 v[24:25], v[24:25], v[26:27]
	s_delay_alu instid0(VALU_DEP_1) | instskip(NEXT) | instid1(VALU_DEP_1)
	v_mul_f64_e32 v[26:27], v[28:29], v[24:25]
	v_fma_f64 v[6:7], -v[6:7], v[26:27], v[28:29]
	s_delay_alu instid0(VALU_DEP_1) | instskip(NEXT) | instid1(VALU_DEP_1)
	v_div_fmas_f64 v[6:7], v[6:7], v[24:25], v[26:27]
	v_div_fixup_f64 v[2:3], v[6:7], v[4:5], v[2:3]
	ds_store_b64 v17, v[2:3] offset:16
	s_wait_storecnt_dscnt 0x0
	ds_load_b64 v[4:5], v13 offset:16
	ds_load_b64 v[6:7], v12
	s_wait_dscnt 0x0
	v_fmac_f64_e32 v[6:7], v[2:3], v[4:5]
	ds_store_b64 v12, v[6:7]
	s_wait_dscnt 0x0
	ds_load_b64 v[4:5], v23 offset:216
	ds_load_b64 v[2:3], v17 offset:24
	s_wait_dscnt 0x1
	v_cmp_neq_f64_e32 vcc_lo, 0, v[4:5]
	v_cndmask_b32_e32 v5, 0x3ff00000, v5, vcc_lo
	v_cndmask_b32_e32 v4, 0, v4, vcc_lo
	s_nor_b32 s21, vcc_lo, s0
	s_delay_alu instid0(SALU_CYCLE_1)
	s_and_saveexec_b32 s20, s21
	s_cbranch_execz .LBB27_58
; %bb.55:                               ;   in Loop: Header=BB27_19 Depth=1
	v_mbcnt_lo_u32_b32 v4, exec_lo, 0
	s_mov_b32 s21, exec_lo
	s_delay_alu instid0(VALU_DEP_1)
	v_cmpx_eq_u32_e32 0, v4
	s_cbranch_execz .LBB27_57
; %bb.56:                               ;   in Loop: Header=BB27_19 Depth=1
	v_mov_b32_e32 v4, s19
	global_atomic_min_i32 v23, v4, s[10:11] scope:SCOPE_DEV
.LBB27_57:                              ;   in Loop: Header=BB27_19 Depth=1
	s_wait_xcnt 0x0
	s_or_b32 exec_lo, exec_lo, s21
	v_mov_b64_e32 v[4:5], 1.0
.LBB27_58:                              ;   in Loop: Header=BB27_19 Depth=1
	s_or_b32 exec_lo, exec_lo, s20
	ds_load_b128 v[24:27], v23 offset:192
	ds_load_b64 v[6:7], v18 offset:24
	ds_load_b128 v[28:31], v17
	ds_load_b64 v[32:33], v17 offset:16
	s_wait_dscnt 0x1
	v_fmac_f64_e32 v[6:7], v[24:25], v[28:29]
	ds_load_b64 v[24:25], v23 offset:208
	v_fmac_f64_e32 v[6:7], v[26:27], v[30:31]
	s_wait_dscnt 0x0
	s_delay_alu instid0(VALU_DEP_1) | instskip(NEXT) | instid1(VALU_DEP_1)
	v_fmac_f64_e32 v[6:7], v[24:25], v[32:33]
	v_add_f64_e64 v[2:3], v[2:3], -v[6:7]
	s_delay_alu instid0(VALU_DEP_1) | instskip(SKIP_1) | instid1(VALU_DEP_2)
	v_div_scale_f64 v[6:7], null, v[4:5], v[4:5], v[2:3]
	v_div_scale_f64 v[28:29], vcc_lo, v[2:3], v[4:5], v[2:3]
	v_rcp_f64_e32 v[24:25], v[6:7]
	v_nop
	s_delay_alu instid0(TRANS32_DEP_1) | instskip(NEXT) | instid1(VALU_DEP_1)
	v_fma_f64 v[26:27], -v[6:7], v[24:25], 1.0
	v_fmac_f64_e32 v[24:25], v[24:25], v[26:27]
	s_delay_alu instid0(VALU_DEP_1) | instskip(NEXT) | instid1(VALU_DEP_1)
	v_fma_f64 v[26:27], -v[6:7], v[24:25], 1.0
	v_fmac_f64_e32 v[24:25], v[24:25], v[26:27]
	s_delay_alu instid0(VALU_DEP_1) | instskip(NEXT) | instid1(VALU_DEP_1)
	v_mul_f64_e32 v[26:27], v[28:29], v[24:25]
	v_fma_f64 v[6:7], -v[6:7], v[26:27], v[28:29]
	s_delay_alu instid0(VALU_DEP_1) | instskip(NEXT) | instid1(VALU_DEP_1)
	v_div_fmas_f64 v[6:7], v[6:7], v[24:25], v[26:27]
	v_div_fixup_f64 v[2:3], v[6:7], v[4:5], v[2:3]
	ds_store_b64 v17, v[2:3] offset:24
	s_wait_storecnt_dscnt 0x0
	ds_load_b64 v[4:5], v13 offset:24
	ds_load_b64 v[6:7], v12
	s_wait_dscnt 0x0
	v_fmac_f64_e32 v[6:7], v[2:3], v[4:5]
	ds_store_b64 v12, v[6:7]
	s_wait_dscnt 0x0
	ds_load_b64 v[4:5], v23 offset:288
	ds_load_b64 v[2:3], v17 offset:32
	s_wait_dscnt 0x1
	v_cmp_neq_f64_e32 vcc_lo, 0, v[4:5]
	v_cndmask_b32_e32 v5, 0x3ff00000, v5, vcc_lo
	v_cndmask_b32_e32 v4, 0, v4, vcc_lo
	s_nor_b32 s21, vcc_lo, s0
	s_delay_alu instid0(SALU_CYCLE_1)
	s_and_saveexec_b32 s20, s21
	s_cbranch_execz .LBB27_62
; %bb.59:                               ;   in Loop: Header=BB27_19 Depth=1
	v_mbcnt_lo_u32_b32 v4, exec_lo, 0
	s_mov_b32 s21, exec_lo
	s_delay_alu instid0(VALU_DEP_1)
	v_cmpx_eq_u32_e32 0, v4
	s_cbranch_execz .LBB27_61
; %bb.60:                               ;   in Loop: Header=BB27_19 Depth=1
	v_mov_b32_e32 v4, s19
	global_atomic_min_i32 v23, v4, s[10:11] scope:SCOPE_DEV
.LBB27_61:                              ;   in Loop: Header=BB27_19 Depth=1
	s_wait_xcnt 0x0
	s_or_b32 exec_lo, exec_lo, s21
	v_mov_b64_e32 v[4:5], 1.0
.LBB27_62:                              ;   in Loop: Header=BB27_19 Depth=1
	s_or_b32 exec_lo, exec_lo, s20
	ds_load_b128 v[24:27], v23 offset:256
	ds_load_b64 v[6:7], v18 offset:32
	ds_load_b128 v[28:31], v17
	ds_load_b128 v[32:35], v17 offset:16
	s_wait_dscnt 0x1
	v_fmac_f64_e32 v[6:7], v[24:25], v[28:29]
	s_delay_alu instid0(VALU_DEP_1) | instskip(SKIP_3) | instid1(VALU_DEP_1)
	v_fmac_f64_e32 v[6:7], v[26:27], v[30:31]
	ds_load_b128 v[24:27], v23 offset:272
	s_wait_dscnt 0x0
	v_fmac_f64_e32 v[6:7], v[24:25], v[32:33]
	v_fmac_f64_e32 v[6:7], v[26:27], v[34:35]
	s_delay_alu instid0(VALU_DEP_1) | instskip(NEXT) | instid1(VALU_DEP_1)
	v_add_f64_e64 v[2:3], v[2:3], -v[6:7]
	v_div_scale_f64 v[6:7], null, v[4:5], v[4:5], v[2:3]
	v_div_scale_f64 v[28:29], vcc_lo, v[2:3], v[4:5], v[2:3]
	s_delay_alu instid0(VALU_DEP_2) | instskip(SKIP_1) | instid1(TRANS32_DEP_1)
	v_rcp_f64_e32 v[24:25], v[6:7]
	v_nop
	v_fma_f64 v[26:27], -v[6:7], v[24:25], 1.0
	s_delay_alu instid0(VALU_DEP_1) | instskip(NEXT) | instid1(VALU_DEP_1)
	v_fmac_f64_e32 v[24:25], v[24:25], v[26:27]
	v_fma_f64 v[26:27], -v[6:7], v[24:25], 1.0
	s_delay_alu instid0(VALU_DEP_1) | instskip(NEXT) | instid1(VALU_DEP_1)
	v_fmac_f64_e32 v[24:25], v[24:25], v[26:27]
	v_mul_f64_e32 v[26:27], v[28:29], v[24:25]
	s_delay_alu instid0(VALU_DEP_1) | instskip(NEXT) | instid1(VALU_DEP_1)
	v_fma_f64 v[6:7], -v[6:7], v[26:27], v[28:29]
	v_div_fmas_f64 v[6:7], v[6:7], v[24:25], v[26:27]
	s_delay_alu instid0(VALU_DEP_1)
	v_div_fixup_f64 v[2:3], v[6:7], v[4:5], v[2:3]
	ds_store_b64 v17, v[2:3] offset:32
	s_wait_storecnt_dscnt 0x0
	ds_load_b64 v[4:5], v13 offset:32
	ds_load_b64 v[6:7], v12
	s_wait_dscnt 0x0
	v_fmac_f64_e32 v[6:7], v[2:3], v[4:5]
	ds_store_b64 v12, v[6:7]
	s_wait_dscnt 0x0
	ds_load_b64 v[4:5], v23 offset:360
	ds_load_b64 v[2:3], v17 offset:40
	s_wait_dscnt 0x1
	v_cmp_neq_f64_e32 vcc_lo, 0, v[4:5]
	v_cndmask_b32_e32 v5, 0x3ff00000, v5, vcc_lo
	v_cndmask_b32_e32 v4, 0, v4, vcc_lo
	s_nor_b32 s21, vcc_lo, s0
	s_delay_alu instid0(SALU_CYCLE_1)
	s_and_saveexec_b32 s20, s21
	s_cbranch_execz .LBB27_66
; %bb.63:                               ;   in Loop: Header=BB27_19 Depth=1
	v_mbcnt_lo_u32_b32 v4, exec_lo, 0
	s_mov_b32 s21, exec_lo
	s_delay_alu instid0(VALU_DEP_1)
	v_cmpx_eq_u32_e32 0, v4
	s_cbranch_execz .LBB27_65
; %bb.64:                               ;   in Loop: Header=BB27_19 Depth=1
	v_mov_b32_e32 v4, s19
	global_atomic_min_i32 v23, v4, s[10:11] scope:SCOPE_DEV
.LBB27_65:                              ;   in Loop: Header=BB27_19 Depth=1
	s_wait_xcnt 0x0
	s_or_b32 exec_lo, exec_lo, s21
	v_mov_b64_e32 v[4:5], 1.0
.LBB27_66:                              ;   in Loop: Header=BB27_19 Depth=1
	s_or_b32 exec_lo, exec_lo, s20
	ds_load_b128 v[24:27], v17
	ds_load_b64 v[6:7], v18 offset:40
	ds_load_b128 v[28:31], v23 offset:320
	ds_load_b128 v[32:35], v23 offset:336
	;; [unrolled: 1-line block ×3, first 2 shown]
	s_wait_dscnt 0x2
	v_fmac_f64_e32 v[6:7], v[28:29], v[24:25]
	s_delay_alu instid0(VALU_DEP_1) | instskip(SKIP_4) | instid1(VALU_DEP_1)
	v_fmac_f64_e32 v[6:7], v[30:31], v[26:27]
	ds_load_b64 v[24:25], v17 offset:32
	ds_load_b64 v[26:27], v23 offset:352
	s_wait_dscnt 0x2
	v_fmac_f64_e32 v[6:7], v[32:33], v[36:37]
	v_fmac_f64_e32 v[6:7], v[34:35], v[38:39]
	s_wait_dscnt 0x0
	s_delay_alu instid0(VALU_DEP_1) | instskip(NEXT) | instid1(VALU_DEP_1)
	v_fmac_f64_e32 v[6:7], v[26:27], v[24:25]
	v_add_f64_e64 v[2:3], v[2:3], -v[6:7]
	s_delay_alu instid0(VALU_DEP_1) | instskip(SKIP_1) | instid1(VALU_DEP_2)
	v_div_scale_f64 v[6:7], null, v[4:5], v[4:5], v[2:3]
	v_div_scale_f64 v[28:29], vcc_lo, v[2:3], v[4:5], v[2:3]
	v_rcp_f64_e32 v[24:25], v[6:7]
	v_nop
	s_delay_alu instid0(TRANS32_DEP_1) | instskip(NEXT) | instid1(VALU_DEP_1)
	v_fma_f64 v[26:27], -v[6:7], v[24:25], 1.0
	v_fmac_f64_e32 v[24:25], v[24:25], v[26:27]
	s_delay_alu instid0(VALU_DEP_1) | instskip(NEXT) | instid1(VALU_DEP_1)
	v_fma_f64 v[26:27], -v[6:7], v[24:25], 1.0
	v_fmac_f64_e32 v[24:25], v[24:25], v[26:27]
	s_delay_alu instid0(VALU_DEP_1) | instskip(NEXT) | instid1(VALU_DEP_1)
	v_mul_f64_e32 v[26:27], v[28:29], v[24:25]
	v_fma_f64 v[6:7], -v[6:7], v[26:27], v[28:29]
	s_delay_alu instid0(VALU_DEP_1) | instskip(NEXT) | instid1(VALU_DEP_1)
	v_div_fmas_f64 v[6:7], v[6:7], v[24:25], v[26:27]
	v_div_fixup_f64 v[2:3], v[6:7], v[4:5], v[2:3]
	ds_store_b64 v17, v[2:3] offset:40
	s_wait_storecnt_dscnt 0x0
	ds_load_b64 v[4:5], v13 offset:40
	ds_load_b64 v[6:7], v12
	s_wait_dscnt 0x0
	v_fmac_f64_e32 v[6:7], v[2:3], v[4:5]
	ds_store_b64 v12, v[6:7]
	s_wait_dscnt 0x0
	ds_load_b64 v[4:5], v23 offset:432
	ds_load_b64 v[2:3], v17 offset:48
	s_wait_dscnt 0x1
	v_cmp_neq_f64_e32 vcc_lo, 0, v[4:5]
	v_cndmask_b32_e32 v5, 0x3ff00000, v5, vcc_lo
	v_cndmask_b32_e32 v4, 0, v4, vcc_lo
	s_nor_b32 s21, vcc_lo, s0
	s_delay_alu instid0(SALU_CYCLE_1)
	s_and_saveexec_b32 s20, s21
	s_cbranch_execz .LBB27_17
; %bb.67:                               ;   in Loop: Header=BB27_19 Depth=1
	v_mbcnt_lo_u32_b32 v4, exec_lo, 0
	s_mov_b32 s21, exec_lo
	s_delay_alu instid0(VALU_DEP_1)
	v_cmpx_eq_u32_e32 0, v4
	s_cbranch_execz .LBB27_16
; %bb.68:                               ;   in Loop: Header=BB27_19 Depth=1
	v_mov_b32_e32 v4, s19
	global_atomic_min_i32 v23, v4, s[10:11] scope:SCOPE_DEV
	s_branch .LBB27_16
.LBB27_69:
	s_wait_xcnt 0x0
	v_mov_b32_e32 v0, v10
	s_wait_kmcnt 0x0
	s_cmp_lg_u32 s1, 0
	s_cselect_b32 s4, -1, 0
	s_cmp_eq_u32 s1, 0
	s_cbranch_scc1 .LBB27_71
; %bb.70:
	v_mad_u32_u24 v0, v8, 7, v9
.LBB27_71:
	s_mul_i32 s26, s26, 49
	v_lshl_add_u32 v3, v9, 6, 0x380
	s_delay_alu instid0(VALU_DEP_2) | instskip(SKIP_2) | instid1(VALU_DEP_3)
	v_add_nc_u32_e32 v0, s26, v0
	s_mov_b32 s1, exec_lo
	v_cmp_ne_u32_e32 vcc_lo, 0, v9
	v_lshl_add_u32 v2, v8, 3, v3
	global_load_b64 v[0:1], v0, s[16:17] scale_offset
	s_wait_loadcnt 0x0
	ds_store_b64 v2, v[0:1]
	s_wait_dscnt 0x0
	v_cmpx_eq_u32_e32 0, v9
	s_cbranch_execz .LBB27_73
; %bb.72:
	v_mov_b32_e32 v15, 0
	ds_load_2addr_b64 v[4:7], v15 offset0:112 offset1:168
	s_wait_dscnt 0x0
	v_add_f64_e64 v[0:1], v[4:5], -v[6:7]
	s_delay_alu instid0(VALU_DEP_1) | instskip(SKIP_1) | instid1(VALU_DEP_1)
	v_cmp_gt_f64_e64 s0, 0, v[0:1]
	v_xor_b32_e32 v4, 0x80000000, v1
	v_cndmask_b32_e64 v1, v1, v4, s0
	s_delay_alu instid0(VALU_DEP_1) | instskip(SKIP_2) | instid1(SALU_CYCLE_1)
	v_cmp_gt_f64_e64 s0, 0x10000000, v[0:1]
	s_and_b32 s0, s0, exec_lo
	s_cselect_b32 s0, 0x100, 0
	v_ldexp_f64 v[0:1], v[0:1], s0
	s_cselect_b32 s0, 0xffffff80, 0
	s_delay_alu instid0(VALU_DEP_1) | instskip(SKIP_1) | instid1(TRANS32_DEP_1)
	v_rsq_f64_e32 v[4:5], v[0:1]
	v_nop
	v_mul_f64_e32 v[6:7], v[0:1], v[4:5]
	v_mul_f64_e32 v[4:5], 0.5, v[4:5]
	s_delay_alu instid0(VALU_DEP_1) | instskip(NEXT) | instid1(VALU_DEP_1)
	v_fma_f64 v[16:17], -v[4:5], v[6:7], 0.5
	v_fmac_f64_e32 v[6:7], v[6:7], v[16:17]
	v_fmac_f64_e32 v[4:5], v[4:5], v[16:17]
	s_delay_alu instid0(VALU_DEP_2) | instskip(NEXT) | instid1(VALU_DEP_1)
	v_fma_f64 v[16:17], -v[6:7], v[6:7], v[0:1]
	v_fmac_f64_e32 v[6:7], v[16:17], v[4:5]
	s_delay_alu instid0(VALU_DEP_1) | instskip(NEXT) | instid1(VALU_DEP_1)
	v_fma_f64 v[16:17], -v[6:7], v[6:7], v[0:1]
	v_fmac_f64_e32 v[6:7], v[16:17], v[4:5]
	s_delay_alu instid0(VALU_DEP_1) | instskip(SKIP_1) | instid1(VALU_DEP_1)
	v_ldexp_f64 v[4:5], v[6:7], s0
	v_cmp_class_f64_e64 s0, v[0:1], 0x260
	v_dual_cndmask_b32 v1, v5, v1, s0 :: v_dual_cndmask_b32 v0, v4, v0, s0
	ds_store_b64 v15, v[0:1] offset:896
.LBB27_73:
	s_or_b32 exec_lo, exec_lo, s1
	v_dual_mov_b32 v0, 0 :: v_dual_bitop2_b32 v4, v8, v9 bitop3:0x54
	s_wait_dscnt 0x0
	s_add_co_i32 s5, s8, s9
	ds_load_b64 v[0:1], v0 offset:896
	v_cmp_ne_u32_e64 s0, 0, v4
	s_wait_dscnt 0x0
	v_cmp_neq_f64_e64 s1, 0, v[0:1]
	s_delay_alu instid0(VALU_DEP_1) | instskip(SKIP_2) | instid1(SALU_CYCLE_1)
	v_cndmask_b32_e64 v1, 0x3ff00000, v1, s1
	v_cndmask_b32_e64 v0, 0, v0, s1
	s_nor_b32 s1, s1, s0
	s_and_saveexec_b32 s12, s1
	s_cbranch_execz .LBB27_77
; %bb.74:
	v_mbcnt_lo_u32_b32 v0, exec_lo, 0
	s_mov_b32 s13, exec_lo
	s_delay_alu instid0(VALU_DEP_1)
	v_cmpx_eq_u32_e32 0, v0
	s_cbranch_execz .LBB27_76
; %bb.75:
	v_dual_mov_b32 v0, 0 :: v_dual_mov_b32 v1, s5
	global_atomic_min_i32 v0, v1, s[10:11] scope:SCOPE_DEV
.LBB27_76:
	s_wait_xcnt 0x0
	s_or_b32 exec_lo, exec_lo, s13
	v_mov_b64_e32 v[0:1], 1.0
.LBB27_77:
	s_or_b32 exec_lo, exec_lo, s12
	s_and_saveexec_b32 s1, vcc_lo
	s_cbranch_execz .LBB27_79
; %bb.78:
	ds_load_b64 v[6:7], v3
	ds_load_b64 v[16:17], v14
	s_wait_dscnt 0x0
	v_add_f64_e64 v[6:7], v[6:7], -v[16:17]
	s_delay_alu instid0(VALU_DEP_1) | instskip(SKIP_1) | instid1(VALU_DEP_2)
	v_div_scale_f64 v[16:17], null, v[0:1], v[0:1], v[6:7]
	v_div_scale_f64 v[22:23], vcc_lo, v[6:7], v[0:1], v[6:7]
	v_rcp_f64_e32 v[18:19], v[16:17]
	v_nop
	s_delay_alu instid0(TRANS32_DEP_1) | instskip(NEXT) | instid1(VALU_DEP_1)
	v_fma_f64 v[20:21], -v[16:17], v[18:19], 1.0
	v_fmac_f64_e32 v[18:19], v[18:19], v[20:21]
	s_delay_alu instid0(VALU_DEP_1) | instskip(NEXT) | instid1(VALU_DEP_1)
	v_fma_f64 v[20:21], -v[16:17], v[18:19], 1.0
	v_fmac_f64_e32 v[18:19], v[18:19], v[20:21]
	s_delay_alu instid0(VALU_DEP_1) | instskip(NEXT) | instid1(VALU_DEP_1)
	v_mul_f64_e32 v[20:21], v[22:23], v[18:19]
	v_fma_f64 v[16:17], -v[16:17], v[20:21], v[22:23]
	s_delay_alu instid0(VALU_DEP_1) | instskip(NEXT) | instid1(VALU_DEP_1)
	v_div_fmas_f64 v[16:17], v[16:17], v[18:19], v[20:21]
	v_div_fixup_f64 v[0:1], v[16:17], v[0:1], v[6:7]
	ds_store_b64 v3, v[0:1]
	s_wait_storecnt_dscnt 0x0
	ds_load_b64 v[6:7], v13
	ds_load_b64 v[16:17], v12
	s_wait_dscnt 0x0
	v_fmac_f64_e32 v[16:17], v[0:1], v[6:7]
	ds_store_b64 v12, v[16:17]
.LBB27_79:
	s_or_b32 exec_lo, exec_lo, s1
	s_delay_alu instid0(SALU_CYCLE_1)
	s_mov_b32 s1, exec_lo
	s_wait_storecnt_dscnt 0x0
	v_cmpx_eq_u32_e32 1, v9
	s_cbranch_execz .LBB27_81
; %bb.80:
	v_mov_b32_e32 v5, 0
	ds_load_2addr_b64 v[16:19], v5 offset0:121 offset1:177
	s_wait_dscnt 0x0
	v_add_f64_e64 v[0:1], v[16:17], -v[18:19]
	s_delay_alu instid0(VALU_DEP_1) | instskip(SKIP_1) | instid1(VALU_DEP_1)
	v_cmp_gt_f64_e32 vcc_lo, 0, v[0:1]
	v_xor_b32_e32 v6, 0x80000000, v1
	v_cndmask_b32_e32 v1, v1, v6, vcc_lo
	s_delay_alu instid0(VALU_DEP_1) | instskip(SKIP_2) | instid1(SALU_CYCLE_1)
	v_cmp_gt_f64_e32 vcc_lo, 0x10000000, v[0:1]
	s_and_b32 s12, vcc_lo, exec_lo
	s_cselect_b32 s12, 0x100, 0
	v_ldexp_f64 v[0:1], v[0:1], s12
	s_cselect_b32 s12, 0xffffff80, 0
	s_delay_alu instid0(VALU_DEP_1) | instskip(SKIP_1) | instid1(TRANS32_DEP_1)
	v_rsq_f64_e32 v[6:7], v[0:1]
	v_cmp_class_f64_e64 vcc_lo, v[0:1], 0x260
	v_mul_f64_e32 v[16:17], v[0:1], v[6:7]
	v_mul_f64_e32 v[6:7], 0.5, v[6:7]
	s_delay_alu instid0(VALU_DEP_1) | instskip(NEXT) | instid1(VALU_DEP_1)
	v_fma_f64 v[18:19], -v[6:7], v[16:17], 0.5
	v_fmac_f64_e32 v[16:17], v[16:17], v[18:19]
	v_fmac_f64_e32 v[6:7], v[6:7], v[18:19]
	s_delay_alu instid0(VALU_DEP_2) | instskip(NEXT) | instid1(VALU_DEP_1)
	v_fma_f64 v[18:19], -v[16:17], v[16:17], v[0:1]
	v_fmac_f64_e32 v[16:17], v[18:19], v[6:7]
	s_delay_alu instid0(VALU_DEP_1) | instskip(NEXT) | instid1(VALU_DEP_1)
	v_fma_f64 v[18:19], -v[16:17], v[16:17], v[0:1]
	v_fmac_f64_e32 v[16:17], v[18:19], v[6:7]
	s_delay_alu instid0(VALU_DEP_1) | instskip(NEXT) | instid1(VALU_DEP_1)
	v_ldexp_f64 v[6:7], v[16:17], s12
	v_dual_cndmask_b32 v1, v7, v1 :: v_dual_cndmask_b32 v0, v6, v0
	ds_store_b64 v5, v[0:1] offset:968
.LBB27_81:
	s_or_b32 exec_lo, exec_lo, s1
	v_mov_b32_e32 v0, 0
	s_wait_dscnt 0x0
	ds_load_b64 v[0:1], v0 offset:968
	s_wait_dscnt 0x0
	v_cmp_neq_f64_e32 vcc_lo, 0, v[0:1]
	v_cndmask_b32_e32 v1, 0x3ff00000, v1, vcc_lo
	v_cndmask_b32_e32 v0, 0, v0, vcc_lo
	s_nor_b32 s12, vcc_lo, s0
	s_delay_alu instid0(SALU_CYCLE_1)
	s_and_saveexec_b32 s1, s12
	s_cbranch_execz .LBB27_85
; %bb.82:
	v_mbcnt_lo_u32_b32 v0, exec_lo, 0
	s_mov_b32 s12, exec_lo
	s_delay_alu instid0(VALU_DEP_1)
	v_cmpx_eq_u32_e32 0, v0
	s_cbranch_execz .LBB27_84
; %bb.83:
	v_dual_mov_b32 v0, 0 :: v_dual_mov_b32 v1, s5
	global_atomic_min_i32 v0, v1, s[10:11] scope:SCOPE_DEV
.LBB27_84:
	s_wait_xcnt 0x0
	s_or_b32 exec_lo, exec_lo, s12
	v_mov_b64_e32 v[0:1], 1.0
.LBB27_85:
	s_or_b32 exec_lo, exec_lo, s1
	s_delay_alu instid0(SALU_CYCLE_1)
	s_mov_b32 s1, exec_lo
	v_cmpx_lt_u32_e32 1, v9
	s_cbranch_execz .LBB27_87
; %bb.86:
	ds_load_b64 v[6:7], v3 offset:8
	ds_load_b64 v[16:17], v14 offset:8
	s_wait_dscnt 0x0
	v_add_f64_e64 v[6:7], v[6:7], -v[16:17]
	s_delay_alu instid0(VALU_DEP_1) | instskip(SKIP_1) | instid1(VALU_DEP_2)
	v_div_scale_f64 v[16:17], null, v[0:1], v[0:1], v[6:7]
	v_div_scale_f64 v[22:23], vcc_lo, v[6:7], v[0:1], v[6:7]
	v_rcp_f64_e32 v[18:19], v[16:17]
	v_nop
	s_delay_alu instid0(TRANS32_DEP_1) | instskip(NEXT) | instid1(VALU_DEP_1)
	v_fma_f64 v[20:21], -v[16:17], v[18:19], 1.0
	v_fmac_f64_e32 v[18:19], v[18:19], v[20:21]
	s_delay_alu instid0(VALU_DEP_1) | instskip(NEXT) | instid1(VALU_DEP_1)
	v_fma_f64 v[20:21], -v[16:17], v[18:19], 1.0
	v_fmac_f64_e32 v[18:19], v[18:19], v[20:21]
	s_delay_alu instid0(VALU_DEP_1) | instskip(NEXT) | instid1(VALU_DEP_1)
	v_mul_f64_e32 v[20:21], v[22:23], v[18:19]
	v_fma_f64 v[16:17], -v[16:17], v[20:21], v[22:23]
	s_delay_alu instid0(VALU_DEP_1) | instskip(NEXT) | instid1(VALU_DEP_1)
	v_div_fmas_f64 v[16:17], v[16:17], v[18:19], v[20:21]
	v_div_fixup_f64 v[0:1], v[16:17], v[0:1], v[6:7]
	ds_store_b64 v3, v[0:1] offset:8
	s_wait_storecnt_dscnt 0x0
	ds_load_b64 v[6:7], v13 offset:8
	ds_load_b64 v[16:17], v12
	s_wait_dscnt 0x0
	v_fmac_f64_e32 v[16:17], v[0:1], v[6:7]
	ds_store_b64 v12, v[16:17]
.LBB27_87:
	s_or_b32 exec_lo, exec_lo, s1
	s_delay_alu instid0(SALU_CYCLE_1)
	s_mov_b32 s1, exec_lo
	s_wait_storecnt_dscnt 0x0
	v_cmpx_eq_u32_e32 2, v9
	s_cbranch_execz .LBB27_89
; %bb.88:
	v_mov_b32_e32 v5, 0
	ds_load_2addr_b64 v[16:19], v5 offset0:130 offset1:186
	s_wait_dscnt 0x0
	v_add_f64_e64 v[0:1], v[16:17], -v[18:19]
	s_delay_alu instid0(VALU_DEP_1) | instskip(SKIP_1) | instid1(VALU_DEP_1)
	v_cmp_gt_f64_e32 vcc_lo, 0, v[0:1]
	v_xor_b32_e32 v6, 0x80000000, v1
	v_cndmask_b32_e32 v1, v1, v6, vcc_lo
	s_delay_alu instid0(VALU_DEP_1) | instskip(SKIP_2) | instid1(SALU_CYCLE_1)
	v_cmp_gt_f64_e32 vcc_lo, 0x10000000, v[0:1]
	s_and_b32 s12, vcc_lo, exec_lo
	s_cselect_b32 s12, 0x100, 0
	v_ldexp_f64 v[0:1], v[0:1], s12
	s_cselect_b32 s12, 0xffffff80, 0
	s_delay_alu instid0(VALU_DEP_1) | instskip(SKIP_1) | instid1(TRANS32_DEP_1)
	v_rsq_f64_e32 v[6:7], v[0:1]
	v_cmp_class_f64_e64 vcc_lo, v[0:1], 0x260
	v_mul_f64_e32 v[16:17], v[0:1], v[6:7]
	v_mul_f64_e32 v[6:7], 0.5, v[6:7]
	s_delay_alu instid0(VALU_DEP_1) | instskip(NEXT) | instid1(VALU_DEP_1)
	v_fma_f64 v[18:19], -v[6:7], v[16:17], 0.5
	v_fmac_f64_e32 v[16:17], v[16:17], v[18:19]
	v_fmac_f64_e32 v[6:7], v[6:7], v[18:19]
	s_delay_alu instid0(VALU_DEP_2) | instskip(NEXT) | instid1(VALU_DEP_1)
	v_fma_f64 v[18:19], -v[16:17], v[16:17], v[0:1]
	v_fmac_f64_e32 v[16:17], v[18:19], v[6:7]
	s_delay_alu instid0(VALU_DEP_1) | instskip(NEXT) | instid1(VALU_DEP_1)
	v_fma_f64 v[18:19], -v[16:17], v[16:17], v[0:1]
	v_fmac_f64_e32 v[16:17], v[18:19], v[6:7]
	s_delay_alu instid0(VALU_DEP_1) | instskip(NEXT) | instid1(VALU_DEP_1)
	v_ldexp_f64 v[6:7], v[16:17], s12
	v_dual_cndmask_b32 v1, v7, v1 :: v_dual_cndmask_b32 v0, v6, v0
	ds_store_b64 v5, v[0:1] offset:1040
.LBB27_89:
	s_or_b32 exec_lo, exec_lo, s1
	v_mov_b32_e32 v0, 0
	s_wait_dscnt 0x0
	ds_load_b64 v[0:1], v0 offset:1040
	s_wait_dscnt 0x0
	v_cmp_neq_f64_e32 vcc_lo, 0, v[0:1]
	v_cndmask_b32_e32 v1, 0x3ff00000, v1, vcc_lo
	v_cndmask_b32_e32 v0, 0, v0, vcc_lo
	s_nor_b32 s12, vcc_lo, s0
	s_delay_alu instid0(SALU_CYCLE_1)
	s_and_saveexec_b32 s1, s12
	s_cbranch_execz .LBB27_93
; %bb.90:
	v_mbcnt_lo_u32_b32 v0, exec_lo, 0
	s_mov_b32 s12, exec_lo
	s_delay_alu instid0(VALU_DEP_1)
	v_cmpx_eq_u32_e32 0, v0
	s_cbranch_execz .LBB27_92
; %bb.91:
	v_dual_mov_b32 v0, 0 :: v_dual_mov_b32 v1, s5
	global_atomic_min_i32 v0, v1, s[10:11] scope:SCOPE_DEV
.LBB27_92:
	s_wait_xcnt 0x0
	s_or_b32 exec_lo, exec_lo, s12
	v_mov_b64_e32 v[0:1], 1.0
.LBB27_93:
	s_or_b32 exec_lo, exec_lo, s1
	s_delay_alu instid0(SALU_CYCLE_1)
	s_mov_b32 s1, exec_lo
	v_cmpx_lt_u32_e32 2, v9
	s_cbranch_execz .LBB27_95
; %bb.94:
	ds_load_b64 v[6:7], v3 offset:16
	ds_load_b64 v[16:17], v14 offset:16
	s_wait_dscnt 0x0
	v_add_f64_e64 v[6:7], v[6:7], -v[16:17]
	s_delay_alu instid0(VALU_DEP_1) | instskip(SKIP_1) | instid1(VALU_DEP_2)
	v_div_scale_f64 v[16:17], null, v[0:1], v[0:1], v[6:7]
	v_div_scale_f64 v[22:23], vcc_lo, v[6:7], v[0:1], v[6:7]
	v_rcp_f64_e32 v[18:19], v[16:17]
	v_nop
	s_delay_alu instid0(TRANS32_DEP_1) | instskip(NEXT) | instid1(VALU_DEP_1)
	v_fma_f64 v[20:21], -v[16:17], v[18:19], 1.0
	v_fmac_f64_e32 v[18:19], v[18:19], v[20:21]
	s_delay_alu instid0(VALU_DEP_1) | instskip(NEXT) | instid1(VALU_DEP_1)
	v_fma_f64 v[20:21], -v[16:17], v[18:19], 1.0
	v_fmac_f64_e32 v[18:19], v[18:19], v[20:21]
	s_delay_alu instid0(VALU_DEP_1) | instskip(NEXT) | instid1(VALU_DEP_1)
	v_mul_f64_e32 v[20:21], v[22:23], v[18:19]
	v_fma_f64 v[16:17], -v[16:17], v[20:21], v[22:23]
	s_delay_alu instid0(VALU_DEP_1) | instskip(NEXT) | instid1(VALU_DEP_1)
	v_div_fmas_f64 v[16:17], v[16:17], v[18:19], v[20:21]
	v_div_fixup_f64 v[0:1], v[16:17], v[0:1], v[6:7]
	ds_store_b64 v3, v[0:1] offset:16
	s_wait_storecnt_dscnt 0x0
	ds_load_b64 v[6:7], v13 offset:16
	ds_load_b64 v[16:17], v12
	s_wait_dscnt 0x0
	v_fmac_f64_e32 v[16:17], v[0:1], v[6:7]
	ds_store_b64 v12, v[16:17]
.LBB27_95:
	s_or_b32 exec_lo, exec_lo, s1
	s_delay_alu instid0(SALU_CYCLE_1)
	s_mov_b32 s1, exec_lo
	s_wait_storecnt_dscnt 0x0
	v_cmpx_eq_u32_e32 3, v9
	s_cbranch_execz .LBB27_97
; %bb.96:
	v_mov_b32_e32 v5, 0
	ds_load_2addr_b64 v[16:19], v5 offset0:139 offset1:195
	s_wait_dscnt 0x0
	v_add_f64_e64 v[0:1], v[16:17], -v[18:19]
	s_delay_alu instid0(VALU_DEP_1) | instskip(SKIP_1) | instid1(VALU_DEP_1)
	v_cmp_gt_f64_e32 vcc_lo, 0, v[0:1]
	v_xor_b32_e32 v6, 0x80000000, v1
	v_cndmask_b32_e32 v1, v1, v6, vcc_lo
	s_delay_alu instid0(VALU_DEP_1) | instskip(SKIP_2) | instid1(SALU_CYCLE_1)
	v_cmp_gt_f64_e32 vcc_lo, 0x10000000, v[0:1]
	s_and_b32 s12, vcc_lo, exec_lo
	s_cselect_b32 s12, 0x100, 0
	v_ldexp_f64 v[0:1], v[0:1], s12
	s_cselect_b32 s12, 0xffffff80, 0
	s_delay_alu instid0(VALU_DEP_1) | instskip(SKIP_1) | instid1(TRANS32_DEP_1)
	v_rsq_f64_e32 v[6:7], v[0:1]
	v_cmp_class_f64_e64 vcc_lo, v[0:1], 0x260
	v_mul_f64_e32 v[16:17], v[0:1], v[6:7]
	v_mul_f64_e32 v[6:7], 0.5, v[6:7]
	s_delay_alu instid0(VALU_DEP_1) | instskip(NEXT) | instid1(VALU_DEP_1)
	v_fma_f64 v[18:19], -v[6:7], v[16:17], 0.5
	v_fmac_f64_e32 v[16:17], v[16:17], v[18:19]
	v_fmac_f64_e32 v[6:7], v[6:7], v[18:19]
	s_delay_alu instid0(VALU_DEP_2) | instskip(NEXT) | instid1(VALU_DEP_1)
	v_fma_f64 v[18:19], -v[16:17], v[16:17], v[0:1]
	v_fmac_f64_e32 v[16:17], v[18:19], v[6:7]
	s_delay_alu instid0(VALU_DEP_1) | instskip(NEXT) | instid1(VALU_DEP_1)
	v_fma_f64 v[18:19], -v[16:17], v[16:17], v[0:1]
	v_fmac_f64_e32 v[16:17], v[18:19], v[6:7]
	s_delay_alu instid0(VALU_DEP_1) | instskip(NEXT) | instid1(VALU_DEP_1)
	v_ldexp_f64 v[6:7], v[16:17], s12
	v_dual_cndmask_b32 v1, v7, v1 :: v_dual_cndmask_b32 v0, v6, v0
	ds_store_b64 v5, v[0:1] offset:1112
.LBB27_97:
	s_or_b32 exec_lo, exec_lo, s1
	v_mov_b32_e32 v0, 0
	s_wait_dscnt 0x0
	ds_load_b64 v[0:1], v0 offset:1112
	s_wait_dscnt 0x0
	v_cmp_neq_f64_e32 vcc_lo, 0, v[0:1]
	v_cndmask_b32_e32 v1, 0x3ff00000, v1, vcc_lo
	v_cndmask_b32_e32 v0, 0, v0, vcc_lo
	s_nor_b32 s12, vcc_lo, s0
	s_delay_alu instid0(SALU_CYCLE_1)
	s_and_saveexec_b32 s1, s12
	s_cbranch_execz .LBB27_101
; %bb.98:
	v_mbcnt_lo_u32_b32 v0, exec_lo, 0
	s_mov_b32 s12, exec_lo
	s_delay_alu instid0(VALU_DEP_1)
	v_cmpx_eq_u32_e32 0, v0
	s_cbranch_execz .LBB27_100
; %bb.99:
	v_dual_mov_b32 v0, 0 :: v_dual_mov_b32 v1, s5
	global_atomic_min_i32 v0, v1, s[10:11] scope:SCOPE_DEV
.LBB27_100:
	s_wait_xcnt 0x0
	s_or_b32 exec_lo, exec_lo, s12
	v_mov_b64_e32 v[0:1], 1.0
.LBB27_101:
	s_or_b32 exec_lo, exec_lo, s1
	s_delay_alu instid0(SALU_CYCLE_1)
	s_mov_b32 s1, exec_lo
	v_cmpx_lt_u32_e32 3, v9
	s_cbranch_execz .LBB27_103
; %bb.102:
	ds_load_b64 v[6:7], v3 offset:24
	ds_load_b64 v[16:17], v14 offset:24
	s_wait_dscnt 0x0
	v_add_f64_e64 v[6:7], v[6:7], -v[16:17]
	s_delay_alu instid0(VALU_DEP_1) | instskip(SKIP_1) | instid1(VALU_DEP_2)
	v_div_scale_f64 v[16:17], null, v[0:1], v[0:1], v[6:7]
	v_div_scale_f64 v[22:23], vcc_lo, v[6:7], v[0:1], v[6:7]
	v_rcp_f64_e32 v[18:19], v[16:17]
	v_nop
	s_delay_alu instid0(TRANS32_DEP_1) | instskip(NEXT) | instid1(VALU_DEP_1)
	v_fma_f64 v[20:21], -v[16:17], v[18:19], 1.0
	v_fmac_f64_e32 v[18:19], v[18:19], v[20:21]
	s_delay_alu instid0(VALU_DEP_1) | instskip(NEXT) | instid1(VALU_DEP_1)
	v_fma_f64 v[20:21], -v[16:17], v[18:19], 1.0
	v_fmac_f64_e32 v[18:19], v[18:19], v[20:21]
	s_delay_alu instid0(VALU_DEP_1) | instskip(NEXT) | instid1(VALU_DEP_1)
	v_mul_f64_e32 v[20:21], v[22:23], v[18:19]
	v_fma_f64 v[16:17], -v[16:17], v[20:21], v[22:23]
	s_delay_alu instid0(VALU_DEP_1) | instskip(NEXT) | instid1(VALU_DEP_1)
	v_div_fmas_f64 v[16:17], v[16:17], v[18:19], v[20:21]
	v_div_fixup_f64 v[0:1], v[16:17], v[0:1], v[6:7]
	ds_store_b64 v3, v[0:1] offset:24
	s_wait_storecnt_dscnt 0x0
	ds_load_b64 v[6:7], v13 offset:24
	ds_load_b64 v[16:17], v12
	s_wait_dscnt 0x0
	v_fmac_f64_e32 v[16:17], v[0:1], v[6:7]
	ds_store_b64 v12, v[16:17]
.LBB27_103:
	s_or_b32 exec_lo, exec_lo, s1
	s_delay_alu instid0(SALU_CYCLE_1)
	s_mov_b32 s1, exec_lo
	s_wait_storecnt_dscnt 0x0
	v_cmpx_eq_u32_e32 4, v9
	s_cbranch_execz .LBB27_105
; %bb.104:
	v_mov_b32_e32 v5, 0
	ds_load_2addr_b64 v[16:19], v5 offset0:148 offset1:204
	s_wait_dscnt 0x0
	v_add_f64_e64 v[0:1], v[16:17], -v[18:19]
	s_delay_alu instid0(VALU_DEP_1) | instskip(SKIP_1) | instid1(VALU_DEP_1)
	v_cmp_gt_f64_e32 vcc_lo, 0, v[0:1]
	v_xor_b32_e32 v6, 0x80000000, v1
	v_cndmask_b32_e32 v1, v1, v6, vcc_lo
	s_delay_alu instid0(VALU_DEP_1) | instskip(SKIP_2) | instid1(SALU_CYCLE_1)
	v_cmp_gt_f64_e32 vcc_lo, 0x10000000, v[0:1]
	s_and_b32 s12, vcc_lo, exec_lo
	s_cselect_b32 s12, 0x100, 0
	v_ldexp_f64 v[0:1], v[0:1], s12
	s_cselect_b32 s12, 0xffffff80, 0
	s_delay_alu instid0(VALU_DEP_1) | instskip(SKIP_1) | instid1(TRANS32_DEP_1)
	v_rsq_f64_e32 v[6:7], v[0:1]
	v_cmp_class_f64_e64 vcc_lo, v[0:1], 0x260
	v_mul_f64_e32 v[16:17], v[0:1], v[6:7]
	v_mul_f64_e32 v[6:7], 0.5, v[6:7]
	s_delay_alu instid0(VALU_DEP_1) | instskip(NEXT) | instid1(VALU_DEP_1)
	v_fma_f64 v[18:19], -v[6:7], v[16:17], 0.5
	v_fmac_f64_e32 v[16:17], v[16:17], v[18:19]
	v_fmac_f64_e32 v[6:7], v[6:7], v[18:19]
	s_delay_alu instid0(VALU_DEP_2) | instskip(NEXT) | instid1(VALU_DEP_1)
	v_fma_f64 v[18:19], -v[16:17], v[16:17], v[0:1]
	v_fmac_f64_e32 v[16:17], v[18:19], v[6:7]
	s_delay_alu instid0(VALU_DEP_1) | instskip(NEXT) | instid1(VALU_DEP_1)
	v_fma_f64 v[18:19], -v[16:17], v[16:17], v[0:1]
	v_fmac_f64_e32 v[16:17], v[18:19], v[6:7]
	s_delay_alu instid0(VALU_DEP_1) | instskip(NEXT) | instid1(VALU_DEP_1)
	v_ldexp_f64 v[6:7], v[16:17], s12
	v_dual_cndmask_b32 v1, v7, v1 :: v_dual_cndmask_b32 v0, v6, v0
	ds_store_b64 v5, v[0:1] offset:1184
.LBB27_105:
	s_or_b32 exec_lo, exec_lo, s1
	v_mov_b32_e32 v0, 0
	s_wait_dscnt 0x0
	ds_load_b64 v[0:1], v0 offset:1184
	s_wait_dscnt 0x0
	v_cmp_neq_f64_e32 vcc_lo, 0, v[0:1]
	v_cndmask_b32_e32 v1, 0x3ff00000, v1, vcc_lo
	v_cndmask_b32_e32 v0, 0, v0, vcc_lo
	s_nor_b32 s12, vcc_lo, s0
	s_delay_alu instid0(SALU_CYCLE_1)
	s_and_saveexec_b32 s1, s12
	s_cbranch_execz .LBB27_109
; %bb.106:
	v_mbcnt_lo_u32_b32 v0, exec_lo, 0
	s_mov_b32 s12, exec_lo
	s_delay_alu instid0(VALU_DEP_1)
	v_cmpx_eq_u32_e32 0, v0
	s_cbranch_execz .LBB27_108
; %bb.107:
	v_dual_mov_b32 v0, 0 :: v_dual_mov_b32 v1, s5
	global_atomic_min_i32 v0, v1, s[10:11] scope:SCOPE_DEV
.LBB27_108:
	s_wait_xcnt 0x0
	s_or_b32 exec_lo, exec_lo, s12
	v_mov_b64_e32 v[0:1], 1.0
.LBB27_109:
	s_or_b32 exec_lo, exec_lo, s1
	s_delay_alu instid0(SALU_CYCLE_1)
	s_mov_b32 s1, exec_lo
	v_cmpx_lt_u32_e32 4, v9
	s_cbranch_execz .LBB27_111
; %bb.110:
	ds_load_b64 v[6:7], v3 offset:32
	ds_load_b64 v[16:17], v14 offset:32
	s_wait_dscnt 0x0
	v_add_f64_e64 v[6:7], v[6:7], -v[16:17]
	s_delay_alu instid0(VALU_DEP_1) | instskip(SKIP_1) | instid1(VALU_DEP_2)
	v_div_scale_f64 v[16:17], null, v[0:1], v[0:1], v[6:7]
	v_div_scale_f64 v[22:23], vcc_lo, v[6:7], v[0:1], v[6:7]
	v_rcp_f64_e32 v[18:19], v[16:17]
	v_nop
	s_delay_alu instid0(TRANS32_DEP_1) | instskip(NEXT) | instid1(VALU_DEP_1)
	v_fma_f64 v[20:21], -v[16:17], v[18:19], 1.0
	v_fmac_f64_e32 v[18:19], v[18:19], v[20:21]
	s_delay_alu instid0(VALU_DEP_1) | instskip(NEXT) | instid1(VALU_DEP_1)
	v_fma_f64 v[20:21], -v[16:17], v[18:19], 1.0
	v_fmac_f64_e32 v[18:19], v[18:19], v[20:21]
	s_delay_alu instid0(VALU_DEP_1) | instskip(NEXT) | instid1(VALU_DEP_1)
	v_mul_f64_e32 v[20:21], v[22:23], v[18:19]
	v_fma_f64 v[16:17], -v[16:17], v[20:21], v[22:23]
	s_delay_alu instid0(VALU_DEP_1) | instskip(NEXT) | instid1(VALU_DEP_1)
	v_div_fmas_f64 v[16:17], v[16:17], v[18:19], v[20:21]
	v_div_fixup_f64 v[0:1], v[16:17], v[0:1], v[6:7]
	ds_store_b64 v3, v[0:1] offset:32
	s_wait_storecnt_dscnt 0x0
	ds_load_b64 v[6:7], v13 offset:32
	ds_load_b64 v[16:17], v12
	s_wait_dscnt 0x0
	v_fmac_f64_e32 v[16:17], v[0:1], v[6:7]
	ds_store_b64 v12, v[16:17]
.LBB27_111:
	s_or_b32 exec_lo, exec_lo, s1
	s_delay_alu instid0(SALU_CYCLE_1)
	s_mov_b32 s1, exec_lo
	s_wait_storecnt_dscnt 0x0
	v_cmpx_eq_u32_e32 5, v9
	s_cbranch_execz .LBB27_113
; %bb.112:
	v_mov_b32_e32 v5, 0
	ds_load_2addr_b64 v[16:19], v5 offset0:157 offset1:213
	s_wait_dscnt 0x0
	v_add_f64_e64 v[0:1], v[16:17], -v[18:19]
	s_delay_alu instid0(VALU_DEP_1) | instskip(SKIP_1) | instid1(VALU_DEP_1)
	v_cmp_gt_f64_e32 vcc_lo, 0, v[0:1]
	v_xor_b32_e32 v6, 0x80000000, v1
	v_cndmask_b32_e32 v1, v1, v6, vcc_lo
	s_delay_alu instid0(VALU_DEP_1) | instskip(SKIP_2) | instid1(SALU_CYCLE_1)
	v_cmp_gt_f64_e32 vcc_lo, 0x10000000, v[0:1]
	s_and_b32 s12, vcc_lo, exec_lo
	s_cselect_b32 s12, 0x100, 0
	v_ldexp_f64 v[0:1], v[0:1], s12
	s_cselect_b32 s12, 0xffffff80, 0
	s_delay_alu instid0(VALU_DEP_1) | instskip(SKIP_1) | instid1(TRANS32_DEP_1)
	v_rsq_f64_e32 v[6:7], v[0:1]
	v_cmp_class_f64_e64 vcc_lo, v[0:1], 0x260
	v_mul_f64_e32 v[16:17], v[0:1], v[6:7]
	v_mul_f64_e32 v[6:7], 0.5, v[6:7]
	s_delay_alu instid0(VALU_DEP_1) | instskip(NEXT) | instid1(VALU_DEP_1)
	v_fma_f64 v[18:19], -v[6:7], v[16:17], 0.5
	v_fmac_f64_e32 v[16:17], v[16:17], v[18:19]
	v_fmac_f64_e32 v[6:7], v[6:7], v[18:19]
	s_delay_alu instid0(VALU_DEP_2) | instskip(NEXT) | instid1(VALU_DEP_1)
	v_fma_f64 v[18:19], -v[16:17], v[16:17], v[0:1]
	v_fmac_f64_e32 v[16:17], v[18:19], v[6:7]
	s_delay_alu instid0(VALU_DEP_1) | instskip(NEXT) | instid1(VALU_DEP_1)
	v_fma_f64 v[18:19], -v[16:17], v[16:17], v[0:1]
	v_fmac_f64_e32 v[16:17], v[18:19], v[6:7]
	s_delay_alu instid0(VALU_DEP_1) | instskip(NEXT) | instid1(VALU_DEP_1)
	v_ldexp_f64 v[6:7], v[16:17], s12
	v_dual_cndmask_b32 v1, v7, v1 :: v_dual_cndmask_b32 v0, v6, v0
	ds_store_b64 v5, v[0:1] offset:1256
.LBB27_113:
	s_or_b32 exec_lo, exec_lo, s1
	v_mov_b32_e32 v0, 0
	s_wait_dscnt 0x0
	ds_load_b64 v[0:1], v0 offset:1256
	s_wait_dscnt 0x0
	v_cmp_neq_f64_e32 vcc_lo, 0, v[0:1]
	v_cndmask_b32_e32 v1, 0x3ff00000, v1, vcc_lo
	v_cndmask_b32_e32 v0, 0, v0, vcc_lo
	s_nor_b32 s12, vcc_lo, s0
	s_delay_alu instid0(SALU_CYCLE_1)
	s_and_saveexec_b32 s1, s12
	s_cbranch_execz .LBB27_117
; %bb.114:
	v_mbcnt_lo_u32_b32 v0, exec_lo, 0
	s_mov_b32 s12, exec_lo
	s_delay_alu instid0(VALU_DEP_1)
	v_cmpx_eq_u32_e32 0, v0
	s_cbranch_execz .LBB27_116
; %bb.115:
	v_dual_mov_b32 v0, 0 :: v_dual_mov_b32 v1, s5
	global_atomic_min_i32 v0, v1, s[10:11] scope:SCOPE_DEV
.LBB27_116:
	s_wait_xcnt 0x0
	s_or_b32 exec_lo, exec_lo, s12
	v_mov_b64_e32 v[0:1], 1.0
.LBB27_117:
	s_or_b32 exec_lo, exec_lo, s1
	s_delay_alu instid0(SALU_CYCLE_1)
	s_mov_b32 s1, exec_lo
	v_cmpx_lt_u32_e32 5, v9
	s_cbranch_execz .LBB27_119
; %bb.118:
	ds_load_b64 v[6:7], v3 offset:40
	ds_load_b64 v[16:17], v14 offset:40
	s_wait_dscnt 0x0
	v_add_f64_e64 v[6:7], v[6:7], -v[16:17]
	s_delay_alu instid0(VALU_DEP_1) | instskip(SKIP_1) | instid1(VALU_DEP_2)
	v_div_scale_f64 v[16:17], null, v[0:1], v[0:1], v[6:7]
	v_div_scale_f64 v[22:23], vcc_lo, v[6:7], v[0:1], v[6:7]
	v_rcp_f64_e32 v[18:19], v[16:17]
	v_nop
	s_delay_alu instid0(TRANS32_DEP_1) | instskip(NEXT) | instid1(VALU_DEP_1)
	v_fma_f64 v[20:21], -v[16:17], v[18:19], 1.0
	v_fmac_f64_e32 v[18:19], v[18:19], v[20:21]
	s_delay_alu instid0(VALU_DEP_1) | instskip(NEXT) | instid1(VALU_DEP_1)
	v_fma_f64 v[20:21], -v[16:17], v[18:19], 1.0
	v_fmac_f64_e32 v[18:19], v[18:19], v[20:21]
	s_delay_alu instid0(VALU_DEP_1) | instskip(NEXT) | instid1(VALU_DEP_1)
	v_mul_f64_e32 v[20:21], v[22:23], v[18:19]
	v_fma_f64 v[16:17], -v[16:17], v[20:21], v[22:23]
	s_delay_alu instid0(VALU_DEP_1) | instskip(NEXT) | instid1(VALU_DEP_1)
	v_div_fmas_f64 v[16:17], v[16:17], v[18:19], v[20:21]
	v_div_fixup_f64 v[0:1], v[16:17], v[0:1], v[6:7]
	ds_store_b64 v3, v[0:1] offset:40
	s_wait_storecnt_dscnt 0x0
	ds_load_b64 v[6:7], v13 offset:40
	ds_load_b64 v[16:17], v12
	s_wait_dscnt 0x0
	v_fmac_f64_e32 v[16:17], v[0:1], v[6:7]
	ds_store_b64 v12, v[16:17]
.LBB27_119:
	s_or_b32 exec_lo, exec_lo, s1
	s_delay_alu instid0(SALU_CYCLE_1)
	s_mov_b32 s1, exec_lo
	s_wait_storecnt_dscnt 0x0
	v_cmpx_eq_u32_e32 6, v9
	s_cbranch_execz .LBB27_121
; %bb.120:
	v_mov_b32_e32 v5, 0
	ds_load_2addr_b64 v[16:19], v5 offset0:166 offset1:222
	s_wait_dscnt 0x0
	v_add_f64_e64 v[0:1], v[16:17], -v[18:19]
	s_delay_alu instid0(VALU_DEP_1) | instskip(SKIP_1) | instid1(VALU_DEP_1)
	v_cmp_gt_f64_e32 vcc_lo, 0, v[0:1]
	v_xor_b32_e32 v6, 0x80000000, v1
	v_cndmask_b32_e32 v1, v1, v6, vcc_lo
	s_delay_alu instid0(VALU_DEP_1) | instskip(SKIP_2) | instid1(SALU_CYCLE_1)
	v_cmp_gt_f64_e32 vcc_lo, 0x10000000, v[0:1]
	s_and_b32 s12, vcc_lo, exec_lo
	s_cselect_b32 s12, 0x100, 0
	v_ldexp_f64 v[0:1], v[0:1], s12
	s_cselect_b32 s12, 0xffffff80, 0
	s_delay_alu instid0(VALU_DEP_1) | instskip(SKIP_1) | instid1(TRANS32_DEP_1)
	v_rsq_f64_e32 v[6:7], v[0:1]
	v_cmp_class_f64_e64 vcc_lo, v[0:1], 0x260
	v_mul_f64_e32 v[16:17], v[0:1], v[6:7]
	v_mul_f64_e32 v[6:7], 0.5, v[6:7]
	s_delay_alu instid0(VALU_DEP_1) | instskip(NEXT) | instid1(VALU_DEP_1)
	v_fma_f64 v[18:19], -v[6:7], v[16:17], 0.5
	v_fmac_f64_e32 v[16:17], v[16:17], v[18:19]
	v_fmac_f64_e32 v[6:7], v[6:7], v[18:19]
	s_delay_alu instid0(VALU_DEP_2) | instskip(NEXT) | instid1(VALU_DEP_1)
	v_fma_f64 v[18:19], -v[16:17], v[16:17], v[0:1]
	v_fmac_f64_e32 v[16:17], v[18:19], v[6:7]
	s_delay_alu instid0(VALU_DEP_1) | instskip(NEXT) | instid1(VALU_DEP_1)
	v_fma_f64 v[18:19], -v[16:17], v[16:17], v[0:1]
	v_fmac_f64_e32 v[16:17], v[18:19], v[6:7]
	s_delay_alu instid0(VALU_DEP_1) | instskip(NEXT) | instid1(VALU_DEP_1)
	v_ldexp_f64 v[6:7], v[16:17], s12
	v_dual_cndmask_b32 v1, v7, v1 :: v_dual_cndmask_b32 v0, v6, v0
	ds_store_b64 v5, v[0:1] offset:1328
.LBB27_121:
	s_or_b32 exec_lo, exec_lo, s1
	v_mov_b32_e32 v0, 0
	s_wait_dscnt 0x0
	ds_load_b64 v[0:1], v0 offset:1328
	s_wait_dscnt 0x0
	v_cmp_neq_f64_e32 vcc_lo, 0, v[0:1]
	v_cndmask_b32_e32 v1, 0x3ff00000, v1, vcc_lo
	v_cndmask_b32_e32 v0, 0, v0, vcc_lo
	s_nor_b32 s1, vcc_lo, s0
	s_delay_alu instid0(SALU_CYCLE_1)
	s_and_saveexec_b32 s0, s1
	s_cbranch_execz .LBB27_125
; %bb.122:
	v_mbcnt_lo_u32_b32 v0, exec_lo, 0
	s_mov_b32 s1, exec_lo
	s_delay_alu instid0(VALU_DEP_1)
	v_cmpx_eq_u32_e32 0, v0
	s_cbranch_execz .LBB27_124
; %bb.123:
	v_dual_mov_b32 v0, 0 :: v_dual_mov_b32 v1, s5
	global_atomic_min_i32 v0, v1, s[10:11] scope:SCOPE_DEV
.LBB27_124:
	s_wait_xcnt 0x0
	s_or_b32 exec_lo, exec_lo, s1
	v_mov_b64_e32 v[0:1], 1.0
.LBB27_125:
	s_or_b32 exec_lo, exec_lo, s0
	s_delay_alu instid0(SALU_CYCLE_1)
	s_mov_b32 s0, exec_lo
	v_cmpx_lt_u32_e32 6, v9
	s_cbranch_execz .LBB27_127
; %bb.126:
	ds_load_b64 v[6:7], v3 offset:48
	ds_load_b64 v[14:15], v14 offset:48
	s_wait_dscnt 0x0
	v_add_f64_e64 v[6:7], v[6:7], -v[14:15]
	s_delay_alu instid0(VALU_DEP_1) | instskip(SKIP_1) | instid1(VALU_DEP_2)
	v_div_scale_f64 v[14:15], null, v[0:1], v[0:1], v[6:7]
	v_div_scale_f64 v[20:21], vcc_lo, v[6:7], v[0:1], v[6:7]
	v_rcp_f64_e32 v[16:17], v[14:15]
	v_nop
	s_delay_alu instid0(TRANS32_DEP_1) | instskip(NEXT) | instid1(VALU_DEP_1)
	v_fma_f64 v[18:19], -v[14:15], v[16:17], 1.0
	v_fmac_f64_e32 v[16:17], v[16:17], v[18:19]
	s_delay_alu instid0(VALU_DEP_1) | instskip(NEXT) | instid1(VALU_DEP_1)
	v_fma_f64 v[18:19], -v[14:15], v[16:17], 1.0
	v_fmac_f64_e32 v[16:17], v[16:17], v[18:19]
	s_delay_alu instid0(VALU_DEP_1) | instskip(NEXT) | instid1(VALU_DEP_1)
	v_mul_f64_e32 v[18:19], v[20:21], v[16:17]
	v_fma_f64 v[14:15], -v[14:15], v[18:19], v[20:21]
	s_delay_alu instid0(VALU_DEP_1) | instskip(NEXT) | instid1(VALU_DEP_1)
	v_div_fmas_f64 v[14:15], v[14:15], v[16:17], v[18:19]
	v_div_fixup_f64 v[0:1], v[14:15], v[0:1], v[6:7]
	ds_store_b64 v3, v[0:1] offset:48
	s_wait_storecnt_dscnt 0x0
	ds_load_b64 v[6:7], v13 offset:48
	ds_load_b64 v[14:15], v12
	s_wait_dscnt 0x0
	v_fmac_f64_e32 v[14:15], v[0:1], v[6:7]
	ds_store_b64 v12, v[14:15]
.LBB27_127:
	s_or_b32 exec_lo, exec_lo, s0
	s_wait_storecnt_dscnt 0x0
	ds_load_b64 v[0:1], v2
	s_and_not1_b32 vcc_lo, exec_lo, s4
	s_cbranch_vccnz .LBB27_129
; %bb.128:
	v_mov_b32_e32 v10, v11
.LBB27_129:
	s_delay_alu instid0(VALU_DEP_1)
	v_add_nc_u32_e32 v2, s26, v10
	s_mov_b32 s0, 0
	s_mov_b32 s1, exec_lo
	s_wait_dscnt 0x0
	global_store_b64 v2, v[0:1], s[16:17] scale_offset
	s_wait_xcnt 0x0
	v_cmpx_eq_u32_e32 0, v4
	s_cbranch_execz .LBB27_131
; %bb.130:
	v_dual_mov_b32 v0, 0 :: v_dual_mov_b32 v1, 1
	s_add_nc_u64 s[4:5], s[6:7], s[2:3]
	global_wb scope:SCOPE_DEV
	s_wait_storecnt 0x0
	global_store_b32 v0, v1, s[4:5] scope:SCOPE_DEV
.LBB27_131:
	s_wait_xcnt 0x0
	s_or_b32 exec_lo, exec_lo, s1
	s_delay_alu instid0(SALU_CYCLE_1)
	s_and_b32 vcc_lo, exec_lo, s0
	s_cbranch_vccnz .LBB27_134
.LBB27_132:
	s_endpgm
.LBB27_133:
	s_cbranch_execz .LBB27_132
.LBB27_134:
	v_or_b32_e32 v0, v8, v9
	s_mov_b32 s0, exec_lo
	s_delay_alu instid0(VALU_DEP_1)
	v_cmpx_eq_u32_e32 0, v0
	s_cbranch_execz .LBB27_132
; %bb.135:
	v_mbcnt_lo_u32_b32 v0, exec_lo, 0
	s_mov_b32 s0, exec_lo
	s_delay_alu instid0(VALU_DEP_1)
	v_cmpx_eq_u32_e32 0, v0
	s_cbranch_execz .LBB27_137
; %bb.136:
	s_add_co_i32 s1, s8, s9
	s_delay_alu instid0(SALU_CYCLE_1)
	v_dual_mov_b32 v0, 0 :: v_dual_mov_b32 v1, s1
	global_atomic_min_i32 v0, v1, s[10:11] scope:SCOPE_DEV
.LBB27_137:
	s_wait_xcnt 0x0
	s_or_b32 exec_lo, exec_lo, s0
	v_dual_mov_b32 v0, 0 :: v_dual_mov_b32 v1, 1
	s_add_nc_u64 s[0:1], s[6:7], s[2:3]
	global_wb scope:SCOPE_DEV
	s_wait_storecnt 0x0
	global_store_b32 v0, v1, s[0:1] scope:SCOPE_DEV
	s_endpgm
	.section	.rodata,"a",@progbits
	.p2align	6, 0x0
	.amdhsa_kernel _ZN9rocsparseL26bsric0_2_8_unrolled_kernelILi49ELi32ELi7EdEEv20rocsparse_direction_iiPKiS3_PT2_S3_PiS3_S6_21rocsparse_index_base_
		.amdhsa_group_segment_fixed_size 2176
		.amdhsa_private_segment_fixed_size 0
		.amdhsa_kernarg_size 76
		.amdhsa_user_sgpr_count 2
		.amdhsa_user_sgpr_dispatch_ptr 0
		.amdhsa_user_sgpr_queue_ptr 0
		.amdhsa_user_sgpr_kernarg_segment_ptr 1
		.amdhsa_user_sgpr_dispatch_id 0
		.amdhsa_user_sgpr_kernarg_preload_length 0
		.amdhsa_user_sgpr_kernarg_preload_offset 0
		.amdhsa_user_sgpr_private_segment_size 0
		.amdhsa_wavefront_size32 1
		.amdhsa_uses_dynamic_stack 0
		.amdhsa_enable_private_segment 0
		.amdhsa_system_sgpr_workgroup_id_x 1
		.amdhsa_system_sgpr_workgroup_id_y 0
		.amdhsa_system_sgpr_workgroup_id_z 0
		.amdhsa_system_sgpr_workgroup_info 0
		.amdhsa_system_vgpr_workitem_id 1
		.amdhsa_next_free_vgpr 56
		.amdhsa_next_free_sgpr 37
		.amdhsa_named_barrier_count 0
		.amdhsa_reserve_vcc 1
		.amdhsa_float_round_mode_32 0
		.amdhsa_float_round_mode_16_64 0
		.amdhsa_float_denorm_mode_32 3
		.amdhsa_float_denorm_mode_16_64 3
		.amdhsa_fp16_overflow 0
		.amdhsa_memory_ordered 1
		.amdhsa_forward_progress 1
		.amdhsa_inst_pref_size 72
		.amdhsa_round_robin_scheduling 0
		.amdhsa_exception_fp_ieee_invalid_op 0
		.amdhsa_exception_fp_denorm_src 0
		.amdhsa_exception_fp_ieee_div_zero 0
		.amdhsa_exception_fp_ieee_overflow 0
		.amdhsa_exception_fp_ieee_underflow 0
		.amdhsa_exception_fp_ieee_inexact 0
		.amdhsa_exception_int_div_zero 0
	.end_amdhsa_kernel
	.section	.text._ZN9rocsparseL26bsric0_2_8_unrolled_kernelILi49ELi32ELi7EdEEv20rocsparse_direction_iiPKiS3_PT2_S3_PiS3_S6_21rocsparse_index_base_,"axG",@progbits,_ZN9rocsparseL26bsric0_2_8_unrolled_kernelILi49ELi32ELi7EdEEv20rocsparse_direction_iiPKiS3_PT2_S3_PiS3_S6_21rocsparse_index_base_,comdat
.Lfunc_end27:
	.size	_ZN9rocsparseL26bsric0_2_8_unrolled_kernelILi49ELi32ELi7EdEEv20rocsparse_direction_iiPKiS3_PT2_S3_PiS3_S6_21rocsparse_index_base_, .Lfunc_end27-_ZN9rocsparseL26bsric0_2_8_unrolled_kernelILi49ELi32ELi7EdEEv20rocsparse_direction_iiPKiS3_PT2_S3_PiS3_S6_21rocsparse_index_base_
                                        ; -- End function
	.set _ZN9rocsparseL26bsric0_2_8_unrolled_kernelILi49ELi32ELi7EdEEv20rocsparse_direction_iiPKiS3_PT2_S3_PiS3_S6_21rocsparse_index_base_.num_vgpr, 56
	.set _ZN9rocsparseL26bsric0_2_8_unrolled_kernelILi49ELi32ELi7EdEEv20rocsparse_direction_iiPKiS3_PT2_S3_PiS3_S6_21rocsparse_index_base_.num_agpr, 0
	.set _ZN9rocsparseL26bsric0_2_8_unrolled_kernelILi49ELi32ELi7EdEEv20rocsparse_direction_iiPKiS3_PT2_S3_PiS3_S6_21rocsparse_index_base_.numbered_sgpr, 37
	.set _ZN9rocsparseL26bsric0_2_8_unrolled_kernelILi49ELi32ELi7EdEEv20rocsparse_direction_iiPKiS3_PT2_S3_PiS3_S6_21rocsparse_index_base_.num_named_barrier, 0
	.set _ZN9rocsparseL26bsric0_2_8_unrolled_kernelILi49ELi32ELi7EdEEv20rocsparse_direction_iiPKiS3_PT2_S3_PiS3_S6_21rocsparse_index_base_.private_seg_size, 0
	.set _ZN9rocsparseL26bsric0_2_8_unrolled_kernelILi49ELi32ELi7EdEEv20rocsparse_direction_iiPKiS3_PT2_S3_PiS3_S6_21rocsparse_index_base_.uses_vcc, 1
	.set _ZN9rocsparseL26bsric0_2_8_unrolled_kernelILi49ELi32ELi7EdEEv20rocsparse_direction_iiPKiS3_PT2_S3_PiS3_S6_21rocsparse_index_base_.uses_flat_scratch, 0
	.set _ZN9rocsparseL26bsric0_2_8_unrolled_kernelILi49ELi32ELi7EdEEv20rocsparse_direction_iiPKiS3_PT2_S3_PiS3_S6_21rocsparse_index_base_.has_dyn_sized_stack, 0
	.set _ZN9rocsparseL26bsric0_2_8_unrolled_kernelILi49ELi32ELi7EdEEv20rocsparse_direction_iiPKiS3_PT2_S3_PiS3_S6_21rocsparse_index_base_.has_recursion, 0
	.set _ZN9rocsparseL26bsric0_2_8_unrolled_kernelILi49ELi32ELi7EdEEv20rocsparse_direction_iiPKiS3_PT2_S3_PiS3_S6_21rocsparse_index_base_.has_indirect_call, 0
	.section	.AMDGPU.csdata,"",@progbits
; Kernel info:
; codeLenInByte = 9204
; TotalNumSgprs: 39
; NumVgprs: 56
; ScratchSize: 0
; MemoryBound: 1
; FloatMode: 240
; IeeeMode: 1
; LDSByteSize: 2176 bytes/workgroup (compile time only)
; SGPRBlocks: 0
; VGPRBlocks: 3
; NumSGPRsForWavesPerEU: 39
; NumVGPRsForWavesPerEU: 56
; NamedBarCnt: 0
; Occupancy: 16
; WaveLimiterHint : 1
; COMPUTE_PGM_RSRC2:SCRATCH_EN: 0
; COMPUTE_PGM_RSRC2:USER_SGPR: 2
; COMPUTE_PGM_RSRC2:TRAP_HANDLER: 0
; COMPUTE_PGM_RSRC2:TGID_X_EN: 1
; COMPUTE_PGM_RSRC2:TGID_Y_EN: 0
; COMPUTE_PGM_RSRC2:TGID_Z_EN: 0
; COMPUTE_PGM_RSRC2:TIDIG_COMP_CNT: 1
	.section	.text._ZN9rocsparseL26bsric0_2_8_unrolled_kernelILi64ELi32ELi8EdEEv20rocsparse_direction_iiPKiS3_PT2_S3_PiS3_S6_21rocsparse_index_base_,"axG",@progbits,_ZN9rocsparseL26bsric0_2_8_unrolled_kernelILi64ELi32ELi8EdEEv20rocsparse_direction_iiPKiS3_PT2_S3_PiS3_S6_21rocsparse_index_base_,comdat
	.globl	_ZN9rocsparseL26bsric0_2_8_unrolled_kernelILi64ELi32ELi8EdEEv20rocsparse_direction_iiPKiS3_PT2_S3_PiS3_S6_21rocsparse_index_base_ ; -- Begin function _ZN9rocsparseL26bsric0_2_8_unrolled_kernelILi64ELi32ELi8EdEEv20rocsparse_direction_iiPKiS3_PT2_S3_PiS3_S6_21rocsparse_index_base_
	.p2align	8
	.type	_ZN9rocsparseL26bsric0_2_8_unrolled_kernelILi64ELi32ELi8EdEEv20rocsparse_direction_iiPKiS3_PT2_S3_PiS3_S6_21rocsparse_index_base_,@function
_ZN9rocsparseL26bsric0_2_8_unrolled_kernelILi64ELi32ELi8EdEEv20rocsparse_direction_iiPKiS3_PT2_S3_PiS3_S6_21rocsparse_index_base_: ; @_ZN9rocsparseL26bsric0_2_8_unrolled_kernelILi64ELi32ELi8EdEEv20rocsparse_direction_iiPKiS3_PT2_S3_PiS3_S6_21rocsparse_index_base_
; %bb.0:
	s_load_b256 s[4:11], s[0:1], 0x28
	s_bfe_u32 s2, ttmp6, 0x4000c
	s_and_b32 s3, ttmp6, 15
	s_add_co_i32 s2, s2, 1
	s_getreg_b32 s12, hwreg(HW_REG_IB_STS2, 6, 4)
	s_mul_i32 s2, ttmp9, s2
	v_and_b32_e32 v8, 0x3ff, v0
	s_add_co_i32 s3, s3, s2
	s_cmp_eq_u32 s12, 0
	v_bfe_u32 v9, v0, 10, 10
	s_cselect_b32 s2, ttmp9, s3
	s_wait_kmcnt 0x0
	s_load_b32 s8, s[8:9], s2 offset:0x0 scale_offset
	s_wait_kmcnt 0x0
	s_ashr_i32 s9, s8, 31
	s_delay_alu instid0(SALU_CYCLE_1) | instskip(NEXT) | instid1(SALU_CYCLE_1)
	s_lshl_b64 s[2:3], s[8:9], 2
	s_add_nc_u64 s[12:13], s[4:5], s[2:3]
	s_load_b32 s26, s[12:13], 0x0
	s_load_b32 s9, s[0:1], 0x48
	s_wait_kmcnt 0x0
	s_cmp_lg_u32 s26, -1
	s_cbranch_scc0 .LBB28_15
; %bb.1:
	s_load_b128 s[12:15], s[0:1], 0x10
	v_lshlrev_b32_e32 v14, 3, v9
	s_delay_alu instid0(VALU_DEP_1)
	v_add_nc_u32_e32 v13, v14, v8
	s_wait_kmcnt 0x0
	s_add_nc_u64 s[16:17], s[12:13], s[2:3]
	s_load_b32 s17, s[16:17], 0x0
	s_wait_xcnt 0x0
	s_mov_b32 s16, exec_lo
	s_wait_kmcnt 0x0
	s_sub_co_i32 s27, s17, s9
	s_delay_alu instid0(SALU_CYCLE_1) | instskip(NEXT) | instid1(VALU_DEP_1)
	v_add_nc_u32_e32 v0, s27, v13
	v_cmpx_ge_i32_e64 s26, v0
	s_cbranch_execz .LBB28_13
; %bb.2:
	v_add_nc_u32_e32 v1, s17, v13
	s_add_co_i32 s18, s26, 1
	v_not_b32_e32 v2, v8
	s_mov_b32 s19, -1
	s_delay_alu instid0(VALU_DEP_2) | instskip(NEXT) | instid1(VALU_DEP_1)
	v_subrev_nc_u32_e32 v1, s9, v1
	v_add_max_i32_e64 v1, v1, 64, s18
	s_mov_b32 s18, exec_lo
	s_delay_alu instid0(VALU_DEP_1) | instskip(SKIP_1) | instid1(VALU_DEP_1)
	v_add3_u32 v1, s9, v1, v2
	v_add_nc_u32_e32 v2, s17, v14
	v_sub_nc_u32_e32 v1, v1, v2
	s_delay_alu instid0(VALU_DEP_1)
	v_cmpx_lt_u32_e32 63, v1
	s_cbranch_execz .LBB28_10
; %bb.3:
	v_dual_lshrrev_b32 v4, 6, v1 :: v_dual_add_nc_u32 v1, 64, v0
	s_delay_alu instid0(VALU_DEP_1) | instskip(NEXT) | instid1(VALU_DEP_1)
	v_add_nc_u32_e32 v2, -1, v4
	v_lshrrev_b32_e32 v3, 1, v2
	s_delay_alu instid0(VALU_DEP_1)
	v_add_nc_u32_e32 v5, 1, v3
	v_cmp_lt_u32_e32 vcc_lo, 13, v2
	v_mov_b64_e32 v[2:3], v[0:1]
	s_and_saveexec_b32 s19, vcc_lo
	s_cbranch_execz .LBB28_7
; %bb.4:
	v_mov_b64_e32 v[2:3], v[0:1]
	v_and_b32_e32 v6, -8, v5
	s_mov_b32 s20, 0
.LBB28_5:                               ; =>This Inner Loop Header: Depth=1
	s_clause 0x1
	global_load_b32 v1, v2, s[14:15] scale_offset
	global_load_b32 v7, v3, s[14:15] scale_offset
	v_add_nc_u32_e32 v18, 0x200, v3
	v_add_nc_u32_e32 v16, 0x180, v3
	;; [unrolled: 1-line block ×14, first 2 shown]
	s_clause 0xd
	global_load_b32 v26, v18, s[14:15] scale_offset
	global_load_b32 v27, v16, s[14:15] scale_offset
	;; [unrolled: 1-line block ×14, first 2 shown]
	v_subrev_nc_u32_e32 v40, s27, v2
	v_subrev_nc_u32_e32 v41, s27, v3
	v_add_nc_u32_e32 v6, -8, v6
	s_wait_xcnt 0x9
	v_subrev_nc_u32_e32 v11, s27, v11
	v_subrev_nc_u32_e32 v10, s27, v10
	v_dual_lshlrev_b32 v40, 2, v40 :: v_dual_lshlrev_b32 v41, 2, v41
	s_wait_xcnt 0x8
	v_subrev_nc_u32_e32 v15, s27, v15
	v_subrev_nc_u32_e32 v12, s27, v12
	v_cmp_eq_u32_e32 vcc_lo, 0, v6
	s_wait_xcnt 0x7
	v_subrev_nc_u32_e32 v17, s27, v17
	v_add_nc_u32_e32 v3, 0x400, v3
	v_subrev_nc_u32_e32 v16, s27, v16
	v_subrev_nc_u32_e32 v18, s27, v18
	s_wait_xcnt 0x6
	v_subrev_nc_u32_e32 v19, s27, v19
	s_wait_xcnt 0x3
	;; [unrolled: 2-line block ×3, first 2 shown]
	v_subrev_nc_u32_e32 v21, s27, v21
	v_subrev_nc_u32_e32 v22, s27, v22
	s_wait_xcnt 0x1
	v_subrev_nc_u32_e32 v23, s27, v23
	v_subrev_nc_u32_e32 v24, s27, v24
	s_wait_xcnt 0x0
	v_subrev_nc_u32_e32 v25, s27, v25
	v_add_nc_u32_e32 v2, 0x400, v2
	v_dual_lshlrev_b32 v11, 2, v11 :: v_dual_lshlrev_b32 v10, 2, v10
	v_dual_lshlrev_b32 v15, 2, v15 :: v_dual_lshlrev_b32 v12, 2, v12
	v_lshlrev_b32_e32 v17, 2, v17
	s_or_b32 s20, vcc_lo, s20
	v_dual_lshlrev_b32 v16, 2, v16 :: v_dual_lshlrev_b32 v19, 2, v19
	v_dual_lshlrev_b32 v18, 2, v18 :: v_dual_lshlrev_b32 v21, 2, v21
	;; [unrolled: 1-line block ×4, first 2 shown]
	v_lshlrev_b32_e32 v24, 2, v24
	s_wait_loadcnt 0xf
	v_subrev_nc_u32_e32 v1, s9, v1
	s_wait_loadcnt 0xe
	v_subrev_nc_u32_e32 v7, s9, v7
	ds_store_b32 v40, v1 offset:2560
	ds_store_b32 v41, v7 offset:2560
	s_wait_loadcnt 0xa
	v_subrev_nc_u32_e32 v1, s9, v29
	s_wait_loadcnt 0x9
	v_subrev_nc_u32_e32 v7, s9, v30
	;; [unrolled: 2-line block ×3, first 2 shown]
	v_subrev_nc_u32_e32 v28, s9, v28
	s_wait_loadcnt 0x7
	v_subrev_nc_u32_e32 v30, s9, v32
	v_subrev_nc_u32_e32 v27, s9, v27
	;; [unrolled: 1-line block ×3, first 2 shown]
	s_wait_loadcnt 0x6
	v_subrev_nc_u32_e32 v31, s9, v33
	s_wait_loadcnt 0x3
	v_subrev_nc_u32_e32 v32, s9, v36
	s_wait_loadcnt 0x2
	v_subrev_nc_u32_e32 v33, s9, v37
	v_subrev_nc_u32_e32 v35, s9, v35
	s_wait_loadcnt 0x1
	v_subrev_nc_u32_e32 v36, s9, v38
	v_subrev_nc_u32_e32 v34, s9, v34
	s_wait_loadcnt 0x0
	v_subrev_nc_u32_e32 v37, s9, v39
	ds_store_b32 v11, v7 offset:2560
	ds_store_b32 v10, v1 offset:2560
	;; [unrolled: 1-line block ×14, first 2 shown]
	s_and_not1_b32 exec_lo, exec_lo, s20
	s_cbranch_execnz .LBB28_5
; %bb.6:
	s_or_b32 exec_lo, exec_lo, s20
.LBB28_7:
	s_delay_alu instid0(SALU_CYCLE_1) | instskip(SKIP_3) | instid1(VALU_DEP_1)
	s_or_b32 exec_lo, exec_lo, s19
	v_and_b32_e32 v1, 7, v5
	s_mov_b32 s20, 0
	s_mov_b32 s19, exec_lo
	v_cmpx_ne_u32_e32 0, v1
	s_cbranch_execz .LBB28_9
.LBB28_8:                               ; =>This Inner Loop Header: Depth=1
	s_clause 0x1
	global_load_b32 v5, v2, s[14:15] scale_offset
	global_load_b32 v6, v3, s[14:15] scale_offset
	v_subrev_nc_u32_e32 v7, s27, v2
	v_add_nc_u32_e32 v1, -1, v1
	v_subrev_nc_u32_e32 v10, s27, v3
	s_wait_xcnt 0x0
	v_add_nc_u32_e32 v3, 0x80, v3
	v_add_nc_u32_e32 v2, 0x80, v2
	v_lshlrev_b32_e32 v7, 2, v7
	v_cmp_eq_u32_e32 vcc_lo, 0, v1
	v_lshlrev_b32_e32 v10, 2, v10
	s_or_b32 s20, vcc_lo, s20
	s_wait_loadcnt 0x1
	v_subrev_nc_u32_e32 v5, s9, v5
	s_wait_loadcnt 0x0
	v_subrev_nc_u32_e32 v6, s9, v6
	ds_store_b32 v7, v5 offset:2560
	ds_store_b32 v10, v6 offset:2560
	s_and_not1_b32 exec_lo, exec_lo, s20
	s_cbranch_execnz .LBB28_8
.LBB28_9:
	s_or_b32 exec_lo, exec_lo, s19
	v_add_nc_u32_e32 v1, 1, v4
	s_delay_alu instid0(VALU_DEP_1) | instskip(NEXT) | instid1(VALU_DEP_1)
	v_and_b32_e32 v2, 0x7fffffe, v1
	v_cmp_ne_u32_e32 vcc_lo, v1, v2
	v_lshl_add_u32 v0, v2, 6, v0
	s_or_not1_b32 s19, vcc_lo, exec_lo
.LBB28_10:
	s_or_b32 exec_lo, exec_lo, s18
	s_delay_alu instid0(SALU_CYCLE_1)
	s_and_b32 exec_lo, exec_lo, s19
	s_cbranch_execz .LBB28_13
; %bb.11:
	v_add_nc_u32_e32 v1, s9, v0
	s_delay_alu instid0(VALU_DEP_1) | instskip(SKIP_2) | instid1(VALU_DEP_2)
	v_subrev_nc_u32_e32 v2, s17, v1
	v_ashrrev_i32_e32 v1, 31, v0
	s_mov_b32 s17, 0
	v_lshl_add_u32 v4, v2, 2, 0xa00
	s_delay_alu instid0(VALU_DEP_2)
	v_lshl_add_u64 v[2:3], v[0:1], 2, s[14:15]
.LBB28_12:                              ; =>This Inner Loop Header: Depth=1
	global_load_b32 v1, v[2:3], off
	v_add_nc_u32_e32 v0, 64, v0
	s_wait_xcnt 0x0
	v_add_nc_u64_e32 v[2:3], 0x100, v[2:3]
	s_delay_alu instid0(VALU_DEP_2)
	v_cmp_lt_i32_e32 vcc_lo, s26, v0
	s_or_b32 s17, vcc_lo, s17
	s_wait_loadcnt 0x0
	v_subrev_nc_u32_e32 v1, s9, v1
	ds_store_b32 v4, v1
	v_add_nc_u32_e32 v4, 0x100, v4
	s_and_not1_b32 exec_lo, exec_lo, s17
	s_cbranch_execnz .LBB28_12
.LBB28_13:
	s_or_b32 exec_lo, exec_lo, s16
	s_load_b64 s[16:17], s[0:1], 0x20
	s_movk_i32 s18, 0x48
	v_mov_b64_e32 v[0:1], 0
	v_mad_u32_u24 v11, v9, s18, 0x6c0
	s_cmp_lt_i32 s27, s26
	s_delay_alu instid0(VALU_DEP_1)
	v_lshl_add_u32 v10, v8, 3, v11
	ds_store_b64 v10, v[0:1]
	s_wait_dscnt 0x0
	s_cbranch_scc1 .LBB28_17
; %bb.14:
	v_lshl_add_u32 v15, v8, 3, v9
	v_or_b32_e32 v12, v8, v9
	s_wait_xcnt 0x0
	s_load_b32 s1, s[0:1], 0x0
	s_cbranch_execz .LBB28_18
	s_branch .LBB28_76
.LBB28_15:
	s_cbranch_execnz .LBB28_143
.LBB28_16:
	s_endpgm
.LBB28_17:
                                        ; implicit-def: $vgpr15
                                        ; implicit-def: $vgpr12
	s_wait_xcnt 0x0
	s_load_b32 s1, s[0:1], 0x0
.LBB28_18:
	v_dual_lshlrev_b32 v16, 3, v8 :: v_dual_bitop2_b32 v12, v8, v9 bitop3:0x54
	s_wait_xcnt 0x0
	s_movk_i32 s0, 0x48
	s_movk_i32 s18, 0x240
	s_wait_kmcnt 0x0
	s_cmp_lg_u32 s1, 0
	v_mad_u32_u24 v17, v9, s0, 0x480
	v_mad_u32_u24 v18, 0x48, v9, s18
	v_add_nc_u32_e32 v15, v16, v9
	s_cselect_b32 s28, -1, 0
	s_cmp_eq_u32 s1, 0
	v_add_nc_u32_e32 v19, v17, v16
	s_cselect_b32 vcc_lo, -1, 0
	v_mad_u32_u24 v20, 0x48, v9, v16
	v_dual_add_nc_u32 v21, v18, v16 :: v_dual_cndmask_b32 v23, v15, v13, vcc_lo
	v_mad_u32_u24 v22, v8, s0, 0x480
	v_cmp_ne_u32_e64 s0, 0, v12
	v_mov_b32_e32 v24, 0
	s_mov_b32 s18, s27
	s_branch .LBB28_22
.LBB28_19:                              ;   in Loop: Header=BB28_22 Depth=1
	s_wait_xcnt 0x0
	s_or_b32 exec_lo, exec_lo, s21
	v_mov_b64_e32 v[4:5], 1.0
.LBB28_20:                              ;   in Loop: Header=BB28_22 Depth=1
	s_or_b32 exec_lo, exec_lo, s20
	ds_load_2addr_b64 v[26:29], v17 offset1:1
	ds_load_2addr_b64 v[30:33], v24 offset0:63 offset1:64
	ds_load_b64 v[6:7], v18 offset:56
	s_add_co_i32 s18, s18, 1
	s_delay_alu instid0(SALU_CYCLE_1) | instskip(SKIP_3) | instid1(VALU_DEP_1)
	s_cmp_ge_i32 s18, s26
	s_cselect_b32 s24, -1, 0
	s_wait_dscnt 0x0
	v_fmac_f64_e32 v[6:7], v[30:31], v[26:27]
	v_fmac_f64_e32 v[6:7], v[32:33], v[28:29]
	ds_load_2addr_b64 v[26:29], v17 offset0:2 offset1:3
	ds_load_2addr_b64 v[30:33], v24 offset0:65 offset1:66
	s_wait_dscnt 0x0
	v_fmac_f64_e32 v[6:7], v[30:31], v[26:27]
	s_delay_alu instid0(VALU_DEP_1) | instskip(SKIP_4) | instid1(VALU_DEP_1)
	v_fmac_f64_e32 v[6:7], v[32:33], v[28:29]
	ds_load_2addr_b64 v[26:29], v24 offset0:67 offset1:68
	ds_load_2addr_b64 v[30:33], v17 offset0:4 offset1:5
	s_wait_dscnt 0x0
	v_fmac_f64_e32 v[6:7], v[26:27], v[30:31]
	v_fmac_f64_e32 v[6:7], v[28:29], v[32:33]
	ds_load_b64 v[26:27], v17 offset:48
	ds_load_b64 v[28:29], v24 offset:552
	s_wait_dscnt 0x0
	v_fmac_f64_e32 v[6:7], v[28:29], v[26:27]
	s_delay_alu instid0(VALU_DEP_1) | instskip(NEXT) | instid1(VALU_DEP_1)
	v_add_f64_e64 v[2:3], v[2:3], -v[6:7]
	v_div_scale_f64 v[6:7], null, v[4:5], v[4:5], v[2:3]
	v_div_scale_f64 v[30:31], vcc_lo, v[2:3], v[4:5], v[2:3]
	s_delay_alu instid0(VALU_DEP_2) | instskip(SKIP_1) | instid1(TRANS32_DEP_1)
	v_rcp_f64_e32 v[26:27], v[6:7]
	v_nop
	v_fma_f64 v[28:29], -v[6:7], v[26:27], 1.0
	s_delay_alu instid0(VALU_DEP_1) | instskip(NEXT) | instid1(VALU_DEP_1)
	v_fmac_f64_e32 v[26:27], v[26:27], v[28:29]
	v_fma_f64 v[28:29], -v[6:7], v[26:27], 1.0
	s_delay_alu instid0(VALU_DEP_1) | instskip(NEXT) | instid1(VALU_DEP_1)
	v_fmac_f64_e32 v[26:27], v[26:27], v[28:29]
	v_mul_f64_e32 v[28:29], v[30:31], v[26:27]
	s_delay_alu instid0(VALU_DEP_1) | instskip(NEXT) | instid1(VALU_DEP_1)
	v_fma_f64 v[6:7], -v[6:7], v[28:29], v[30:31]
	v_div_fmas_f64 v[6:7], v[6:7], v[26:27], v[28:29]
	s_delay_alu instid0(VALU_DEP_1)
	v_div_fixup_f64 v[2:3], v[6:7], v[4:5], v[2:3]
	ds_store_b64 v17, v[2:3] offset:56
	s_wait_storecnt_dscnt 0x0
	ds_load_b64 v[4:5], v22 offset:56
	ds_load_b64 v[6:7], v10
	s_wait_dscnt 0x0
	v_fmac_f64_e32 v[6:7], v[2:3], v[4:5]
	ds_store_b64 v10, v[6:7]
	s_wait_dscnt 0x0
	ds_load_b64 v[2:3], v19
	s_wait_dscnt 0x0
	global_store_b64 v[0:1], v[2:3], off
	global_wb scope:SCOPE_DEV
	s_wait_storecnt 0x0
	global_inv scope:SCOPE_DEV
.LBB28_21:                              ;   in Loop: Header=BB28_22 Depth=1
	s_and_b32 vcc_lo, exec_lo, s24
	s_cbranch_vccnz .LBB28_76
.LBB28_22:                              ; =>This Loop Header: Depth=1
                                        ;     Child Loop BB28_25 Depth 2
                                        ;     Child Loop BB28_36 Depth 2
	;; [unrolled: 1-line block ×3, first 2 shown]
	s_ashr_i32 s19, s18, 31
	s_delay_alu instid0(SALU_CYCLE_1) | instskip(NEXT) | instid1(SALU_CYCLE_1)
	s_lshl_b64 s[20:21], s[18:19], 2
	s_add_nc_u64 s[20:21], s[14:15], s[20:21]
	s_load_b32 s19, s[20:21], 0x0
	s_wait_kmcnt 0x0
	s_sub_co_i32 s22, s19, s9
	s_delay_alu instid0(SALU_CYCLE_1) | instskip(SKIP_2) | instid1(SALU_CYCLE_1)
	s_ashr_i32 s23, s22, 31
	s_wait_xcnt 0x0
	s_lshl_b64 s[20:21], s[22:23], 2
	s_add_nc_u64 s[24:25], s[4:5], s[20:21]
	s_load_b32 s23, s[24:25], 0x0
	s_wait_xcnt 0x0
	s_mov_b32 s24, -1
	s_wait_kmcnt 0x0
	s_cmp_eq_u32 s23, -1
	s_cbranch_scc1 .LBB28_21
; %bb.23:                               ;   in Loop: Header=BB28_22 Depth=1
	v_lshl_add_u32 v0, s18, 6, v23
	s_add_nc_u64 s[24:25], s[12:13], s[20:21]
	ds_load_b32 v1, v24 offset:2560
	s_load_b32 s24, s[24:25], 0x0
	global_load_b64 v[2:3], v0, s[16:17] scale_offset
	s_wait_dscnt 0x0
	v_cmp_ge_i32_e32 vcc_lo, s22, v1
	s_wait_kmcnt 0x0
	s_sub_co_i32 s24, s24, s9
	s_delay_alu instid0(SALU_CYCLE_1) | instskip(SKIP_1) | instid1(SALU_CYCLE_1)
	s_cmp_le_i32 s24, s23
	s_cselect_b32 s25, -1, 0
	s_and_b32 s25, s25, vcc_lo
	s_delay_alu instid0(SALU_CYCLE_1)
	s_and_not1_b32 vcc_lo, exec_lo, s25
	s_mov_b32 s25, 0
	s_wait_loadcnt 0x0
	ds_store_b64 v19, v[2:3]
	s_cbranch_vccnz .LBB28_35
; %bb.24:                               ;   in Loop: Header=BB28_22 Depth=1
	s_mov_b32 s29, 0
	s_mov_b32 s30, 0
.LBB28_25:                              ;   Parent Loop BB28_22 Depth=1
                                        ; =>  This Inner Loop Header: Depth=2
	s_ashr_i32 s25, s24, 31
	s_lshl_b32 s31, s30, 2
	s_lshl_b64 s[34:35], s[24:25], 2
	v_mov_b32_e32 v1, s31
	s_add_nc_u64 s[34:35], s[14:15], s[34:35]
                                        ; implicit-def: $sgpr33
	s_load_b32 s25, s[34:35], 0x0
	s_wait_xcnt 0x0
	s_mov_b32 s35, -1
	ds_load_b32 v1, v1 offset:2560
                                        ; implicit-def: $sgpr34
	s_wait_kmcnt 0x0
	s_sub_co_i32 s36, s25, s9
                                        ; implicit-def: $sgpr25
	s_wait_dscnt 0x0
	v_readfirstlane_b32 s31, v1
	v_cmp_ge_i32_e32 vcc_lo, s36, v1
	s_cbranch_vccz .LBB28_31
; %bb.26:                               ;   in Loop: Header=BB28_25 Depth=2
	s_cmp_le_i32 s36, s31
                                        ; implicit-def: $sgpr25
                                        ; implicit-def: $sgpr34
                                        ; implicit-def: $sgpr33
	s_cbranch_scc0 .LBB28_28
; %bb.27:                               ;   in Loop: Header=BB28_25 Depth=2
	s_add_co_i32 s25, s30, s27
	s_lshl_b32 s33, s29, 2
	s_lshl_b32 s25, s25, 6
	;; [unrolled: 1-line block ×3, first 2 shown]
	s_delay_alu instid0(SALU_CYCLE_1)
	v_dual_mov_b32 v1, s25 :: v_dual_mov_b32 v2, s34
	v_add_nc_u32_e64 v3, 0x800, s33
	s_add_co_i32 s33, s30, 1
	s_add_co_i32 s34, s24, 1
	;; [unrolled: 1-line block ×3, first 2 shown]
	s_mov_b32 s35, 0
	ds_store_2addr_b32 v3, v2, v1 offset0:64 offset1:96
.LBB28_28:                              ;   in Loop: Header=BB28_25 Depth=2
	s_and_not1_b32 vcc_lo, exec_lo, s35
	s_cbranch_vccnz .LBB28_30
; %bb.29:                               ;   in Loop: Header=BB28_25 Depth=2
	s_add_co_i32 s33, s30, 1
	s_mov_b32 s25, s29
	s_mov_b32 s34, s24
.LBB28_30:                              ;   in Loop: Header=BB28_25 Depth=2
	s_mov_b32 s35, 0
.LBB28_31:                              ;   in Loop: Header=BB28_25 Depth=2
	s_delay_alu instid0(SALU_CYCLE_1)
	s_and_not1_b32 vcc_lo, exec_lo, s35
	s_cbranch_vccnz .LBB28_33
; %bb.32:                               ;   in Loop: Header=BB28_25 Depth=2
	s_add_co_i32 s34, s24, 1
	s_mov_b32 s33, s30
	s_mov_b32 s25, s29
.LBB28_33:                              ;   in Loop: Header=BB28_25 Depth=2
	s_cmp_le_i32 s34, s23
	s_cselect_b32 s24, -1, 0
	s_cmp_le_i32 s31, s22
	s_cselect_b32 s29, -1, 0
	s_delay_alu instid0(SALU_CYCLE_1) | instskip(NEXT) | instid1(SALU_CYCLE_1)
	s_and_b32 s24, s24, s29
	s_and_b32 vcc_lo, exec_lo, s24
	s_cbranch_vccz .LBB28_35
; %bb.34:                               ;   in Loop: Header=BB28_25 Depth=2
	s_mov_b32 s29, s25
	s_mov_b32 s24, s34
	;; [unrolled: 1-line block ×3, first 2 shown]
	s_branch .LBB28_25
.LBB28_35:                              ;   in Loop: Header=BB28_22 Depth=1
	v_ashrrev_i32_e32 v1, 31, v0
	s_add_nc_u64 s[20:21], s[6:7], s[20:21]
	s_wait_dscnt 0x0
	s_wait_xcnt 0x0
	s_delay_alu instid0(VALU_DEP_1)
	v_lshl_add_u64 v[0:1], v[0:1], 3, s[16:17]
.LBB28_36:                              ;   Parent Loop BB28_22 Depth=1
                                        ; =>  This Inner Loop Header: Depth=2
	global_load_b32 v2, v24, s[20:21] scope:SCOPE_DEV
	s_wait_loadcnt 0x0
	v_cmp_eq_u32_e32 vcc_lo, 0, v2
	s_cbranch_vccnz .LBB28_36
; %bb.37:                               ;   in Loop: Header=BB28_22 Depth=1
	v_lshl_add_u32 v2, s23, 6, v23
	global_inv scope:SCOPE_DEV
	v_mov_b64_e32 v[6:7], 0
	s_cmp_lt_i32 s25, 2
	global_load_b64 v[2:3], v2, s[16:17] scale_offset
	s_wait_loadcnt 0x0
	ds_store_b64 v20, v[2:3]
	s_wait_dscnt 0x0
	s_cbranch_scc1 .LBB28_45
; %bb.38:                               ;   in Loop: Header=BB28_22 Depth=1
	v_mov_b64_e32 v[2:3], 0
	s_add_co_i32 s20, s25, -1
	s_movk_i32 s21, 0x900
.LBB28_39:                              ;   Parent Loop BB28_22 Depth=1
                                        ; =>  This Inner Loop Header: Depth=2
	s_wait_dscnt 0x0
	v_mov_b32_e32 v4, s21
	s_and_b32 vcc_lo, exec_lo, s28
	s_mov_b32 s22, -1
                                        ; implicit-def: $vgpr6_vgpr7
	ds_load_2addr_b32 v[4:5], v4 offset1:32
	s_cbranch_vccz .LBB28_42
; %bb.40:                               ;   in Loop: Header=BB28_39 Depth=2
	s_wait_dscnt 0x0
	v_dual_add_nc_u32 v25, v4, v8 :: v_dual_add_nc_u32 v52, v5, v9
	s_clause 0x1
	global_load_b64 v[6:7], v25, s[16:17] scale_offset
	global_load_b64 v[26:27], v52, s[16:17] scale_offset
	v_dual_add_nc_u32 v32, 8, v25 :: v_dual_add_nc_u32 v33, 8, v52
	v_dual_add_nc_u32 v36, 16, v25 :: v_dual_add_nc_u32 v37, 16, v52
	s_clause 0x3
	global_load_b64 v[28:29], v32, s[16:17] scale_offset
	global_load_b64 v[30:31], v33, s[16:17] scale_offset
	;; [unrolled: 1-line block ×4, first 2 shown]
	v_dual_add_nc_u32 v40, 24, v25 :: v_dual_add_nc_u32 v41, 24, v52
	s_clause 0x1
	global_load_b64 v[36:37], v40, s[16:17] scale_offset
	global_load_b64 v[38:39], v41, s[16:17] scale_offset
	v_dual_add_nc_u32 v44, 32, v25 :: v_dual_add_nc_u32 v45, 32, v52
	s_clause 0x1
	global_load_b64 v[40:41], v44, s[16:17] scale_offset
	global_load_b64 v[42:43], v45, s[16:17] scale_offset
	;; [unrolled: 4-line block ×5, first 2 shown]
	s_wait_loadcnt 0xe
	v_fma_f64 v[6:7], v[6:7], v[26:27], v[2:3]
	s_wait_loadcnt 0xc
	s_delay_alu instid0(VALU_DEP_1) | instskip(SKIP_1) | instid1(VALU_DEP_1)
	v_fmac_f64_e32 v[6:7], v[28:29], v[30:31]
	s_wait_loadcnt 0xa
	v_fmac_f64_e32 v[6:7], v[32:33], v[34:35]
	s_wait_loadcnt 0x8
	s_delay_alu instid0(VALU_DEP_1) | instskip(SKIP_1) | instid1(VALU_DEP_1)
	v_fmac_f64_e32 v[6:7], v[36:37], v[38:39]
	s_wait_loadcnt 0x6
	v_fmac_f64_e32 v[6:7], v[40:41], v[42:43]
	s_wait_loadcnt 0x4
	s_delay_alu instid0(VALU_DEP_1) | instskip(SKIP_1) | instid1(VALU_DEP_1)
	v_fmac_f64_e32 v[6:7], v[44:45], v[46:47]
	s_wait_loadcnt 0x2
	v_fmac_f64_e32 v[6:7], v[48:49], v[50:51]
	s_wait_loadcnt 0x0
	s_delay_alu instid0(VALU_DEP_1)
	v_fmac_f64_e32 v[6:7], v[52:53], v[54:55]
	s_cbranch_execz .LBB28_43
.LBB28_41:                              ;   in Loop: Header=BB28_39 Depth=2
	s_add_co_i32 s20, s20, -1
	s_add_co_i32 s21, s21, 4
	s_cmp_eq_u32 s20, 0
	s_cbranch_scc0 .LBB28_44
	s_branch .LBB28_45
.LBB28_42:                              ;   in Loop: Header=BB28_39 Depth=2
	s_and_not1_b32 vcc_lo, exec_lo, s22
	s_cbranch_vccnz .LBB28_41
.LBB28_43:                              ;   in Loop: Header=BB28_39 Depth=2
	s_wait_dscnt 0x0
	v_dual_add_nc_u32 v6, v5, v14 :: v_dual_add_nc_u32 v4, v4, v16
	s_delay_alu instid0(VALU_DEP_1) | instskip(NEXT) | instid1(VALU_DEP_1)
	v_dual_ashrrev_i32 v7, 31, v6 :: v_dual_ashrrev_i32 v5, 31, v4
	v_lshl_add_u64 v[54:55], v[6:7], 3, s[16:17]
	s_delay_alu instid0(VALU_DEP_2)
	v_lshl_add_u64 v[56:57], v[4:5], 3, s[16:17]
	s_clause 0x7
	global_load_b128 v[4:7], v[54:55], off
	global_load_b128 v[26:29], v[56:57], off
	global_load_b128 v[30:33], v[56:57], off offset:16
	global_load_b128 v[34:37], v[54:55], off offset:16
	;; [unrolled: 1-line block ×6, first 2 shown]
	s_wait_loadcnt 0x6
	v_fmac_f64_e32 v[2:3], v[26:27], v[4:5]
	s_delay_alu instid0(VALU_DEP_1) | instskip(SKIP_1) | instid1(VALU_DEP_1)
	v_fmac_f64_e32 v[2:3], v[28:29], v[6:7]
	s_wait_loadcnt 0x4
	v_fmac_f64_e32 v[2:3], v[30:31], v[34:35]
	s_delay_alu instid0(VALU_DEP_1) | instskip(SKIP_1) | instid1(VALU_DEP_1)
	v_fmac_f64_e32 v[2:3], v[32:33], v[36:37]
	;; [unrolled: 4-line block ×3, first 2 shown]
	s_wait_loadcnt 0x0
	v_fmac_f64_e32 v[2:3], v[46:47], v[50:51]
	s_delay_alu instid0(VALU_DEP_1) | instskip(NEXT) | instid1(VALU_DEP_1)
	v_fmac_f64_e32 v[2:3], v[48:49], v[52:53]
	v_mov_b64_e32 v[6:7], v[2:3]
	s_add_co_i32 s20, s20, -1
	s_add_co_i32 s21, s21, 4
	s_cmp_eq_u32 s20, 0
	s_cbranch_scc1 .LBB28_45
.LBB28_44:                              ;   in Loop: Header=BB28_39 Depth=2
	s_delay_alu instid0(VALU_DEP_1)
	v_mov_b64_e32 v[2:3], v[6:7]
	s_branch .LBB28_39
.LBB28_45:                              ;   in Loop: Header=BB28_22 Depth=1
	ds_store_b64 v21, v[6:7]
	s_wait_dscnt 0x0
	ds_load_b64 v[4:5], v24
	ds_load_b64 v[2:3], v17
	s_wait_dscnt 0x1
	v_cmp_neq_f64_e32 vcc_lo, 0, v[4:5]
	v_cndmask_b32_e32 v5, 0x3ff00000, v5, vcc_lo
	v_cndmask_b32_e32 v4, 0, v4, vcc_lo
	s_nor_b32 s21, vcc_lo, s0
	s_delay_alu instid0(SALU_CYCLE_1)
	s_and_saveexec_b32 s20, s21
	s_cbranch_execz .LBB28_49
; %bb.46:                               ;   in Loop: Header=BB28_22 Depth=1
	v_mbcnt_lo_u32_b32 v4, exec_lo, 0
	s_mov_b32 s21, exec_lo
	s_delay_alu instid0(VALU_DEP_1)
	v_cmpx_eq_u32_e32 0, v4
	s_cbranch_execz .LBB28_48
; %bb.47:                               ;   in Loop: Header=BB28_22 Depth=1
	v_mov_b32_e32 v4, s19
	global_atomic_min_i32 v24, v4, s[10:11] scope:SCOPE_DEV
.LBB28_48:                              ;   in Loop: Header=BB28_22 Depth=1
	s_wait_xcnt 0x0
	s_or_b32 exec_lo, exec_lo, s21
	v_mov_b64_e32 v[4:5], 1.0
.LBB28_49:                              ;   in Loop: Header=BB28_22 Depth=1
	s_or_b32 exec_lo, exec_lo, s20
	ds_load_b64 v[6:7], v18
	s_wait_dscnt 0x0
	v_add_f64_e64 v[2:3], v[2:3], -v[6:7]
	s_delay_alu instid0(VALU_DEP_1) | instskip(SKIP_1) | instid1(VALU_DEP_2)
	v_div_scale_f64 v[6:7], null, v[4:5], v[4:5], v[2:3]
	v_div_scale_f64 v[30:31], vcc_lo, v[2:3], v[4:5], v[2:3]
	v_rcp_f64_e32 v[26:27], v[6:7]
	v_nop
	s_delay_alu instid0(TRANS32_DEP_1) | instskip(NEXT) | instid1(VALU_DEP_1)
	v_fma_f64 v[28:29], -v[6:7], v[26:27], 1.0
	v_fmac_f64_e32 v[26:27], v[26:27], v[28:29]
	s_delay_alu instid0(VALU_DEP_1) | instskip(NEXT) | instid1(VALU_DEP_1)
	v_fma_f64 v[28:29], -v[6:7], v[26:27], 1.0
	v_fmac_f64_e32 v[26:27], v[26:27], v[28:29]
	s_delay_alu instid0(VALU_DEP_1) | instskip(NEXT) | instid1(VALU_DEP_1)
	v_mul_f64_e32 v[28:29], v[30:31], v[26:27]
	v_fma_f64 v[6:7], -v[6:7], v[28:29], v[30:31]
	s_delay_alu instid0(VALU_DEP_1) | instskip(NEXT) | instid1(VALU_DEP_1)
	v_div_fmas_f64 v[6:7], v[6:7], v[26:27], v[28:29]
	v_div_fixup_f64 v[2:3], v[6:7], v[4:5], v[2:3]
	ds_store_b64 v17, v[2:3]
	s_wait_storecnt_dscnt 0x0
	ds_load_b64 v[4:5], v22
	ds_load_b64 v[6:7], v10
	s_wait_dscnt 0x0
	v_fmac_f64_e32 v[6:7], v[2:3], v[4:5]
	ds_store_b64 v10, v[6:7]
	s_wait_dscnt 0x0
	ds_load_b64 v[4:5], v24 offset:80
	ds_load_b64 v[2:3], v17 offset:8
	s_wait_dscnt 0x1
	v_cmp_neq_f64_e32 vcc_lo, 0, v[4:5]
	v_cndmask_b32_e32 v5, 0x3ff00000, v5, vcc_lo
	v_cndmask_b32_e32 v4, 0, v4, vcc_lo
	s_nor_b32 s21, vcc_lo, s0
	s_delay_alu instid0(SALU_CYCLE_1)
	s_and_saveexec_b32 s20, s21
	s_cbranch_execz .LBB28_53
; %bb.50:                               ;   in Loop: Header=BB28_22 Depth=1
	v_mbcnt_lo_u32_b32 v4, exec_lo, 0
	s_mov_b32 s21, exec_lo
	s_delay_alu instid0(VALU_DEP_1)
	v_cmpx_eq_u32_e32 0, v4
	s_cbranch_execz .LBB28_52
; %bb.51:                               ;   in Loop: Header=BB28_22 Depth=1
	v_mov_b32_e32 v4, s19
	global_atomic_min_i32 v24, v4, s[10:11] scope:SCOPE_DEV
.LBB28_52:                              ;   in Loop: Header=BB28_22 Depth=1
	s_wait_xcnt 0x0
	s_or_b32 exec_lo, exec_lo, s21
	v_mov_b64_e32 v[4:5], 1.0
.LBB28_53:                              ;   in Loop: Header=BB28_22 Depth=1
	s_or_b32 exec_lo, exec_lo, s20
	ds_load_b64 v[6:7], v24 offset:72
	ds_load_b64 v[26:27], v17
	ds_load_b64 v[28:29], v18 offset:8
	s_wait_dscnt 0x0
	v_fmac_f64_e32 v[28:29], v[6:7], v[26:27]
	s_delay_alu instid0(VALU_DEP_1) | instskip(NEXT) | instid1(VALU_DEP_1)
	v_add_f64_e64 v[2:3], v[2:3], -v[28:29]
	v_div_scale_f64 v[6:7], null, v[4:5], v[4:5], v[2:3]
	v_div_scale_f64 v[30:31], vcc_lo, v[2:3], v[4:5], v[2:3]
	s_delay_alu instid0(VALU_DEP_2) | instskip(SKIP_1) | instid1(TRANS32_DEP_1)
	v_rcp_f64_e32 v[26:27], v[6:7]
	v_nop
	v_fma_f64 v[28:29], -v[6:7], v[26:27], 1.0
	s_delay_alu instid0(VALU_DEP_1) | instskip(NEXT) | instid1(VALU_DEP_1)
	v_fmac_f64_e32 v[26:27], v[26:27], v[28:29]
	v_fma_f64 v[28:29], -v[6:7], v[26:27], 1.0
	s_delay_alu instid0(VALU_DEP_1) | instskip(NEXT) | instid1(VALU_DEP_1)
	v_fmac_f64_e32 v[26:27], v[26:27], v[28:29]
	v_mul_f64_e32 v[28:29], v[30:31], v[26:27]
	s_delay_alu instid0(VALU_DEP_1) | instskip(NEXT) | instid1(VALU_DEP_1)
	v_fma_f64 v[6:7], -v[6:7], v[28:29], v[30:31]
	v_div_fmas_f64 v[6:7], v[6:7], v[26:27], v[28:29]
	s_delay_alu instid0(VALU_DEP_1)
	v_div_fixup_f64 v[2:3], v[6:7], v[4:5], v[2:3]
	ds_store_b64 v17, v[2:3] offset:8
	s_wait_storecnt_dscnt 0x0
	ds_load_b64 v[4:5], v22 offset:8
	ds_load_b64 v[6:7], v10
	s_wait_dscnt 0x0
	v_fmac_f64_e32 v[6:7], v[2:3], v[4:5]
	ds_store_b64 v10, v[6:7]
	s_wait_dscnt 0x0
	ds_load_b64 v[4:5], v24 offset:160
	ds_load_b64 v[2:3], v17 offset:16
	s_wait_dscnt 0x1
	v_cmp_neq_f64_e32 vcc_lo, 0, v[4:5]
	v_cndmask_b32_e32 v5, 0x3ff00000, v5, vcc_lo
	v_cndmask_b32_e32 v4, 0, v4, vcc_lo
	s_nor_b32 s21, vcc_lo, s0
	s_delay_alu instid0(SALU_CYCLE_1)
	s_and_saveexec_b32 s20, s21
	s_cbranch_execz .LBB28_57
; %bb.54:                               ;   in Loop: Header=BB28_22 Depth=1
	v_mbcnt_lo_u32_b32 v4, exec_lo, 0
	s_mov_b32 s21, exec_lo
	s_delay_alu instid0(VALU_DEP_1)
	v_cmpx_eq_u32_e32 0, v4
	s_cbranch_execz .LBB28_56
; %bb.55:                               ;   in Loop: Header=BB28_22 Depth=1
	v_mov_b32_e32 v4, s19
	global_atomic_min_i32 v24, v4, s[10:11] scope:SCOPE_DEV
.LBB28_56:                              ;   in Loop: Header=BB28_22 Depth=1
	s_wait_xcnt 0x0
	s_or_b32 exec_lo, exec_lo, s21
	v_mov_b64_e32 v[4:5], 1.0
.LBB28_57:                              ;   in Loop: Header=BB28_22 Depth=1
	s_or_b32 exec_lo, exec_lo, s20
	ds_load_b128 v[26:29], v24 offset:144
	ds_load_2addr_b64 v[30:33], v17 offset1:1
	ds_load_b64 v[6:7], v18 offset:16
	s_wait_dscnt 0x0
	v_fmac_f64_e32 v[6:7], v[26:27], v[30:31]
	s_delay_alu instid0(VALU_DEP_1) | instskip(NEXT) | instid1(VALU_DEP_1)
	v_fmac_f64_e32 v[6:7], v[28:29], v[32:33]
	v_add_f64_e64 v[2:3], v[2:3], -v[6:7]
	s_delay_alu instid0(VALU_DEP_1) | instskip(SKIP_1) | instid1(VALU_DEP_2)
	v_div_scale_f64 v[6:7], null, v[4:5], v[4:5], v[2:3]
	v_div_scale_f64 v[30:31], vcc_lo, v[2:3], v[4:5], v[2:3]
	v_rcp_f64_e32 v[26:27], v[6:7]
	v_nop
	s_delay_alu instid0(TRANS32_DEP_1) | instskip(NEXT) | instid1(VALU_DEP_1)
	v_fma_f64 v[28:29], -v[6:7], v[26:27], 1.0
	v_fmac_f64_e32 v[26:27], v[26:27], v[28:29]
	s_delay_alu instid0(VALU_DEP_1) | instskip(NEXT) | instid1(VALU_DEP_1)
	v_fma_f64 v[28:29], -v[6:7], v[26:27], 1.0
	v_fmac_f64_e32 v[26:27], v[26:27], v[28:29]
	s_delay_alu instid0(VALU_DEP_1) | instskip(NEXT) | instid1(VALU_DEP_1)
	v_mul_f64_e32 v[28:29], v[30:31], v[26:27]
	v_fma_f64 v[6:7], -v[6:7], v[28:29], v[30:31]
	s_delay_alu instid0(VALU_DEP_1) | instskip(NEXT) | instid1(VALU_DEP_1)
	v_div_fmas_f64 v[6:7], v[6:7], v[26:27], v[28:29]
	v_div_fixup_f64 v[2:3], v[6:7], v[4:5], v[2:3]
	ds_store_b64 v17, v[2:3] offset:16
	s_wait_storecnt_dscnt 0x0
	ds_load_b64 v[4:5], v22 offset:16
	ds_load_b64 v[6:7], v10
	s_wait_dscnt 0x0
	v_fmac_f64_e32 v[6:7], v[2:3], v[4:5]
	ds_store_b64 v10, v[6:7]
	s_wait_dscnt 0x0
	ds_load_b64 v[4:5], v24 offset:240
	ds_load_b64 v[2:3], v17 offset:24
	s_wait_dscnt 0x1
	v_cmp_neq_f64_e32 vcc_lo, 0, v[4:5]
	v_cndmask_b32_e32 v5, 0x3ff00000, v5, vcc_lo
	v_cndmask_b32_e32 v4, 0, v4, vcc_lo
	s_nor_b32 s21, vcc_lo, s0
	s_delay_alu instid0(SALU_CYCLE_1)
	s_and_saveexec_b32 s20, s21
	s_cbranch_execz .LBB28_61
; %bb.58:                               ;   in Loop: Header=BB28_22 Depth=1
	v_mbcnt_lo_u32_b32 v4, exec_lo, 0
	s_mov_b32 s21, exec_lo
	s_delay_alu instid0(VALU_DEP_1)
	v_cmpx_eq_u32_e32 0, v4
	s_cbranch_execz .LBB28_60
; %bb.59:                               ;   in Loop: Header=BB28_22 Depth=1
	v_mov_b32_e32 v4, s19
	global_atomic_min_i32 v24, v4, s[10:11] scope:SCOPE_DEV
.LBB28_60:                              ;   in Loop: Header=BB28_22 Depth=1
	s_wait_xcnt 0x0
	s_or_b32 exec_lo, exec_lo, s21
	v_mov_b64_e32 v[4:5], 1.0
.LBB28_61:                              ;   in Loop: Header=BB28_22 Depth=1
	s_or_b32 exec_lo, exec_lo, s20
	ds_load_2addr_b64 v[26:29], v17 offset1:1
	ds_load_2addr_b64 v[30:33], v24 offset0:27 offset1:28
	ds_load_b64 v[6:7], v18 offset:24
	s_wait_dscnt 0x0
	v_fmac_f64_e32 v[6:7], v[30:31], v[26:27]
	s_delay_alu instid0(VALU_DEP_1) | instskip(SKIP_4) | instid1(VALU_DEP_1)
	v_fmac_f64_e32 v[6:7], v[32:33], v[28:29]
	ds_load_b64 v[26:27], v17 offset:16
	ds_load_b64 v[28:29], v24 offset:232
	s_wait_dscnt 0x0
	v_fmac_f64_e32 v[6:7], v[28:29], v[26:27]
	v_add_f64_e64 v[2:3], v[2:3], -v[6:7]
	s_delay_alu instid0(VALU_DEP_1) | instskip(SKIP_1) | instid1(VALU_DEP_2)
	v_div_scale_f64 v[6:7], null, v[4:5], v[4:5], v[2:3]
	v_div_scale_f64 v[30:31], vcc_lo, v[2:3], v[4:5], v[2:3]
	v_rcp_f64_e32 v[26:27], v[6:7]
	v_nop
	s_delay_alu instid0(TRANS32_DEP_1) | instskip(NEXT) | instid1(VALU_DEP_1)
	v_fma_f64 v[28:29], -v[6:7], v[26:27], 1.0
	v_fmac_f64_e32 v[26:27], v[26:27], v[28:29]
	s_delay_alu instid0(VALU_DEP_1) | instskip(NEXT) | instid1(VALU_DEP_1)
	v_fma_f64 v[28:29], -v[6:7], v[26:27], 1.0
	v_fmac_f64_e32 v[26:27], v[26:27], v[28:29]
	s_delay_alu instid0(VALU_DEP_1) | instskip(NEXT) | instid1(VALU_DEP_1)
	v_mul_f64_e32 v[28:29], v[30:31], v[26:27]
	v_fma_f64 v[6:7], -v[6:7], v[28:29], v[30:31]
	s_delay_alu instid0(VALU_DEP_1) | instskip(NEXT) | instid1(VALU_DEP_1)
	v_div_fmas_f64 v[6:7], v[6:7], v[26:27], v[28:29]
	v_div_fixup_f64 v[2:3], v[6:7], v[4:5], v[2:3]
	ds_store_b64 v17, v[2:3] offset:24
	s_wait_storecnt_dscnt 0x0
	ds_load_b64 v[4:5], v22 offset:24
	ds_load_b64 v[6:7], v10
	s_wait_dscnt 0x0
	v_fmac_f64_e32 v[6:7], v[2:3], v[4:5]
	ds_store_b64 v10, v[6:7]
	s_wait_dscnt 0x0
	ds_load_b64 v[4:5], v24 offset:320
	ds_load_b64 v[2:3], v17 offset:32
	s_wait_dscnt 0x1
	v_cmp_neq_f64_e32 vcc_lo, 0, v[4:5]
	v_cndmask_b32_e32 v5, 0x3ff00000, v5, vcc_lo
	v_cndmask_b32_e32 v4, 0, v4, vcc_lo
	s_nor_b32 s21, vcc_lo, s0
	s_delay_alu instid0(SALU_CYCLE_1)
	s_and_saveexec_b32 s20, s21
	s_cbranch_execz .LBB28_65
; %bb.62:                               ;   in Loop: Header=BB28_22 Depth=1
	v_mbcnt_lo_u32_b32 v4, exec_lo, 0
	s_mov_b32 s21, exec_lo
	s_delay_alu instid0(VALU_DEP_1)
	v_cmpx_eq_u32_e32 0, v4
	s_cbranch_execz .LBB28_64
; %bb.63:                               ;   in Loop: Header=BB28_22 Depth=1
	v_mov_b32_e32 v4, s19
	global_atomic_min_i32 v24, v4, s[10:11] scope:SCOPE_DEV
.LBB28_64:                              ;   in Loop: Header=BB28_22 Depth=1
	s_wait_xcnt 0x0
	s_or_b32 exec_lo, exec_lo, s21
	v_mov_b64_e32 v[4:5], 1.0
.LBB28_65:                              ;   in Loop: Header=BB28_22 Depth=1
	s_or_b32 exec_lo, exec_lo, s20
	ds_load_2addr_b64 v[26:29], v17 offset1:1
	ds_load_b128 v[30:33], v24 offset:288
	ds_load_b64 v[6:7], v18 offset:32
	s_wait_dscnt 0x0
	v_fmac_f64_e32 v[6:7], v[30:31], v[26:27]
	s_delay_alu instid0(VALU_DEP_1) | instskip(SKIP_4) | instid1(VALU_DEP_1)
	v_fmac_f64_e32 v[6:7], v[32:33], v[28:29]
	ds_load_2addr_b64 v[26:29], v17 offset0:2 offset1:3
	ds_load_b128 v[30:33], v24 offset:304
	s_wait_dscnt 0x0
	v_fmac_f64_e32 v[6:7], v[30:31], v[26:27]
	v_fmac_f64_e32 v[6:7], v[32:33], v[28:29]
	s_delay_alu instid0(VALU_DEP_1) | instskip(NEXT) | instid1(VALU_DEP_1)
	v_add_f64_e64 v[2:3], v[2:3], -v[6:7]
	v_div_scale_f64 v[6:7], null, v[4:5], v[4:5], v[2:3]
	v_div_scale_f64 v[30:31], vcc_lo, v[2:3], v[4:5], v[2:3]
	s_delay_alu instid0(VALU_DEP_2) | instskip(SKIP_1) | instid1(TRANS32_DEP_1)
	v_rcp_f64_e32 v[26:27], v[6:7]
	v_nop
	v_fma_f64 v[28:29], -v[6:7], v[26:27], 1.0
	s_delay_alu instid0(VALU_DEP_1) | instskip(NEXT) | instid1(VALU_DEP_1)
	v_fmac_f64_e32 v[26:27], v[26:27], v[28:29]
	v_fma_f64 v[28:29], -v[6:7], v[26:27], 1.0
	s_delay_alu instid0(VALU_DEP_1) | instskip(NEXT) | instid1(VALU_DEP_1)
	v_fmac_f64_e32 v[26:27], v[26:27], v[28:29]
	v_mul_f64_e32 v[28:29], v[30:31], v[26:27]
	s_delay_alu instid0(VALU_DEP_1) | instskip(NEXT) | instid1(VALU_DEP_1)
	v_fma_f64 v[6:7], -v[6:7], v[28:29], v[30:31]
	v_div_fmas_f64 v[6:7], v[6:7], v[26:27], v[28:29]
	s_delay_alu instid0(VALU_DEP_1)
	v_div_fixup_f64 v[2:3], v[6:7], v[4:5], v[2:3]
	ds_store_b64 v17, v[2:3] offset:32
	s_wait_storecnt_dscnt 0x0
	ds_load_b64 v[4:5], v22 offset:32
	ds_load_b64 v[6:7], v10
	s_wait_dscnt 0x0
	v_fmac_f64_e32 v[6:7], v[2:3], v[4:5]
	ds_store_b64 v10, v[6:7]
	s_wait_dscnt 0x0
	ds_load_b64 v[4:5], v24 offset:400
	ds_load_b64 v[2:3], v17 offset:40
	s_wait_dscnt 0x1
	v_cmp_neq_f64_e32 vcc_lo, 0, v[4:5]
	v_cndmask_b32_e32 v5, 0x3ff00000, v5, vcc_lo
	v_cndmask_b32_e32 v4, 0, v4, vcc_lo
	s_nor_b32 s21, vcc_lo, s0
	s_delay_alu instid0(SALU_CYCLE_1)
	s_and_saveexec_b32 s20, s21
	s_cbranch_execz .LBB28_69
; %bb.66:                               ;   in Loop: Header=BB28_22 Depth=1
	v_mbcnt_lo_u32_b32 v4, exec_lo, 0
	s_mov_b32 s21, exec_lo
	s_delay_alu instid0(VALU_DEP_1)
	v_cmpx_eq_u32_e32 0, v4
	s_cbranch_execz .LBB28_68
; %bb.67:                               ;   in Loop: Header=BB28_22 Depth=1
	v_mov_b32_e32 v4, s19
	global_atomic_min_i32 v24, v4, s[10:11] scope:SCOPE_DEV
.LBB28_68:                              ;   in Loop: Header=BB28_22 Depth=1
	s_wait_xcnt 0x0
	s_or_b32 exec_lo, exec_lo, s21
	v_mov_b64_e32 v[4:5], 1.0
.LBB28_69:                              ;   in Loop: Header=BB28_22 Depth=1
	s_or_b32 exec_lo, exec_lo, s20
	ds_load_2addr_b64 v[26:29], v24 offset0:45 offset1:46
	ds_load_2addr_b64 v[30:33], v17 offset1:1
	ds_load_b64 v[6:7], v18 offset:40
	s_wait_dscnt 0x0
	v_fmac_f64_e32 v[6:7], v[26:27], v[30:31]
	s_delay_alu instid0(VALU_DEP_1) | instskip(SKIP_4) | instid1(VALU_DEP_1)
	v_fmac_f64_e32 v[6:7], v[28:29], v[32:33]
	ds_load_2addr_b64 v[26:29], v24 offset0:47 offset1:48
	ds_load_2addr_b64 v[30:33], v17 offset0:2 offset1:3
	s_wait_dscnt 0x0
	v_fmac_f64_e32 v[6:7], v[26:27], v[30:31]
	v_fmac_f64_e32 v[6:7], v[28:29], v[32:33]
	ds_load_b64 v[26:27], v17 offset:32
	ds_load_b64 v[28:29], v24 offset:392
	s_wait_dscnt 0x0
	v_fmac_f64_e32 v[6:7], v[28:29], v[26:27]
	s_delay_alu instid0(VALU_DEP_1) | instskip(NEXT) | instid1(VALU_DEP_1)
	v_add_f64_e64 v[2:3], v[2:3], -v[6:7]
	v_div_scale_f64 v[6:7], null, v[4:5], v[4:5], v[2:3]
	v_div_scale_f64 v[30:31], vcc_lo, v[2:3], v[4:5], v[2:3]
	s_delay_alu instid0(VALU_DEP_2) | instskip(SKIP_1) | instid1(TRANS32_DEP_1)
	v_rcp_f64_e32 v[26:27], v[6:7]
	v_nop
	v_fma_f64 v[28:29], -v[6:7], v[26:27], 1.0
	s_delay_alu instid0(VALU_DEP_1) | instskip(NEXT) | instid1(VALU_DEP_1)
	v_fmac_f64_e32 v[26:27], v[26:27], v[28:29]
	v_fma_f64 v[28:29], -v[6:7], v[26:27], 1.0
	s_delay_alu instid0(VALU_DEP_1) | instskip(NEXT) | instid1(VALU_DEP_1)
	v_fmac_f64_e32 v[26:27], v[26:27], v[28:29]
	v_mul_f64_e32 v[28:29], v[30:31], v[26:27]
	s_delay_alu instid0(VALU_DEP_1) | instskip(NEXT) | instid1(VALU_DEP_1)
	v_fma_f64 v[6:7], -v[6:7], v[28:29], v[30:31]
	v_div_fmas_f64 v[6:7], v[6:7], v[26:27], v[28:29]
	s_delay_alu instid0(VALU_DEP_1)
	v_div_fixup_f64 v[2:3], v[6:7], v[4:5], v[2:3]
	ds_store_b64 v17, v[2:3] offset:40
	s_wait_storecnt_dscnt 0x0
	ds_load_b64 v[4:5], v22 offset:40
	ds_load_b64 v[6:7], v10
	s_wait_dscnt 0x0
	v_fmac_f64_e32 v[6:7], v[2:3], v[4:5]
	ds_store_b64 v10, v[6:7]
	s_wait_dscnt 0x0
	ds_load_b64 v[4:5], v24 offset:480
	ds_load_b64 v[2:3], v17 offset:48
	s_wait_dscnt 0x1
	v_cmp_neq_f64_e32 vcc_lo, 0, v[4:5]
	v_cndmask_b32_e32 v5, 0x3ff00000, v5, vcc_lo
	v_cndmask_b32_e32 v4, 0, v4, vcc_lo
	s_nor_b32 s21, vcc_lo, s0
	s_delay_alu instid0(SALU_CYCLE_1)
	s_and_saveexec_b32 s20, s21
	s_cbranch_execz .LBB28_73
; %bb.70:                               ;   in Loop: Header=BB28_22 Depth=1
	v_mbcnt_lo_u32_b32 v4, exec_lo, 0
	s_mov_b32 s21, exec_lo
	s_delay_alu instid0(VALU_DEP_1)
	v_cmpx_eq_u32_e32 0, v4
	s_cbranch_execz .LBB28_72
; %bb.71:                               ;   in Loop: Header=BB28_22 Depth=1
	v_mov_b32_e32 v4, s19
	global_atomic_min_i32 v24, v4, s[10:11] scope:SCOPE_DEV
.LBB28_72:                              ;   in Loop: Header=BB28_22 Depth=1
	s_wait_xcnt 0x0
	s_or_b32 exec_lo, exec_lo, s21
	v_mov_b64_e32 v[4:5], 1.0
.LBB28_73:                              ;   in Loop: Header=BB28_22 Depth=1
	s_or_b32 exec_lo, exec_lo, s20
	ds_load_2addr_b64 v[26:29], v17 offset1:1
	ds_load_b64 v[6:7], v18 offset:48
	ds_load_b128 v[30:33], v24 offset:432
	ds_load_b128 v[34:37], v24 offset:448
	s_wait_dscnt 0x1
	v_fmac_f64_e32 v[6:7], v[30:31], v[26:27]
	s_delay_alu instid0(VALU_DEP_1) | instskip(SKIP_3) | instid1(VALU_DEP_1)
	v_fmac_f64_e32 v[6:7], v[32:33], v[28:29]
	ds_load_2addr_b64 v[26:29], v17 offset0:2 offset1:3
	s_wait_dscnt 0x0
	v_fmac_f64_e32 v[6:7], v[34:35], v[26:27]
	v_fmac_f64_e32 v[6:7], v[36:37], v[28:29]
	ds_load_2addr_b64 v[26:29], v17 offset0:4 offset1:5
	ds_load_b128 v[30:33], v24 offset:464
	s_wait_dscnt 0x0
	v_fmac_f64_e32 v[6:7], v[30:31], v[26:27]
	s_delay_alu instid0(VALU_DEP_1) | instskip(NEXT) | instid1(VALU_DEP_1)
	v_fmac_f64_e32 v[6:7], v[32:33], v[28:29]
	v_add_f64_e64 v[2:3], v[2:3], -v[6:7]
	s_delay_alu instid0(VALU_DEP_1) | instskip(SKIP_1) | instid1(VALU_DEP_2)
	v_div_scale_f64 v[6:7], null, v[4:5], v[4:5], v[2:3]
	v_div_scale_f64 v[30:31], vcc_lo, v[2:3], v[4:5], v[2:3]
	v_rcp_f64_e32 v[26:27], v[6:7]
	v_nop
	s_delay_alu instid0(TRANS32_DEP_1) | instskip(NEXT) | instid1(VALU_DEP_1)
	v_fma_f64 v[28:29], -v[6:7], v[26:27], 1.0
	v_fmac_f64_e32 v[26:27], v[26:27], v[28:29]
	s_delay_alu instid0(VALU_DEP_1) | instskip(NEXT) | instid1(VALU_DEP_1)
	v_fma_f64 v[28:29], -v[6:7], v[26:27], 1.0
	v_fmac_f64_e32 v[26:27], v[26:27], v[28:29]
	s_delay_alu instid0(VALU_DEP_1) | instskip(NEXT) | instid1(VALU_DEP_1)
	v_mul_f64_e32 v[28:29], v[30:31], v[26:27]
	v_fma_f64 v[6:7], -v[6:7], v[28:29], v[30:31]
	s_delay_alu instid0(VALU_DEP_1) | instskip(NEXT) | instid1(VALU_DEP_1)
	v_div_fmas_f64 v[6:7], v[6:7], v[26:27], v[28:29]
	v_div_fixup_f64 v[2:3], v[6:7], v[4:5], v[2:3]
	ds_store_b64 v17, v[2:3] offset:48
	s_wait_storecnt_dscnt 0x0
	ds_load_b64 v[4:5], v22 offset:48
	ds_load_b64 v[6:7], v10
	s_wait_dscnt 0x0
	v_fmac_f64_e32 v[6:7], v[2:3], v[4:5]
	ds_store_b64 v10, v[6:7]
	s_wait_dscnt 0x0
	ds_load_b64 v[4:5], v24 offset:560
	ds_load_b64 v[2:3], v17 offset:56
	s_wait_dscnt 0x1
	v_cmp_neq_f64_e32 vcc_lo, 0, v[4:5]
	v_cndmask_b32_e32 v5, 0x3ff00000, v5, vcc_lo
	v_cndmask_b32_e32 v4, 0, v4, vcc_lo
	s_nor_b32 s21, vcc_lo, s0
	s_delay_alu instid0(SALU_CYCLE_1)
	s_and_saveexec_b32 s20, s21
	s_cbranch_execz .LBB28_20
; %bb.74:                               ;   in Loop: Header=BB28_22 Depth=1
	v_mbcnt_lo_u32_b32 v4, exec_lo, 0
	s_mov_b32 s21, exec_lo
	s_delay_alu instid0(VALU_DEP_1)
	v_cmpx_eq_u32_e32 0, v4
	s_cbranch_execz .LBB28_19
; %bb.75:                               ;   in Loop: Header=BB28_22 Depth=1
	v_mov_b32_e32 v4, s19
	global_atomic_min_i32 v24, v4, s[10:11] scope:SCOPE_DEV
	s_branch .LBB28_19
.LBB28_76:
	s_wait_kmcnt 0x0
	s_cmp_eq_u32 s1, 0
	s_movk_i32 s0, 0x48
	s_cselect_b32 vcc_lo, -1, 0
	v_mad_u32_u24 v5, v9, s0, 0x480
	v_cndmask_b32_e32 v0, v15, v13, vcc_lo
	s_mov_b32 s1, exec_lo
	v_cmp_ne_u32_e32 vcc_lo, 0, v9
	s_delay_alu instid0(VALU_DEP_3) | instskip(NEXT) | instid1(VALU_DEP_3)
	v_lshl_add_u32 v4, v8, 3, v5
	v_lshl_add_u32 v0, s26, 6, v0
	global_load_b64 v[2:3], v0, s[16:17] scale_offset
	s_wait_loadcnt 0x0
	ds_store_b64 v4, v[2:3]
	s_wait_dscnt 0x0
	v_cmpx_eq_u32_e32 0, v9
	s_cbranch_execz .LBB28_78
; %bb.77:
	v_mov_b32_e32 v1, 0
	ds_load_2addr_b64 v[14:17], v1 offset0:144 offset1:216
	s_wait_dscnt 0x0
	v_add_f64_e64 v[2:3], v[14:15], -v[16:17]
	s_delay_alu instid0(VALU_DEP_1) | instskip(SKIP_1) | instid1(VALU_DEP_1)
	v_cmp_gt_f64_e64 s0, 0, v[2:3]
	v_xor_b32_e32 v6, 0x80000000, v3
	v_cndmask_b32_e64 v3, v3, v6, s0
	s_delay_alu instid0(VALU_DEP_1) | instskip(SKIP_2) | instid1(SALU_CYCLE_1)
	v_cmp_gt_f64_e64 s0, 0x10000000, v[2:3]
	s_and_b32 s0, s0, exec_lo
	s_cselect_b32 s0, 0x100, 0
	v_ldexp_f64 v[2:3], v[2:3], s0
	s_cselect_b32 s0, 0xffffff80, 0
	s_delay_alu instid0(VALU_DEP_1) | instskip(SKIP_1) | instid1(TRANS32_DEP_1)
	v_rsq_f64_e32 v[6:7], v[2:3]
	v_nop
	v_mul_f64_e32 v[14:15], v[2:3], v[6:7]
	v_mul_f64_e32 v[6:7], 0.5, v[6:7]
	s_delay_alu instid0(VALU_DEP_1) | instskip(NEXT) | instid1(VALU_DEP_1)
	v_fma_f64 v[16:17], -v[6:7], v[14:15], 0.5
	v_fmac_f64_e32 v[14:15], v[14:15], v[16:17]
	v_fmac_f64_e32 v[6:7], v[6:7], v[16:17]
	s_delay_alu instid0(VALU_DEP_2) | instskip(NEXT) | instid1(VALU_DEP_1)
	v_fma_f64 v[16:17], -v[14:15], v[14:15], v[2:3]
	v_fmac_f64_e32 v[14:15], v[16:17], v[6:7]
	s_delay_alu instid0(VALU_DEP_1) | instskip(NEXT) | instid1(VALU_DEP_1)
	v_fma_f64 v[16:17], -v[14:15], v[14:15], v[2:3]
	v_fmac_f64_e32 v[14:15], v[16:17], v[6:7]
	s_delay_alu instid0(VALU_DEP_1) | instskip(SKIP_1) | instid1(VALU_DEP_1)
	v_ldexp_f64 v[6:7], v[14:15], s0
	v_cmp_class_f64_e64 s0, v[2:3], 0x260
	v_dual_cndmask_b32 v3, v7, v3, s0 :: v_dual_cndmask_b32 v2, v6, v2, s0
	ds_store_b64 v1, v[2:3] offset:1152
.LBB28_78:
	s_or_b32 exec_lo, exec_lo, s1
	v_mov_b32_e32 v1, 0
	s_wait_dscnt 0x0
	v_cmp_ne_u32_e64 s0, 0, v12
	s_add_co_i32 s4, s8, s9
	ds_load_b64 v[2:3], v1 offset:1152
	s_wait_dscnt 0x0
	v_cmp_neq_f64_e64 s1, 0, v[2:3]
	s_delay_alu instid0(VALU_DEP_1) | instskip(SKIP_2) | instid1(SALU_CYCLE_1)
	v_cndmask_b32_e64 v3, 0x3ff00000, v3, s1
	v_cndmask_b32_e64 v2, 0, v2, s1
	s_nor_b32 s1, s1, s0
	s_and_saveexec_b32 s5, s1
	s_cbranch_execz .LBB28_82
; %bb.79:
	v_mbcnt_lo_u32_b32 v1, exec_lo, 0
	s_mov_b32 s12, exec_lo
	s_delay_alu instid0(VALU_DEP_1)
	v_cmpx_eq_u32_e32 0, v1
	s_cbranch_execz .LBB28_81
; %bb.80:
	v_dual_mov_b32 v1, 0 :: v_dual_mov_b32 v2, s4
	global_atomic_min_i32 v1, v2, s[10:11] scope:SCOPE_DEV
.LBB28_81:
	s_wait_xcnt 0x0
	s_or_b32 exec_lo, exec_lo, s12
	v_mov_b64_e32 v[2:3], 1.0
.LBB28_82:
	s_or_b32 exec_lo, exec_lo, s5
	s_movk_i32 s1, 0x48
	s_delay_alu instid0(SALU_CYCLE_1)
	v_mad_u32_u24 v6, v8, s1, 0x480
	s_and_saveexec_b32 s1, vcc_lo
	s_cbranch_execz .LBB28_84
; %bb.83:
	ds_load_b64 v[14:15], v5
	ds_load_b64 v[16:17], v11
	s_wait_dscnt 0x0
	v_add_f64_e64 v[14:15], v[14:15], -v[16:17]
	s_delay_alu instid0(VALU_DEP_1) | instskip(SKIP_1) | instid1(VALU_DEP_2)
	v_div_scale_f64 v[16:17], null, v[2:3], v[2:3], v[14:15]
	v_div_scale_f64 v[22:23], vcc_lo, v[14:15], v[2:3], v[14:15]
	v_rcp_f64_e32 v[18:19], v[16:17]
	v_nop
	s_delay_alu instid0(TRANS32_DEP_1) | instskip(NEXT) | instid1(VALU_DEP_1)
	v_fma_f64 v[20:21], -v[16:17], v[18:19], 1.0
	v_fmac_f64_e32 v[18:19], v[18:19], v[20:21]
	s_delay_alu instid0(VALU_DEP_1) | instskip(NEXT) | instid1(VALU_DEP_1)
	v_fma_f64 v[20:21], -v[16:17], v[18:19], 1.0
	v_fmac_f64_e32 v[18:19], v[18:19], v[20:21]
	s_delay_alu instid0(VALU_DEP_1) | instskip(NEXT) | instid1(VALU_DEP_1)
	v_mul_f64_e32 v[20:21], v[22:23], v[18:19]
	v_fma_f64 v[16:17], -v[16:17], v[20:21], v[22:23]
	s_delay_alu instid0(VALU_DEP_1) | instskip(NEXT) | instid1(VALU_DEP_1)
	v_div_fmas_f64 v[16:17], v[16:17], v[18:19], v[20:21]
	v_div_fixup_f64 v[2:3], v[16:17], v[2:3], v[14:15]
	ds_store_b64 v5, v[2:3]
	s_wait_storecnt_dscnt 0x0
	ds_load_b64 v[14:15], v6
	ds_load_b64 v[16:17], v10
	s_wait_dscnt 0x0
	v_fmac_f64_e32 v[16:17], v[2:3], v[14:15]
	ds_store_b64 v10, v[16:17]
.LBB28_84:
	s_or_b32 exec_lo, exec_lo, s1
	s_delay_alu instid0(SALU_CYCLE_1)
	s_mov_b32 s1, exec_lo
	s_wait_storecnt_dscnt 0x0
	v_cmpx_eq_u32_e32 1, v9
	s_cbranch_execz .LBB28_86
; %bb.85:
	v_mov_b32_e32 v1, 0
	ds_load_2addr_b64 v[14:17], v1 offset0:154 offset1:226
	s_wait_dscnt 0x0
	v_add_f64_e64 v[2:3], v[14:15], -v[16:17]
	s_delay_alu instid0(VALU_DEP_1) | instskip(SKIP_1) | instid1(VALU_DEP_1)
	v_cmp_gt_f64_e32 vcc_lo, 0, v[2:3]
	v_xor_b32_e32 v7, 0x80000000, v3
	v_cndmask_b32_e32 v3, v3, v7, vcc_lo
	s_delay_alu instid0(VALU_DEP_1) | instskip(SKIP_2) | instid1(SALU_CYCLE_1)
	v_cmp_gt_f64_e32 vcc_lo, 0x10000000, v[2:3]
	s_and_b32 s5, vcc_lo, exec_lo
	s_cselect_b32 s5, 0x100, 0
	v_ldexp_f64 v[2:3], v[2:3], s5
	s_cselect_b32 s5, 0xffffff80, 0
	s_delay_alu instid0(VALU_DEP_1) | instskip(SKIP_1) | instid1(TRANS32_DEP_1)
	v_rsq_f64_e32 v[14:15], v[2:3]
	v_cmp_class_f64_e64 vcc_lo, v[2:3], 0x260
	v_mul_f64_e32 v[16:17], v[2:3], v[14:15]
	v_mul_f64_e32 v[14:15], 0.5, v[14:15]
	s_delay_alu instid0(VALU_DEP_1) | instskip(NEXT) | instid1(VALU_DEP_1)
	v_fma_f64 v[18:19], -v[14:15], v[16:17], 0.5
	v_fmac_f64_e32 v[16:17], v[16:17], v[18:19]
	v_fmac_f64_e32 v[14:15], v[14:15], v[18:19]
	s_delay_alu instid0(VALU_DEP_2) | instskip(NEXT) | instid1(VALU_DEP_1)
	v_fma_f64 v[18:19], -v[16:17], v[16:17], v[2:3]
	v_fmac_f64_e32 v[16:17], v[18:19], v[14:15]
	s_delay_alu instid0(VALU_DEP_1) | instskip(NEXT) | instid1(VALU_DEP_1)
	v_fma_f64 v[18:19], -v[16:17], v[16:17], v[2:3]
	v_fmac_f64_e32 v[16:17], v[18:19], v[14:15]
	s_delay_alu instid0(VALU_DEP_1) | instskip(NEXT) | instid1(VALU_DEP_1)
	v_ldexp_f64 v[14:15], v[16:17], s5
	v_dual_cndmask_b32 v3, v15, v3 :: v_dual_cndmask_b32 v2, v14, v2
	ds_store_b64 v1, v[2:3] offset:1232
.LBB28_86:
	s_or_b32 exec_lo, exec_lo, s1
	v_mov_b32_e32 v1, 0
	s_wait_dscnt 0x0
	ds_load_b64 v[2:3], v1 offset:1232
	s_wait_dscnt 0x0
	v_cmp_neq_f64_e32 vcc_lo, 0, v[2:3]
	v_cndmask_b32_e32 v3, 0x3ff00000, v3, vcc_lo
	v_cndmask_b32_e32 v2, 0, v2, vcc_lo
	s_nor_b32 s5, vcc_lo, s0
	s_delay_alu instid0(SALU_CYCLE_1)
	s_and_saveexec_b32 s1, s5
	s_cbranch_execz .LBB28_90
; %bb.87:
	v_mbcnt_lo_u32_b32 v1, exec_lo, 0
	s_mov_b32 s5, exec_lo
	s_delay_alu instid0(VALU_DEP_1)
	v_cmpx_eq_u32_e32 0, v1
	s_cbranch_execz .LBB28_89
; %bb.88:
	v_dual_mov_b32 v1, 0 :: v_dual_mov_b32 v2, s4
	global_atomic_min_i32 v1, v2, s[10:11] scope:SCOPE_DEV
.LBB28_89:
	s_wait_xcnt 0x0
	s_or_b32 exec_lo, exec_lo, s5
	v_mov_b64_e32 v[2:3], 1.0
.LBB28_90:
	s_or_b32 exec_lo, exec_lo, s1
	s_delay_alu instid0(SALU_CYCLE_1)
	s_mov_b32 s1, exec_lo
	v_cmpx_lt_u32_e32 1, v9
	s_cbranch_execz .LBB28_92
; %bb.91:
	ds_load_b64 v[14:15], v5 offset:8
	ds_load_b64 v[16:17], v11 offset:8
	s_wait_dscnt 0x0
	v_add_f64_e64 v[14:15], v[14:15], -v[16:17]
	s_delay_alu instid0(VALU_DEP_1) | instskip(SKIP_1) | instid1(VALU_DEP_2)
	v_div_scale_f64 v[16:17], null, v[2:3], v[2:3], v[14:15]
	v_div_scale_f64 v[22:23], vcc_lo, v[14:15], v[2:3], v[14:15]
	v_rcp_f64_e32 v[18:19], v[16:17]
	v_nop
	s_delay_alu instid0(TRANS32_DEP_1) | instskip(NEXT) | instid1(VALU_DEP_1)
	v_fma_f64 v[20:21], -v[16:17], v[18:19], 1.0
	v_fmac_f64_e32 v[18:19], v[18:19], v[20:21]
	s_delay_alu instid0(VALU_DEP_1) | instskip(NEXT) | instid1(VALU_DEP_1)
	v_fma_f64 v[20:21], -v[16:17], v[18:19], 1.0
	v_fmac_f64_e32 v[18:19], v[18:19], v[20:21]
	s_delay_alu instid0(VALU_DEP_1) | instskip(NEXT) | instid1(VALU_DEP_1)
	v_mul_f64_e32 v[20:21], v[22:23], v[18:19]
	v_fma_f64 v[16:17], -v[16:17], v[20:21], v[22:23]
	s_delay_alu instid0(VALU_DEP_1) | instskip(NEXT) | instid1(VALU_DEP_1)
	v_div_fmas_f64 v[16:17], v[16:17], v[18:19], v[20:21]
	v_div_fixup_f64 v[2:3], v[16:17], v[2:3], v[14:15]
	ds_store_b64 v5, v[2:3] offset:8
	s_wait_storecnt_dscnt 0x0
	ds_load_b64 v[14:15], v6 offset:8
	ds_load_b64 v[16:17], v10
	s_wait_dscnt 0x0
	v_fmac_f64_e32 v[16:17], v[2:3], v[14:15]
	ds_store_b64 v10, v[16:17]
.LBB28_92:
	s_or_b32 exec_lo, exec_lo, s1
	s_delay_alu instid0(SALU_CYCLE_1)
	s_mov_b32 s1, exec_lo
	s_wait_storecnt_dscnt 0x0
	v_cmpx_eq_u32_e32 2, v9
	s_cbranch_execz .LBB28_94
; %bb.93:
	v_mov_b32_e32 v1, 0
	ds_load_2addr_b64 v[14:17], v1 offset0:164 offset1:236
	s_wait_dscnt 0x0
	v_add_f64_e64 v[2:3], v[14:15], -v[16:17]
	s_delay_alu instid0(VALU_DEP_1) | instskip(SKIP_1) | instid1(VALU_DEP_1)
	v_cmp_gt_f64_e32 vcc_lo, 0, v[2:3]
	v_xor_b32_e32 v7, 0x80000000, v3
	v_cndmask_b32_e32 v3, v3, v7, vcc_lo
	s_delay_alu instid0(VALU_DEP_1) | instskip(SKIP_2) | instid1(SALU_CYCLE_1)
	v_cmp_gt_f64_e32 vcc_lo, 0x10000000, v[2:3]
	s_and_b32 s5, vcc_lo, exec_lo
	s_cselect_b32 s5, 0x100, 0
	v_ldexp_f64 v[2:3], v[2:3], s5
	s_cselect_b32 s5, 0xffffff80, 0
	s_delay_alu instid0(VALU_DEP_1) | instskip(SKIP_1) | instid1(TRANS32_DEP_1)
	v_rsq_f64_e32 v[14:15], v[2:3]
	v_cmp_class_f64_e64 vcc_lo, v[2:3], 0x260
	v_mul_f64_e32 v[16:17], v[2:3], v[14:15]
	v_mul_f64_e32 v[14:15], 0.5, v[14:15]
	s_delay_alu instid0(VALU_DEP_1) | instskip(NEXT) | instid1(VALU_DEP_1)
	v_fma_f64 v[18:19], -v[14:15], v[16:17], 0.5
	v_fmac_f64_e32 v[16:17], v[16:17], v[18:19]
	v_fmac_f64_e32 v[14:15], v[14:15], v[18:19]
	s_delay_alu instid0(VALU_DEP_2) | instskip(NEXT) | instid1(VALU_DEP_1)
	v_fma_f64 v[18:19], -v[16:17], v[16:17], v[2:3]
	v_fmac_f64_e32 v[16:17], v[18:19], v[14:15]
	s_delay_alu instid0(VALU_DEP_1) | instskip(NEXT) | instid1(VALU_DEP_1)
	v_fma_f64 v[18:19], -v[16:17], v[16:17], v[2:3]
	v_fmac_f64_e32 v[16:17], v[18:19], v[14:15]
	s_delay_alu instid0(VALU_DEP_1) | instskip(NEXT) | instid1(VALU_DEP_1)
	v_ldexp_f64 v[14:15], v[16:17], s5
	v_dual_cndmask_b32 v3, v15, v3 :: v_dual_cndmask_b32 v2, v14, v2
	ds_store_b64 v1, v[2:3] offset:1312
.LBB28_94:
	s_or_b32 exec_lo, exec_lo, s1
	v_mov_b32_e32 v1, 0
	s_wait_dscnt 0x0
	ds_load_b64 v[2:3], v1 offset:1312
	s_wait_dscnt 0x0
	v_cmp_neq_f64_e32 vcc_lo, 0, v[2:3]
	v_cndmask_b32_e32 v3, 0x3ff00000, v3, vcc_lo
	v_cndmask_b32_e32 v2, 0, v2, vcc_lo
	s_nor_b32 s5, vcc_lo, s0
	s_delay_alu instid0(SALU_CYCLE_1)
	s_and_saveexec_b32 s1, s5
	s_cbranch_execz .LBB28_98
; %bb.95:
	v_mbcnt_lo_u32_b32 v1, exec_lo, 0
	s_mov_b32 s5, exec_lo
	s_delay_alu instid0(VALU_DEP_1)
	v_cmpx_eq_u32_e32 0, v1
	s_cbranch_execz .LBB28_97
; %bb.96:
	v_dual_mov_b32 v1, 0 :: v_dual_mov_b32 v2, s4
	global_atomic_min_i32 v1, v2, s[10:11] scope:SCOPE_DEV
.LBB28_97:
	s_wait_xcnt 0x0
	s_or_b32 exec_lo, exec_lo, s5
	v_mov_b64_e32 v[2:3], 1.0
.LBB28_98:
	s_or_b32 exec_lo, exec_lo, s1
	s_delay_alu instid0(SALU_CYCLE_1)
	s_mov_b32 s1, exec_lo
	v_cmpx_lt_u32_e32 2, v9
	s_cbranch_execz .LBB28_100
; %bb.99:
	ds_load_b64 v[14:15], v5 offset:16
	ds_load_b64 v[16:17], v11 offset:16
	s_wait_dscnt 0x0
	v_add_f64_e64 v[14:15], v[14:15], -v[16:17]
	s_delay_alu instid0(VALU_DEP_1) | instskip(SKIP_1) | instid1(VALU_DEP_2)
	v_div_scale_f64 v[16:17], null, v[2:3], v[2:3], v[14:15]
	v_div_scale_f64 v[22:23], vcc_lo, v[14:15], v[2:3], v[14:15]
	v_rcp_f64_e32 v[18:19], v[16:17]
	v_nop
	s_delay_alu instid0(TRANS32_DEP_1) | instskip(NEXT) | instid1(VALU_DEP_1)
	v_fma_f64 v[20:21], -v[16:17], v[18:19], 1.0
	v_fmac_f64_e32 v[18:19], v[18:19], v[20:21]
	s_delay_alu instid0(VALU_DEP_1) | instskip(NEXT) | instid1(VALU_DEP_1)
	v_fma_f64 v[20:21], -v[16:17], v[18:19], 1.0
	v_fmac_f64_e32 v[18:19], v[18:19], v[20:21]
	s_delay_alu instid0(VALU_DEP_1) | instskip(NEXT) | instid1(VALU_DEP_1)
	v_mul_f64_e32 v[20:21], v[22:23], v[18:19]
	v_fma_f64 v[16:17], -v[16:17], v[20:21], v[22:23]
	s_delay_alu instid0(VALU_DEP_1) | instskip(NEXT) | instid1(VALU_DEP_1)
	v_div_fmas_f64 v[16:17], v[16:17], v[18:19], v[20:21]
	v_div_fixup_f64 v[2:3], v[16:17], v[2:3], v[14:15]
	ds_store_b64 v5, v[2:3] offset:16
	s_wait_storecnt_dscnt 0x0
	ds_load_b64 v[14:15], v6 offset:16
	ds_load_b64 v[16:17], v10
	s_wait_dscnt 0x0
	v_fmac_f64_e32 v[16:17], v[2:3], v[14:15]
	ds_store_b64 v10, v[16:17]
.LBB28_100:
	s_or_b32 exec_lo, exec_lo, s1
	s_delay_alu instid0(SALU_CYCLE_1)
	s_mov_b32 s1, exec_lo
	s_wait_storecnt_dscnt 0x0
	v_cmpx_eq_u32_e32 3, v9
	s_cbranch_execz .LBB28_102
; %bb.101:
	v_mov_b32_e32 v1, 0
	ds_load_2addr_b64 v[14:17], v1 offset0:174 offset1:246
	s_wait_dscnt 0x0
	v_add_f64_e64 v[2:3], v[14:15], -v[16:17]
	s_delay_alu instid0(VALU_DEP_1) | instskip(SKIP_1) | instid1(VALU_DEP_1)
	v_cmp_gt_f64_e32 vcc_lo, 0, v[2:3]
	v_xor_b32_e32 v7, 0x80000000, v3
	v_cndmask_b32_e32 v3, v3, v7, vcc_lo
	s_delay_alu instid0(VALU_DEP_1) | instskip(SKIP_2) | instid1(SALU_CYCLE_1)
	v_cmp_gt_f64_e32 vcc_lo, 0x10000000, v[2:3]
	s_and_b32 s5, vcc_lo, exec_lo
	s_cselect_b32 s5, 0x100, 0
	v_ldexp_f64 v[2:3], v[2:3], s5
	s_cselect_b32 s5, 0xffffff80, 0
	s_delay_alu instid0(VALU_DEP_1) | instskip(SKIP_1) | instid1(TRANS32_DEP_1)
	v_rsq_f64_e32 v[14:15], v[2:3]
	v_cmp_class_f64_e64 vcc_lo, v[2:3], 0x260
	v_mul_f64_e32 v[16:17], v[2:3], v[14:15]
	v_mul_f64_e32 v[14:15], 0.5, v[14:15]
	s_delay_alu instid0(VALU_DEP_1) | instskip(NEXT) | instid1(VALU_DEP_1)
	v_fma_f64 v[18:19], -v[14:15], v[16:17], 0.5
	v_fmac_f64_e32 v[16:17], v[16:17], v[18:19]
	v_fmac_f64_e32 v[14:15], v[14:15], v[18:19]
	s_delay_alu instid0(VALU_DEP_2) | instskip(NEXT) | instid1(VALU_DEP_1)
	v_fma_f64 v[18:19], -v[16:17], v[16:17], v[2:3]
	v_fmac_f64_e32 v[16:17], v[18:19], v[14:15]
	s_delay_alu instid0(VALU_DEP_1) | instskip(NEXT) | instid1(VALU_DEP_1)
	v_fma_f64 v[18:19], -v[16:17], v[16:17], v[2:3]
	v_fmac_f64_e32 v[16:17], v[18:19], v[14:15]
	s_delay_alu instid0(VALU_DEP_1) | instskip(NEXT) | instid1(VALU_DEP_1)
	v_ldexp_f64 v[14:15], v[16:17], s5
	v_dual_cndmask_b32 v3, v15, v3 :: v_dual_cndmask_b32 v2, v14, v2
	ds_store_b64 v1, v[2:3] offset:1392
.LBB28_102:
	s_or_b32 exec_lo, exec_lo, s1
	v_mov_b32_e32 v1, 0
	s_wait_dscnt 0x0
	ds_load_b64 v[2:3], v1 offset:1392
	s_wait_dscnt 0x0
	v_cmp_neq_f64_e32 vcc_lo, 0, v[2:3]
	v_cndmask_b32_e32 v3, 0x3ff00000, v3, vcc_lo
	v_cndmask_b32_e32 v2, 0, v2, vcc_lo
	s_nor_b32 s5, vcc_lo, s0
	s_delay_alu instid0(SALU_CYCLE_1)
	s_and_saveexec_b32 s1, s5
	s_cbranch_execz .LBB28_106
; %bb.103:
	v_mbcnt_lo_u32_b32 v1, exec_lo, 0
	s_mov_b32 s5, exec_lo
	s_delay_alu instid0(VALU_DEP_1)
	v_cmpx_eq_u32_e32 0, v1
	s_cbranch_execz .LBB28_105
; %bb.104:
	v_dual_mov_b32 v1, 0 :: v_dual_mov_b32 v2, s4
	global_atomic_min_i32 v1, v2, s[10:11] scope:SCOPE_DEV
.LBB28_105:
	s_wait_xcnt 0x0
	s_or_b32 exec_lo, exec_lo, s5
	v_mov_b64_e32 v[2:3], 1.0
.LBB28_106:
	s_or_b32 exec_lo, exec_lo, s1
	s_delay_alu instid0(SALU_CYCLE_1)
	s_mov_b32 s1, exec_lo
	v_cmpx_lt_u32_e32 3, v9
	s_cbranch_execz .LBB28_108
; %bb.107:
	ds_load_b64 v[14:15], v5 offset:24
	ds_load_b64 v[16:17], v11 offset:24
	s_wait_dscnt 0x0
	v_add_f64_e64 v[14:15], v[14:15], -v[16:17]
	s_delay_alu instid0(VALU_DEP_1) | instskip(SKIP_1) | instid1(VALU_DEP_2)
	v_div_scale_f64 v[16:17], null, v[2:3], v[2:3], v[14:15]
	v_div_scale_f64 v[22:23], vcc_lo, v[14:15], v[2:3], v[14:15]
	v_rcp_f64_e32 v[18:19], v[16:17]
	v_nop
	s_delay_alu instid0(TRANS32_DEP_1) | instskip(NEXT) | instid1(VALU_DEP_1)
	v_fma_f64 v[20:21], -v[16:17], v[18:19], 1.0
	v_fmac_f64_e32 v[18:19], v[18:19], v[20:21]
	s_delay_alu instid0(VALU_DEP_1) | instskip(NEXT) | instid1(VALU_DEP_1)
	v_fma_f64 v[20:21], -v[16:17], v[18:19], 1.0
	v_fmac_f64_e32 v[18:19], v[18:19], v[20:21]
	s_delay_alu instid0(VALU_DEP_1) | instskip(NEXT) | instid1(VALU_DEP_1)
	v_mul_f64_e32 v[20:21], v[22:23], v[18:19]
	v_fma_f64 v[16:17], -v[16:17], v[20:21], v[22:23]
	s_delay_alu instid0(VALU_DEP_1) | instskip(NEXT) | instid1(VALU_DEP_1)
	v_div_fmas_f64 v[16:17], v[16:17], v[18:19], v[20:21]
	v_div_fixup_f64 v[2:3], v[16:17], v[2:3], v[14:15]
	ds_store_b64 v5, v[2:3] offset:24
	s_wait_storecnt_dscnt 0x0
	ds_load_b64 v[14:15], v6 offset:24
	ds_load_b64 v[16:17], v10
	s_wait_dscnt 0x0
	v_fmac_f64_e32 v[16:17], v[2:3], v[14:15]
	ds_store_b64 v10, v[16:17]
.LBB28_108:
	s_or_b32 exec_lo, exec_lo, s1
	s_delay_alu instid0(SALU_CYCLE_1)
	s_mov_b32 s1, exec_lo
	s_wait_storecnt_dscnt 0x0
	v_cmpx_eq_u32_e32 4, v9
	s_cbranch_execz .LBB28_110
; %bb.109:
	v_add_nc_u32_e64 v1, 0x400, 0
	ds_load_2addr_b64 v[14:17], v1 offset0:56 offset1:128
	s_wait_dscnt 0x0
	v_add_f64_e64 v[2:3], v[14:15], -v[16:17]
	s_delay_alu instid0(VALU_DEP_1) | instskip(SKIP_1) | instid1(VALU_DEP_1)
	v_cmp_gt_f64_e32 vcc_lo, 0, v[2:3]
	v_xor_b32_e32 v1, 0x80000000, v3
	v_dual_cndmask_b32 v3, v3, v1, vcc_lo :: v_dual_mov_b32 v1, 0
	s_delay_alu instid0(VALU_DEP_1) | instskip(SKIP_2) | instid1(SALU_CYCLE_1)
	v_cmp_gt_f64_e32 vcc_lo, 0x10000000, v[2:3]
	s_and_b32 s5, vcc_lo, exec_lo
	s_cselect_b32 s5, 0x100, 0
	v_ldexp_f64 v[2:3], v[2:3], s5
	s_cselect_b32 s5, 0xffffff80, 0
	s_delay_alu instid0(VALU_DEP_1) | instskip(SKIP_1) | instid1(TRANS32_DEP_1)
	v_rsq_f64_e32 v[14:15], v[2:3]
	v_cmp_class_f64_e64 vcc_lo, v[2:3], 0x260
	v_mul_f64_e32 v[16:17], v[2:3], v[14:15]
	v_mul_f64_e32 v[14:15], 0.5, v[14:15]
	s_delay_alu instid0(VALU_DEP_1) | instskip(NEXT) | instid1(VALU_DEP_1)
	v_fma_f64 v[18:19], -v[14:15], v[16:17], 0.5
	v_fmac_f64_e32 v[16:17], v[16:17], v[18:19]
	v_fmac_f64_e32 v[14:15], v[14:15], v[18:19]
	s_delay_alu instid0(VALU_DEP_2) | instskip(NEXT) | instid1(VALU_DEP_1)
	v_fma_f64 v[18:19], -v[16:17], v[16:17], v[2:3]
	v_fmac_f64_e32 v[16:17], v[18:19], v[14:15]
	s_delay_alu instid0(VALU_DEP_1) | instskip(NEXT) | instid1(VALU_DEP_1)
	v_fma_f64 v[18:19], -v[16:17], v[16:17], v[2:3]
	v_fmac_f64_e32 v[16:17], v[18:19], v[14:15]
	s_delay_alu instid0(VALU_DEP_1) | instskip(NEXT) | instid1(VALU_DEP_1)
	v_ldexp_f64 v[14:15], v[16:17], s5
	v_dual_cndmask_b32 v3, v15, v3 :: v_dual_cndmask_b32 v2, v14, v2
	ds_store_b64 v1, v[2:3] offset:1472
.LBB28_110:
	s_or_b32 exec_lo, exec_lo, s1
	v_mov_b32_e32 v1, 0
	s_wait_dscnt 0x0
	ds_load_b64 v[2:3], v1 offset:1472
	s_wait_dscnt 0x0
	v_cmp_neq_f64_e32 vcc_lo, 0, v[2:3]
	v_cndmask_b32_e32 v3, 0x3ff00000, v3, vcc_lo
	v_cndmask_b32_e32 v2, 0, v2, vcc_lo
	s_nor_b32 s5, vcc_lo, s0
	s_delay_alu instid0(SALU_CYCLE_1)
	s_and_saveexec_b32 s1, s5
	s_cbranch_execz .LBB28_114
; %bb.111:
	v_mbcnt_lo_u32_b32 v1, exec_lo, 0
	s_mov_b32 s5, exec_lo
	s_delay_alu instid0(VALU_DEP_1)
	v_cmpx_eq_u32_e32 0, v1
	s_cbranch_execz .LBB28_113
; %bb.112:
	v_dual_mov_b32 v1, 0 :: v_dual_mov_b32 v2, s4
	global_atomic_min_i32 v1, v2, s[10:11] scope:SCOPE_DEV
.LBB28_113:
	s_wait_xcnt 0x0
	s_or_b32 exec_lo, exec_lo, s5
	v_mov_b64_e32 v[2:3], 1.0
.LBB28_114:
	s_or_b32 exec_lo, exec_lo, s1
	s_delay_alu instid0(SALU_CYCLE_1)
	s_mov_b32 s1, exec_lo
	v_cmpx_lt_u32_e32 4, v9
	s_cbranch_execz .LBB28_116
; %bb.115:
	ds_load_b64 v[14:15], v5 offset:32
	ds_load_b64 v[16:17], v11 offset:32
	s_wait_dscnt 0x0
	v_add_f64_e64 v[14:15], v[14:15], -v[16:17]
	s_delay_alu instid0(VALU_DEP_1) | instskip(SKIP_1) | instid1(VALU_DEP_2)
	v_div_scale_f64 v[16:17], null, v[2:3], v[2:3], v[14:15]
	v_div_scale_f64 v[22:23], vcc_lo, v[14:15], v[2:3], v[14:15]
	v_rcp_f64_e32 v[18:19], v[16:17]
	v_nop
	s_delay_alu instid0(TRANS32_DEP_1) | instskip(NEXT) | instid1(VALU_DEP_1)
	v_fma_f64 v[20:21], -v[16:17], v[18:19], 1.0
	v_fmac_f64_e32 v[18:19], v[18:19], v[20:21]
	s_delay_alu instid0(VALU_DEP_1) | instskip(NEXT) | instid1(VALU_DEP_1)
	v_fma_f64 v[20:21], -v[16:17], v[18:19], 1.0
	v_fmac_f64_e32 v[18:19], v[18:19], v[20:21]
	s_delay_alu instid0(VALU_DEP_1) | instskip(NEXT) | instid1(VALU_DEP_1)
	v_mul_f64_e32 v[20:21], v[22:23], v[18:19]
	v_fma_f64 v[16:17], -v[16:17], v[20:21], v[22:23]
	s_delay_alu instid0(VALU_DEP_1) | instskip(NEXT) | instid1(VALU_DEP_1)
	v_div_fmas_f64 v[16:17], v[16:17], v[18:19], v[20:21]
	v_div_fixup_f64 v[2:3], v[16:17], v[2:3], v[14:15]
	ds_store_b64 v5, v[2:3] offset:32
	s_wait_storecnt_dscnt 0x0
	ds_load_b64 v[14:15], v6 offset:32
	ds_load_b64 v[16:17], v10
	s_wait_dscnt 0x0
	v_fmac_f64_e32 v[16:17], v[2:3], v[14:15]
	ds_store_b64 v10, v[16:17]
.LBB28_116:
	s_or_b32 exec_lo, exec_lo, s1
	s_delay_alu instid0(SALU_CYCLE_1)
	s_mov_b32 s1, exec_lo
	s_wait_storecnt_dscnt 0x0
	v_cmpx_eq_u32_e32 5, v9
	s_cbranch_execz .LBB28_118
; %bb.117:
	v_add_nc_u32_e64 v1, 0x400, 0
	ds_load_2addr_b64 v[14:17], v1 offset0:66 offset1:138
	s_wait_dscnt 0x0
	v_add_f64_e64 v[2:3], v[14:15], -v[16:17]
	s_delay_alu instid0(VALU_DEP_1) | instskip(SKIP_1) | instid1(VALU_DEP_1)
	v_cmp_gt_f64_e32 vcc_lo, 0, v[2:3]
	v_xor_b32_e32 v1, 0x80000000, v3
	v_dual_cndmask_b32 v3, v3, v1, vcc_lo :: v_dual_mov_b32 v1, 0
	s_delay_alu instid0(VALU_DEP_1) | instskip(SKIP_2) | instid1(SALU_CYCLE_1)
	v_cmp_gt_f64_e32 vcc_lo, 0x10000000, v[2:3]
	s_and_b32 s5, vcc_lo, exec_lo
	s_cselect_b32 s5, 0x100, 0
	v_ldexp_f64 v[2:3], v[2:3], s5
	s_cselect_b32 s5, 0xffffff80, 0
	s_delay_alu instid0(VALU_DEP_1) | instskip(SKIP_1) | instid1(TRANS32_DEP_1)
	v_rsq_f64_e32 v[14:15], v[2:3]
	v_cmp_class_f64_e64 vcc_lo, v[2:3], 0x260
	v_mul_f64_e32 v[16:17], v[2:3], v[14:15]
	v_mul_f64_e32 v[14:15], 0.5, v[14:15]
	s_delay_alu instid0(VALU_DEP_1) | instskip(NEXT) | instid1(VALU_DEP_1)
	v_fma_f64 v[18:19], -v[14:15], v[16:17], 0.5
	v_fmac_f64_e32 v[16:17], v[16:17], v[18:19]
	v_fmac_f64_e32 v[14:15], v[14:15], v[18:19]
	s_delay_alu instid0(VALU_DEP_2) | instskip(NEXT) | instid1(VALU_DEP_1)
	v_fma_f64 v[18:19], -v[16:17], v[16:17], v[2:3]
	v_fmac_f64_e32 v[16:17], v[18:19], v[14:15]
	s_delay_alu instid0(VALU_DEP_1) | instskip(NEXT) | instid1(VALU_DEP_1)
	v_fma_f64 v[18:19], -v[16:17], v[16:17], v[2:3]
	v_fmac_f64_e32 v[16:17], v[18:19], v[14:15]
	s_delay_alu instid0(VALU_DEP_1) | instskip(NEXT) | instid1(VALU_DEP_1)
	v_ldexp_f64 v[14:15], v[16:17], s5
	v_dual_cndmask_b32 v3, v15, v3 :: v_dual_cndmask_b32 v2, v14, v2
	ds_store_b64 v1, v[2:3] offset:1552
.LBB28_118:
	s_or_b32 exec_lo, exec_lo, s1
	v_mov_b32_e32 v1, 0
	s_wait_dscnt 0x0
	ds_load_b64 v[2:3], v1 offset:1552
	s_wait_dscnt 0x0
	v_cmp_neq_f64_e32 vcc_lo, 0, v[2:3]
	v_cndmask_b32_e32 v3, 0x3ff00000, v3, vcc_lo
	v_cndmask_b32_e32 v2, 0, v2, vcc_lo
	s_nor_b32 s5, vcc_lo, s0
	s_delay_alu instid0(SALU_CYCLE_1)
	s_and_saveexec_b32 s1, s5
	s_cbranch_execz .LBB28_122
; %bb.119:
	v_mbcnt_lo_u32_b32 v1, exec_lo, 0
	s_mov_b32 s5, exec_lo
	s_delay_alu instid0(VALU_DEP_1)
	v_cmpx_eq_u32_e32 0, v1
	s_cbranch_execz .LBB28_121
; %bb.120:
	v_dual_mov_b32 v1, 0 :: v_dual_mov_b32 v2, s4
	global_atomic_min_i32 v1, v2, s[10:11] scope:SCOPE_DEV
.LBB28_121:
	s_wait_xcnt 0x0
	s_or_b32 exec_lo, exec_lo, s5
	v_mov_b64_e32 v[2:3], 1.0
.LBB28_122:
	s_or_b32 exec_lo, exec_lo, s1
	s_delay_alu instid0(SALU_CYCLE_1)
	s_mov_b32 s1, exec_lo
	v_cmpx_lt_u32_e32 5, v9
	s_cbranch_execz .LBB28_124
; %bb.123:
	ds_load_b64 v[14:15], v5 offset:40
	ds_load_b64 v[16:17], v11 offset:40
	s_wait_dscnt 0x0
	v_add_f64_e64 v[14:15], v[14:15], -v[16:17]
	s_delay_alu instid0(VALU_DEP_1) | instskip(SKIP_1) | instid1(VALU_DEP_2)
	v_div_scale_f64 v[16:17], null, v[2:3], v[2:3], v[14:15]
	v_div_scale_f64 v[22:23], vcc_lo, v[14:15], v[2:3], v[14:15]
	v_rcp_f64_e32 v[18:19], v[16:17]
	v_nop
	s_delay_alu instid0(TRANS32_DEP_1) | instskip(NEXT) | instid1(VALU_DEP_1)
	v_fma_f64 v[20:21], -v[16:17], v[18:19], 1.0
	v_fmac_f64_e32 v[18:19], v[18:19], v[20:21]
	s_delay_alu instid0(VALU_DEP_1) | instskip(NEXT) | instid1(VALU_DEP_1)
	v_fma_f64 v[20:21], -v[16:17], v[18:19], 1.0
	v_fmac_f64_e32 v[18:19], v[18:19], v[20:21]
	s_delay_alu instid0(VALU_DEP_1) | instskip(NEXT) | instid1(VALU_DEP_1)
	v_mul_f64_e32 v[20:21], v[22:23], v[18:19]
	v_fma_f64 v[16:17], -v[16:17], v[20:21], v[22:23]
	s_delay_alu instid0(VALU_DEP_1) | instskip(NEXT) | instid1(VALU_DEP_1)
	v_div_fmas_f64 v[16:17], v[16:17], v[18:19], v[20:21]
	v_div_fixup_f64 v[2:3], v[16:17], v[2:3], v[14:15]
	ds_store_b64 v5, v[2:3] offset:40
	s_wait_storecnt_dscnt 0x0
	ds_load_b64 v[14:15], v6 offset:40
	ds_load_b64 v[16:17], v10
	s_wait_dscnt 0x0
	v_fmac_f64_e32 v[16:17], v[2:3], v[14:15]
	ds_store_b64 v10, v[16:17]
.LBB28_124:
	s_or_b32 exec_lo, exec_lo, s1
	s_delay_alu instid0(SALU_CYCLE_1)
	s_mov_b32 s1, exec_lo
	s_wait_storecnt_dscnt 0x0
	v_cmpx_eq_u32_e32 6, v9
	s_cbranch_execz .LBB28_126
; %bb.125:
	v_add_nc_u32_e64 v1, 0x400, 0
	ds_load_2addr_b64 v[14:17], v1 offset0:76 offset1:148
	s_wait_dscnt 0x0
	v_add_f64_e64 v[2:3], v[14:15], -v[16:17]
	s_delay_alu instid0(VALU_DEP_1) | instskip(SKIP_1) | instid1(VALU_DEP_1)
	v_cmp_gt_f64_e32 vcc_lo, 0, v[2:3]
	v_xor_b32_e32 v1, 0x80000000, v3
	v_dual_cndmask_b32 v3, v3, v1, vcc_lo :: v_dual_mov_b32 v1, 0
	s_delay_alu instid0(VALU_DEP_1) | instskip(SKIP_2) | instid1(SALU_CYCLE_1)
	v_cmp_gt_f64_e32 vcc_lo, 0x10000000, v[2:3]
	s_and_b32 s5, vcc_lo, exec_lo
	s_cselect_b32 s5, 0x100, 0
	v_ldexp_f64 v[2:3], v[2:3], s5
	s_cselect_b32 s5, 0xffffff80, 0
	s_delay_alu instid0(VALU_DEP_1) | instskip(SKIP_1) | instid1(TRANS32_DEP_1)
	v_rsq_f64_e32 v[14:15], v[2:3]
	v_cmp_class_f64_e64 vcc_lo, v[2:3], 0x260
	v_mul_f64_e32 v[16:17], v[2:3], v[14:15]
	v_mul_f64_e32 v[14:15], 0.5, v[14:15]
	s_delay_alu instid0(VALU_DEP_1) | instskip(NEXT) | instid1(VALU_DEP_1)
	v_fma_f64 v[18:19], -v[14:15], v[16:17], 0.5
	v_fmac_f64_e32 v[16:17], v[16:17], v[18:19]
	v_fmac_f64_e32 v[14:15], v[14:15], v[18:19]
	s_delay_alu instid0(VALU_DEP_2) | instskip(NEXT) | instid1(VALU_DEP_1)
	v_fma_f64 v[18:19], -v[16:17], v[16:17], v[2:3]
	v_fmac_f64_e32 v[16:17], v[18:19], v[14:15]
	s_delay_alu instid0(VALU_DEP_1) | instskip(NEXT) | instid1(VALU_DEP_1)
	v_fma_f64 v[18:19], -v[16:17], v[16:17], v[2:3]
	v_fmac_f64_e32 v[16:17], v[18:19], v[14:15]
	s_delay_alu instid0(VALU_DEP_1) | instskip(NEXT) | instid1(VALU_DEP_1)
	v_ldexp_f64 v[14:15], v[16:17], s5
	v_dual_cndmask_b32 v3, v15, v3 :: v_dual_cndmask_b32 v2, v14, v2
	ds_store_b64 v1, v[2:3] offset:1632
.LBB28_126:
	s_or_b32 exec_lo, exec_lo, s1
	v_mov_b32_e32 v1, 0
	s_wait_dscnt 0x0
	ds_load_b64 v[2:3], v1 offset:1632
	s_wait_dscnt 0x0
	v_cmp_neq_f64_e32 vcc_lo, 0, v[2:3]
	v_cndmask_b32_e32 v3, 0x3ff00000, v3, vcc_lo
	v_cndmask_b32_e32 v2, 0, v2, vcc_lo
	s_nor_b32 s5, vcc_lo, s0
	s_delay_alu instid0(SALU_CYCLE_1)
	s_and_saveexec_b32 s1, s5
	s_cbranch_execz .LBB28_130
; %bb.127:
	v_mbcnt_lo_u32_b32 v1, exec_lo, 0
	s_mov_b32 s5, exec_lo
	s_delay_alu instid0(VALU_DEP_1)
	v_cmpx_eq_u32_e32 0, v1
	s_cbranch_execz .LBB28_129
; %bb.128:
	v_dual_mov_b32 v1, 0 :: v_dual_mov_b32 v2, s4
	global_atomic_min_i32 v1, v2, s[10:11] scope:SCOPE_DEV
.LBB28_129:
	s_wait_xcnt 0x0
	s_or_b32 exec_lo, exec_lo, s5
	v_mov_b64_e32 v[2:3], 1.0
.LBB28_130:
	s_or_b32 exec_lo, exec_lo, s1
	s_delay_alu instid0(SALU_CYCLE_1)
	s_mov_b32 s1, exec_lo
	v_cmpx_lt_u32_e32 6, v9
	s_cbranch_execz .LBB28_132
; %bb.131:
	ds_load_b64 v[14:15], v5 offset:48
	ds_load_b64 v[16:17], v11 offset:48
	s_wait_dscnt 0x0
	v_add_f64_e64 v[14:15], v[14:15], -v[16:17]
	s_delay_alu instid0(VALU_DEP_1) | instskip(SKIP_1) | instid1(VALU_DEP_2)
	v_div_scale_f64 v[16:17], null, v[2:3], v[2:3], v[14:15]
	v_div_scale_f64 v[22:23], vcc_lo, v[14:15], v[2:3], v[14:15]
	v_rcp_f64_e32 v[18:19], v[16:17]
	v_nop
	s_delay_alu instid0(TRANS32_DEP_1) | instskip(NEXT) | instid1(VALU_DEP_1)
	v_fma_f64 v[20:21], -v[16:17], v[18:19], 1.0
	v_fmac_f64_e32 v[18:19], v[18:19], v[20:21]
	s_delay_alu instid0(VALU_DEP_1) | instskip(NEXT) | instid1(VALU_DEP_1)
	v_fma_f64 v[20:21], -v[16:17], v[18:19], 1.0
	v_fmac_f64_e32 v[18:19], v[18:19], v[20:21]
	s_delay_alu instid0(VALU_DEP_1) | instskip(NEXT) | instid1(VALU_DEP_1)
	v_mul_f64_e32 v[20:21], v[22:23], v[18:19]
	v_fma_f64 v[16:17], -v[16:17], v[20:21], v[22:23]
	s_delay_alu instid0(VALU_DEP_1) | instskip(NEXT) | instid1(VALU_DEP_1)
	v_div_fmas_f64 v[16:17], v[16:17], v[18:19], v[20:21]
	v_div_fixup_f64 v[2:3], v[16:17], v[2:3], v[14:15]
	ds_store_b64 v5, v[2:3] offset:48
	s_wait_storecnt_dscnt 0x0
	ds_load_b64 v[14:15], v6 offset:48
	ds_load_b64 v[16:17], v10
	s_wait_dscnt 0x0
	v_fmac_f64_e32 v[16:17], v[2:3], v[14:15]
	ds_store_b64 v10, v[16:17]
.LBB28_132:
	s_or_b32 exec_lo, exec_lo, s1
	v_ashrrev_i32_e32 v1, 31, v0
	s_mov_b32 s1, exec_lo
	s_wait_storecnt_dscnt 0x0
	v_cmpx_eq_u32_e32 7, v9
	s_cbranch_execz .LBB28_134
; %bb.133:
	v_add_nc_u32_e64 v2, 0x400, 0
	ds_load_2addr_b64 v[14:17], v2 offset0:86 offset1:158
	s_wait_dscnt 0x0
	v_add_f64_e64 v[2:3], v[14:15], -v[16:17]
	s_delay_alu instid0(VALU_DEP_1) | instskip(SKIP_1) | instid1(VALU_DEP_1)
	v_cmp_gt_f64_e32 vcc_lo, 0, v[2:3]
	v_xor_b32_e32 v7, 0x80000000, v3
	v_dual_cndmask_b32 v3, v3, v7, vcc_lo :: v_dual_mov_b32 v7, 0
	s_delay_alu instid0(VALU_DEP_1) | instskip(SKIP_2) | instid1(SALU_CYCLE_1)
	v_cmp_gt_f64_e32 vcc_lo, 0x10000000, v[2:3]
	s_and_b32 s5, vcc_lo, exec_lo
	s_cselect_b32 s5, 0x100, 0
	v_ldexp_f64 v[2:3], v[2:3], s5
	s_cselect_b32 s5, 0xffffff80, 0
	s_delay_alu instid0(VALU_DEP_1) | instskip(SKIP_1) | instid1(TRANS32_DEP_1)
	v_rsq_f64_e32 v[14:15], v[2:3]
	v_cmp_class_f64_e64 vcc_lo, v[2:3], 0x260
	v_mul_f64_e32 v[16:17], v[2:3], v[14:15]
	v_mul_f64_e32 v[14:15], 0.5, v[14:15]
	s_delay_alu instid0(VALU_DEP_1) | instskip(NEXT) | instid1(VALU_DEP_1)
	v_fma_f64 v[18:19], -v[14:15], v[16:17], 0.5
	v_fmac_f64_e32 v[16:17], v[16:17], v[18:19]
	v_fmac_f64_e32 v[14:15], v[14:15], v[18:19]
	s_delay_alu instid0(VALU_DEP_2) | instskip(NEXT) | instid1(VALU_DEP_1)
	v_fma_f64 v[18:19], -v[16:17], v[16:17], v[2:3]
	v_fmac_f64_e32 v[16:17], v[18:19], v[14:15]
	s_delay_alu instid0(VALU_DEP_1) | instskip(NEXT) | instid1(VALU_DEP_1)
	v_fma_f64 v[18:19], -v[16:17], v[16:17], v[2:3]
	v_fmac_f64_e32 v[16:17], v[18:19], v[14:15]
	s_delay_alu instid0(VALU_DEP_1) | instskip(NEXT) | instid1(VALU_DEP_1)
	v_ldexp_f64 v[14:15], v[16:17], s5
	v_dual_cndmask_b32 v3, v15, v3 :: v_dual_cndmask_b32 v2, v14, v2
	ds_store_b64 v7, v[2:3] offset:1712
.LBB28_134:
	s_or_b32 exec_lo, exec_lo, s1
	v_mov_b32_e32 v2, 0
	s_wait_dscnt 0x0
	ds_load_b64 v[2:3], v2 offset:1712
	s_wait_dscnt 0x0
	v_cmp_neq_f64_e32 vcc_lo, 0, v[2:3]
	v_cndmask_b32_e32 v3, 0x3ff00000, v3, vcc_lo
	v_cndmask_b32_e32 v2, 0, v2, vcc_lo
	s_nor_b32 s1, vcc_lo, s0
	s_delay_alu instid0(SALU_CYCLE_1)
	s_and_saveexec_b32 s0, s1
	s_cbranch_execz .LBB28_138
; %bb.135:
	v_mbcnt_lo_u32_b32 v2, exec_lo, 0
	s_mov_b32 s1, exec_lo
	s_delay_alu instid0(VALU_DEP_1)
	v_cmpx_eq_u32_e32 0, v2
	s_cbranch_execz .LBB28_137
; %bb.136:
	v_dual_mov_b32 v2, 0 :: v_dual_mov_b32 v3, s4
	global_atomic_min_i32 v2, v3, s[10:11] scope:SCOPE_DEV
.LBB28_137:
	s_wait_xcnt 0x0
	s_or_b32 exec_lo, exec_lo, s1
	v_mov_b64_e32 v[2:3], 1.0
.LBB28_138:
	s_or_b32 exec_lo, exec_lo, s0
	v_lshl_add_u64 v[0:1], v[0:1], 3, s[16:17]
	s_mov_b32 s0, exec_lo
	v_cmpx_lt_u32_e32 7, v9
	s_cbranch_execz .LBB28_140
; %bb.139:
	ds_load_b64 v[14:15], v5 offset:56
	ds_load_b64 v[16:17], v11 offset:56
	s_wait_dscnt 0x0
	v_add_f64_e64 v[14:15], v[14:15], -v[16:17]
	s_delay_alu instid0(VALU_DEP_1) | instskip(SKIP_1) | instid1(VALU_DEP_2)
	v_div_scale_f64 v[16:17], null, v[2:3], v[2:3], v[14:15]
	v_div_scale_f64 v[22:23], vcc_lo, v[14:15], v[2:3], v[14:15]
	v_rcp_f64_e32 v[18:19], v[16:17]
	v_nop
	s_delay_alu instid0(TRANS32_DEP_1) | instskip(NEXT) | instid1(VALU_DEP_1)
	v_fma_f64 v[20:21], -v[16:17], v[18:19], 1.0
	v_fmac_f64_e32 v[18:19], v[18:19], v[20:21]
	s_delay_alu instid0(VALU_DEP_1) | instskip(NEXT) | instid1(VALU_DEP_1)
	v_fma_f64 v[20:21], -v[16:17], v[18:19], 1.0
	v_fmac_f64_e32 v[18:19], v[18:19], v[20:21]
	s_delay_alu instid0(VALU_DEP_1) | instskip(NEXT) | instid1(VALU_DEP_1)
	v_mul_f64_e32 v[20:21], v[22:23], v[18:19]
	v_fma_f64 v[16:17], -v[16:17], v[20:21], v[22:23]
	s_delay_alu instid0(VALU_DEP_1) | instskip(NEXT) | instid1(VALU_DEP_1)
	v_div_fmas_f64 v[16:17], v[16:17], v[18:19], v[20:21]
	v_div_fixup_f64 v[2:3], v[16:17], v[2:3], v[14:15]
	ds_store_b64 v5, v[2:3] offset:56
	s_wait_storecnt_dscnt 0x0
	ds_load_b64 v[6:7], v6 offset:56
	ds_load_b64 v[14:15], v10
	s_wait_dscnt 0x0
	v_fmac_f64_e32 v[14:15], v[2:3], v[6:7]
	ds_store_b64 v10, v[14:15]
.LBB28_140:
	s_or_b32 exec_lo, exec_lo, s0
	s_wait_storecnt_dscnt 0x0
	ds_load_b64 v[2:3], v4
	s_mov_b32 s0, 0
	s_mov_b32 s1, exec_lo
	s_wait_dscnt 0x0
	global_store_b64 v[0:1], v[2:3], off
	s_wait_xcnt 0x0
	v_cmpx_eq_u32_e32 0, v12
	s_cbranch_execz .LBB28_142
; %bb.141:
	v_dual_mov_b32 v0, 0 :: v_dual_mov_b32 v1, 1
	s_add_nc_u64 s[4:5], s[6:7], s[2:3]
	global_wb scope:SCOPE_DEV
	s_wait_storecnt 0x0
	global_store_b32 v0, v1, s[4:5] scope:SCOPE_DEV
.LBB28_142:
	s_wait_xcnt 0x0
	s_or_b32 exec_lo, exec_lo, s1
	s_delay_alu instid0(SALU_CYCLE_1)
	s_and_b32 vcc_lo, exec_lo, s0
	s_cbranch_vccz .LBB28_16
.LBB28_143:
	v_or_b32_e32 v0, v8, v9
	s_mov_b32 s0, exec_lo
	s_delay_alu instid0(VALU_DEP_1)
	v_cmpx_eq_u32_e32 0, v0
	s_cbranch_execz .LBB28_16
; %bb.144:
	v_mbcnt_lo_u32_b32 v0, exec_lo, 0
	s_mov_b32 s0, exec_lo
	s_delay_alu instid0(VALU_DEP_1)
	v_cmpx_eq_u32_e32 0, v0
	s_cbranch_execz .LBB28_146
; %bb.145:
	s_add_co_i32 s1, s8, s9
	s_delay_alu instid0(SALU_CYCLE_1)
	v_dual_mov_b32 v0, 0 :: v_dual_mov_b32 v1, s1
	global_atomic_min_i32 v0, v1, s[10:11] scope:SCOPE_DEV
.LBB28_146:
	s_wait_xcnt 0x0
	s_or_b32 exec_lo, exec_lo, s0
	v_dual_mov_b32 v0, 0 :: v_dual_mov_b32 v1, 1
	s_add_nc_u64 s[0:1], s[6:7], s[2:3]
	global_wb scope:SCOPE_DEV
	s_wait_storecnt 0x0
	global_store_b32 v0, v1, s[0:1] scope:SCOPE_DEV
	s_endpgm
	.section	.rodata,"a",@progbits
	.p2align	6, 0x0
	.amdhsa_kernel _ZN9rocsparseL26bsric0_2_8_unrolled_kernelILi64ELi32ELi8EdEEv20rocsparse_direction_iiPKiS3_PT2_S3_PiS3_S6_21rocsparse_index_base_
		.amdhsa_group_segment_fixed_size 2688
		.amdhsa_private_segment_fixed_size 0
		.amdhsa_kernarg_size 76
		.amdhsa_user_sgpr_count 2
		.amdhsa_user_sgpr_dispatch_ptr 0
		.amdhsa_user_sgpr_queue_ptr 0
		.amdhsa_user_sgpr_kernarg_segment_ptr 1
		.amdhsa_user_sgpr_dispatch_id 0
		.amdhsa_user_sgpr_kernarg_preload_length 0
		.amdhsa_user_sgpr_kernarg_preload_offset 0
		.amdhsa_user_sgpr_private_segment_size 0
		.amdhsa_wavefront_size32 1
		.amdhsa_uses_dynamic_stack 0
		.amdhsa_enable_private_segment 0
		.amdhsa_system_sgpr_workgroup_id_x 1
		.amdhsa_system_sgpr_workgroup_id_y 0
		.amdhsa_system_sgpr_workgroup_id_z 0
		.amdhsa_system_sgpr_workgroup_info 0
		.amdhsa_system_vgpr_workitem_id 1
		.amdhsa_next_free_vgpr 58
		.amdhsa_next_free_sgpr 37
		.amdhsa_named_barrier_count 0
		.amdhsa_reserve_vcc 1
		.amdhsa_float_round_mode_32 0
		.amdhsa_float_round_mode_16_64 0
		.amdhsa_float_denorm_mode_32 3
		.amdhsa_float_denorm_mode_16_64 3
		.amdhsa_fp16_overflow 0
		.amdhsa_memory_ordered 1
		.amdhsa_forward_progress 1
		.amdhsa_inst_pref_size 80
		.amdhsa_round_robin_scheduling 0
		.amdhsa_exception_fp_ieee_invalid_op 0
		.amdhsa_exception_fp_denorm_src 0
		.amdhsa_exception_fp_ieee_div_zero 0
		.amdhsa_exception_fp_ieee_overflow 0
		.amdhsa_exception_fp_ieee_underflow 0
		.amdhsa_exception_fp_ieee_inexact 0
		.amdhsa_exception_int_div_zero 0
	.end_amdhsa_kernel
	.section	.text._ZN9rocsparseL26bsric0_2_8_unrolled_kernelILi64ELi32ELi8EdEEv20rocsparse_direction_iiPKiS3_PT2_S3_PiS3_S6_21rocsparse_index_base_,"axG",@progbits,_ZN9rocsparseL26bsric0_2_8_unrolled_kernelILi64ELi32ELi8EdEEv20rocsparse_direction_iiPKiS3_PT2_S3_PiS3_S6_21rocsparse_index_base_,comdat
.Lfunc_end28:
	.size	_ZN9rocsparseL26bsric0_2_8_unrolled_kernelILi64ELi32ELi8EdEEv20rocsparse_direction_iiPKiS3_PT2_S3_PiS3_S6_21rocsparse_index_base_, .Lfunc_end28-_ZN9rocsparseL26bsric0_2_8_unrolled_kernelILi64ELi32ELi8EdEEv20rocsparse_direction_iiPKiS3_PT2_S3_PiS3_S6_21rocsparse_index_base_
                                        ; -- End function
	.set _ZN9rocsparseL26bsric0_2_8_unrolled_kernelILi64ELi32ELi8EdEEv20rocsparse_direction_iiPKiS3_PT2_S3_PiS3_S6_21rocsparse_index_base_.num_vgpr, 58
	.set _ZN9rocsparseL26bsric0_2_8_unrolled_kernelILi64ELi32ELi8EdEEv20rocsparse_direction_iiPKiS3_PT2_S3_PiS3_S6_21rocsparse_index_base_.num_agpr, 0
	.set _ZN9rocsparseL26bsric0_2_8_unrolled_kernelILi64ELi32ELi8EdEEv20rocsparse_direction_iiPKiS3_PT2_S3_PiS3_S6_21rocsparse_index_base_.numbered_sgpr, 37
	.set _ZN9rocsparseL26bsric0_2_8_unrolled_kernelILi64ELi32ELi8EdEEv20rocsparse_direction_iiPKiS3_PT2_S3_PiS3_S6_21rocsparse_index_base_.num_named_barrier, 0
	.set _ZN9rocsparseL26bsric0_2_8_unrolled_kernelILi64ELi32ELi8EdEEv20rocsparse_direction_iiPKiS3_PT2_S3_PiS3_S6_21rocsparse_index_base_.private_seg_size, 0
	.set _ZN9rocsparseL26bsric0_2_8_unrolled_kernelILi64ELi32ELi8EdEEv20rocsparse_direction_iiPKiS3_PT2_S3_PiS3_S6_21rocsparse_index_base_.uses_vcc, 1
	.set _ZN9rocsparseL26bsric0_2_8_unrolled_kernelILi64ELi32ELi8EdEEv20rocsparse_direction_iiPKiS3_PT2_S3_PiS3_S6_21rocsparse_index_base_.uses_flat_scratch, 0
	.set _ZN9rocsparseL26bsric0_2_8_unrolled_kernelILi64ELi32ELi8EdEEv20rocsparse_direction_iiPKiS3_PT2_S3_PiS3_S6_21rocsparse_index_base_.has_dyn_sized_stack, 0
	.set _ZN9rocsparseL26bsric0_2_8_unrolled_kernelILi64ELi32ELi8EdEEv20rocsparse_direction_iiPKiS3_PT2_S3_PiS3_S6_21rocsparse_index_base_.has_recursion, 0
	.set _ZN9rocsparseL26bsric0_2_8_unrolled_kernelILi64ELi32ELi8EdEEv20rocsparse_direction_iiPKiS3_PT2_S3_PiS3_S6_21rocsparse_index_base_.has_indirect_call, 0
	.section	.AMDGPU.csdata,"",@progbits
; Kernel info:
; codeLenInByte = 10192
; TotalNumSgprs: 39
; NumVgprs: 58
; ScratchSize: 0
; MemoryBound: 1
; FloatMode: 240
; IeeeMode: 1
; LDSByteSize: 2688 bytes/workgroup (compile time only)
; SGPRBlocks: 0
; VGPRBlocks: 3
; NumSGPRsForWavesPerEU: 39
; NumVGPRsForWavesPerEU: 58
; NamedBarCnt: 0
; Occupancy: 16
; WaveLimiterHint : 1
; COMPUTE_PGM_RSRC2:SCRATCH_EN: 0
; COMPUTE_PGM_RSRC2:USER_SGPR: 2
; COMPUTE_PGM_RSRC2:TRAP_HANDLER: 0
; COMPUTE_PGM_RSRC2:TGID_X_EN: 1
; COMPUTE_PGM_RSRC2:TGID_Y_EN: 0
; COMPUTE_PGM_RSRC2:TGID_Z_EN: 0
; COMPUTE_PGM_RSRC2:TIDIG_COMP_CNT: 1
	.section	.text._ZN9rocsparseL18bsric0_9_16_kernelILi64ELi32ELi16EdEEv20rocsparse_direction_iiPKiS3_PT2_S3_PiS3_S6_21rocsparse_index_base_,"axG",@progbits,_ZN9rocsparseL18bsric0_9_16_kernelILi64ELi32ELi16EdEEv20rocsparse_direction_iiPKiS3_PT2_S3_PiS3_S6_21rocsparse_index_base_,comdat
	.globl	_ZN9rocsparseL18bsric0_9_16_kernelILi64ELi32ELi16EdEEv20rocsparse_direction_iiPKiS3_PT2_S3_PiS3_S6_21rocsparse_index_base_ ; -- Begin function _ZN9rocsparseL18bsric0_9_16_kernelILi64ELi32ELi16EdEEv20rocsparse_direction_iiPKiS3_PT2_S3_PiS3_S6_21rocsparse_index_base_
	.p2align	8
	.type	_ZN9rocsparseL18bsric0_9_16_kernelILi64ELi32ELi16EdEEv20rocsparse_direction_iiPKiS3_PT2_S3_PiS3_S6_21rocsparse_index_base_,@function
_ZN9rocsparseL18bsric0_9_16_kernelILi64ELi32ELi16EdEEv20rocsparse_direction_iiPKiS3_PT2_S3_PiS3_S6_21rocsparse_index_base_: ; @_ZN9rocsparseL18bsric0_9_16_kernelILi64ELi32ELi16EdEEv20rocsparse_direction_iiPKiS3_PT2_S3_PiS3_S6_21rocsparse_index_base_
; %bb.0:
	s_load_b256 s[4:11], s[0:1], 0x28
	s_bfe_u32 s2, ttmp6, 0x4000c
	s_and_b32 s3, ttmp6, 15
	s_add_co_i32 s2, s2, 1
	s_getreg_b32 s12, hwreg(HW_REG_IB_STS2, 6, 4)
	s_mul_i32 s2, ttmp9, s2
	v_and_b32_e32 v8, 0x3ff, v0
	s_add_co_i32 s3, s3, s2
	s_cmp_eq_u32 s12, 0
	v_bfe_u32 v9, v0, 10, 10
	s_cselect_b32 s2, ttmp9, s3
	s_wait_kmcnt 0x0
	s_load_b32 s16, s[8:9], s2 offset:0x0 scale_offset
	s_wait_kmcnt 0x0
	s_ashr_i32 s17, s16, 31
	s_delay_alu instid0(SALU_CYCLE_1) | instskip(NEXT) | instid1(SALU_CYCLE_1)
	s_lshl_b64 s[8:9], s[16:17], 2
	s_add_nc_u64 s[12:13], s[4:5], s[8:9]
	s_load_b32 s17, s[12:13], 0x0
	s_load_b32 s3, s[0:1], 0x48
	s_wait_kmcnt 0x0
	s_cmp_lg_u32 s17, -1
	s_cbranch_scc0 .LBB29_128
; %bb.1:
	s_clause 0x1
	s_load_b128 s[12:15], s[0:1], 0x10
	s_load_b64 s[18:19], s[0:1], 0x20
	v_lshlrev_b32_e32 v0, 2, v9
	s_wait_kmcnt 0x0
	s_add_nc_u64 s[20:21], s[12:13], s[8:9]
	s_load_b32 s2, s[20:21], 0x0
	s_wait_kmcnt 0x0
	s_sub_co_i32 s30, s2, s3
	s_mov_b32 s2, exec_lo
	v_add3_u32 v0, v0, v8, s30
	s_delay_alu instid0(VALU_DEP_1)
	v_cmpx_ge_i32_e64 s17, v0
	s_cbranch_execz .LBB29_4
; %bb.2:
	v_dual_lshlrev_b32 v1, 4, v9 :: v_dual_lshlrev_b32 v2, 2, v8
	s_mov_b32 s20, 0
	s_delay_alu instid0(VALU_DEP_1)
	v_add3_u32 v1, v1, v2, 0x2300
.LBB29_3:                               ; =>This Inner Loop Header: Depth=1
	global_load_b32 v2, v0, s[14:15] scale_offset
	s_wait_xcnt 0x0
	v_add_nc_u32_e32 v0, 64, v0
	s_delay_alu instid0(VALU_DEP_1)
	v_cmp_lt_i32_e32 vcc_lo, s17, v0
	s_or_b32 s20, vcc_lo, s20
	s_wait_loadcnt 0x0
	v_subrev_nc_u32_e32 v2, s3, v2
	ds_store_b32 v1, v2
	v_add_nc_u32_e32 v1, 0x100, v1
	s_and_not1_b32 exec_lo, exec_lo, s20
	s_cbranch_execnz .LBB29_3
.LBB29_4:
	s_or_b32 exec_lo, exec_lo, s2
	v_mul_u32_u24_e32 v10, 0x88, v9
	v_lshlrev_b32_e32 v11, 3, v8
	s_mov_b32 s2, exec_lo
	v_cmpx_gt_u32_e32 16, v8
	s_cbranch_execz .LBB29_7
; %bb.5:
	v_mov_b64_e32 v[0:1], 0
	v_add_nc_u32_e32 v2, -4, v8
	v_add3_u32 v3, v10, v11, 0x1980
	s_mov_b32 s20, 0
.LBB29_6:                               ; =>This Inner Loop Header: Depth=1
	s_delay_alu instid0(VALU_DEP_2) | instskip(SKIP_4) | instid1(SALU_CYCLE_1)
	v_add_nc_u32_e32 v2, 4, v2
	ds_store_b64 v3, v[0:1]
	v_add_nc_u32_e32 v3, 32, v3
	v_cmp_lt_u32_e32 vcc_lo, 11, v2
	s_or_b32 s20, vcc_lo, s20
	s_and_not1_b32 exec_lo, exec_lo, s20
	s_cbranch_execnz .LBB29_6
.LBB29_7:
	s_or_b32 exec_lo, exec_lo, s2
	s_clause 0x1
	s_load_b32 s28, s[0:1], 0x8
	s_load_b32 s29, s[0:1], 0x0
	s_cmp_ge_i32 s30, s17
	s_wait_dscnt 0x0
	s_wait_kmcnt 0x0
	v_cmp_gt_i32_e64 s0, s28, v8
	s_cbranch_scc1 .LBB29_89
; %bb.8:
	v_mad_u32 v0, s28, s30, v9
	v_dual_mov_b32 v22, 0 :: v_dual_bitop2_b32 v1, v8, v9 bitop3:0x54
	v_mul_lo_u32 v15, s28, v9
	v_mul_lo_u32 v17, v8, s28
	v_mad_u32_u24 v13, 0x88, v9, v11
	s_movk_i32 s2, 0x880
	s_movk_i32 s20, 0x88
	v_mad_u32_u24 v14, 0x88, v9, s2
	v_cmp_ne_u32_e64 s2, 0, v1
	s_cmp_lg_u32 s29, 0
	v_mul_lo_u32 v20, s28, v0
	v_mov_b64_e32 v[0:1], 0
	v_cmp_gt_i32_e64 s1, s28, v9
	v_mad_u32_u24 v12, v9, s20, 0x1100
	v_add_nc_u32_e32 v16, 0x880, v13
	v_add_nc_u32_e32 v18, 0x1980, v13
	v_mad_u32_u24 v19, v8, s20, 0x1100
	v_add_nc_u32_e32 v21, 0x1100, v13
	s_cselect_b32 s31, -1, 0
	s_cmp_gt_i32 s28, 0
	s_mul_i32 s34, s28, s28
	s_cselect_b32 s33, -1, 0
	s_lshl_b32 s35, s28, 2
	s_mov_b32 s20, s30
	s_branch .LBB29_10
.LBB29_9:                               ;   in Loop: Header=BB29_10 Depth=1
	s_or_b32 exec_lo, exec_lo, s22
	s_add_co_i32 s20, s20, 1
	v_add_nc_u32_e32 v20, s34, v20
	s_cmp_ge_i32 s20, s17
	global_wb scope:SCOPE_DEV
	s_wait_storecnt 0x0
	global_inv scope:SCOPE_DEV
	s_cselect_b32 s21, -1, 0
	s_delay_alu instid0(SALU_CYCLE_1)
	s_and_b32 vcc_lo, exec_lo, s21
	s_cbranch_vccnz .LBB29_89
.LBB29_10:                              ; =>This Loop Header: Depth=1
                                        ;     Child Loop BB29_14 Depth 2
                                        ;     Child Loop BB29_26 Depth 2
	;; [unrolled: 1-line block ×5, first 2 shown]
                                        ;       Child Loop BB29_56 Depth 3
                                        ;     Child Loop BB29_70 Depth 2
                                        ;       Child Loop BB29_75 Depth 3
                                        ;       Child Loop BB29_78 Depth 3
                                        ;     Child Loop BB29_84 Depth 2
	s_ashr_i32 s21, s20, 31
	s_delay_alu instid0(SALU_CYCLE_1) | instskip(NEXT) | instid1(SALU_CYCLE_1)
	s_lshl_b64 s[22:23], s[20:21], 2
	s_add_nc_u64 s[22:23], s[14:15], s[22:23]
	s_load_b32 s36, s[22:23], 0x0
	s_wait_kmcnt 0x0
	s_sub_co_i32 s24, s36, s3
	s_delay_alu instid0(SALU_CYCLE_1) | instskip(SKIP_2) | instid1(SALU_CYCLE_1)
	s_ashr_i32 s25, s24, 31
	s_wait_xcnt 0x0
	s_lshl_b64 s[22:23], s[24:25], 2
	s_add_nc_u64 s[26:27], s[4:5], s[22:23]
	s_load_b32 s25, s[26:27], 0x0
	s_wait_kmcnt 0x0
	s_cmp_eq_u32 s25, -1
	s_cbranch_scc1 .LBB29_88
; %bb.11:                               ;   in Loop: Header=BB29_10 Depth=1
	s_wait_xcnt 0x0
	s_add_nc_u64 s[26:27], s[12:13], s[22:23]
	s_mul_i32 s21, s20, s28
	s_load_b32 s26, s[26:27], 0x0
	s_wait_xcnt 0x0
	s_and_saveexec_b32 s27, s0
	s_cbranch_execz .LBB29_24
; %bb.12:                               ;   in Loop: Header=BB29_10 Depth=1
	v_dual_mov_b32 v4, v16 :: v_dual_mov_b32 v5, v8
	s_mov_b32 s37, 0
	s_branch .LBB29_14
.LBB29_13:                              ;   in Loop: Header=BB29_14 Depth=2
	s_wait_xcnt 0x0
	s_or_b32 exec_lo, exec_lo, s39
	v_add_nc_u32_e32 v5, 4, v5
	s_wait_loadcnt 0x0
	ds_store_b64 v4, v[2:3] offset:2176
	ds_store_b64 v4, v[0:1]
	v_add_nc_u32_e32 v4, 32, v4
	v_cmp_le_i32_e32 vcc_lo, s28, v5
	s_or_b32 s37, vcc_lo, s37
	s_delay_alu instid0(SALU_CYCLE_1)
	s_and_not1_b32 exec_lo, exec_lo, s37
	s_cbranch_execz .LBB29_24
.LBB29_14:                              ;   Parent Loop BB29_10 Depth=1
                                        ; =>  This Inner Loop Header: Depth=2
	s_and_b32 vcc_lo, exec_lo, s31
	s_cbranch_vccz .LBB29_21
; %bb.15:                               ;   in Loop: Header=BB29_14 Depth=2
	s_mov_b32 s39, 0
	s_mov_b32 s38, 0
                                        ; implicit-def: $vgpr6
	s_and_saveexec_b32 s40, s1
	s_delay_alu instid0(SALU_CYCLE_1)
	s_xor_b32 s40, exec_lo, s40
; %bb.16:                               ;   in Loop: Header=BB29_14 Depth=2
	v_add_nc_u32_e32 v2, s21, v5
	s_mov_b32 s38, exec_lo
	s_delay_alu instid0(VALU_DEP_1)
	v_mad_u32 v6, v2, s28, v9
; %bb.17:                               ;   in Loop: Header=BB29_14 Depth=2
	s_or_b32 exec_lo, exec_lo, s40
	s_delay_alu instid0(SALU_CYCLE_1)
	s_and_b32 vcc_lo, exec_lo, s39
	s_cbranch_vccz .LBB29_22
.LBB29_18:                              ;   in Loop: Header=BB29_14 Depth=2
                                        ; implicit-def: $vgpr6
	s_and_saveexec_b32 s39, s1
; %bb.19:                               ;   in Loop: Header=BB29_14 Depth=2
	v_add_nc_u32_e32 v6, v20, v5
	s_or_b32 s38, s38, exec_lo
; %bb.20:                               ;   in Loop: Header=BB29_14 Depth=2
	s_or_b32 exec_lo, exec_lo, s39
	v_mov_b64_e32 v[2:3], 0
	s_and_saveexec_b32 s39, s38
	s_cbranch_execz .LBB29_13
	s_branch .LBB29_23
.LBB29_21:                              ;   in Loop: Header=BB29_14 Depth=2
	s_mov_b32 s38, 0
                                        ; implicit-def: $vgpr6
	s_cbranch_execnz .LBB29_18
.LBB29_22:                              ;   in Loop: Header=BB29_14 Depth=2
	v_mov_b64_e32 v[2:3], 0
	s_and_saveexec_b32 s39, s38
	s_cbranch_execz .LBB29_13
.LBB29_23:                              ;   in Loop: Header=BB29_14 Depth=2
	global_load_b64 v[2:3], v6, s[18:19] scale_offset
	s_branch .LBB29_13
.LBB29_24:                              ;   in Loop: Header=BB29_10 Depth=1
	s_or_b32 exec_lo, exec_lo, s27
	ds_load_b32 v2, v22 offset:8960
	s_wait_kmcnt 0x0
	s_sub_co_i32 s26, s26, s3
	s_delay_alu instid0(SALU_CYCLE_1) | instskip(SKIP_4) | instid1(SALU_CYCLE_1)
	s_cmp_le_i32 s26, s25
	s_cselect_b32 s27, -1, 0
	s_wait_dscnt 0x0
	v_cmp_ge_i32_e32 vcc_lo, s24, v2
	s_and_b32 s27, s27, vcc_lo
	s_and_not1_b32 vcc_lo, exec_lo, s27
	s_mov_b32 s27, 0
	s_cbranch_vccnz .LBB29_36
; %bb.25:                               ;   in Loop: Header=BB29_10 Depth=1
	s_mov_b32 s37, 0
	s_mov_b32 s38, 0
.LBB29_26:                              ;   Parent Loop BB29_10 Depth=1
                                        ; =>  This Inner Loop Header: Depth=2
	s_ashr_i32 s27, s26, 31
	s_lshl_b32 s39, s38, 2
	s_wait_xcnt 0x0
	s_lshl_b64 s[40:41], s[26:27], 2
	v_mov_b32_e32 v2, s39
	s_add_nc_u64 s[40:41], s[14:15], s[40:41]
	s_mov_b32 s42, -1
	s_load_b32 s27, s[40:41], 0x0
                                        ; implicit-def: $sgpr41
                                        ; implicit-def: $sgpr40
	ds_load_b32 v2, v2 offset:8960
	s_wait_kmcnt 0x0
	s_sub_co_i32 s43, s27, s3
                                        ; implicit-def: $sgpr27
	s_wait_dscnt 0x0
	v_readfirstlane_b32 s39, v2
	v_cmp_ge_i32_e32 vcc_lo, s43, v2
	s_cbranch_vccz .LBB29_32
; %bb.27:                               ;   in Loop: Header=BB29_26 Depth=2
	s_cmp_le_i32 s43, s39
                                        ; implicit-def: $sgpr27
                                        ; implicit-def: $sgpr41
                                        ; implicit-def: $sgpr40
	s_cbranch_scc0 .LBB29_29
; %bb.28:                               ;   in Loop: Header=BB29_26 Depth=2
	s_add_co_i32 s27, s38, s30
	s_wait_xcnt 0x0
	s_lshl_b32 s40, s37, 2
	s_mul_i32 s27, s27, s34
	s_mul_i32 s41, s26, s34
	s_delay_alu instid0(SALU_CYCLE_1)
	v_dual_mov_b32 v2, s27 :: v_dual_mov_b32 v3, s41
	v_add_nc_u32_e64 v4, 0x2000, s40
	s_add_co_i32 s40, s38, 1
	s_add_co_i32 s41, s26, 1
	;; [unrolled: 1-line block ×3, first 2 shown]
	s_mov_b32 s42, 0
	ds_store_2addr_b32 v4, v3, v2 offset0:128 offset1:160
.LBB29_29:                              ;   in Loop: Header=BB29_26 Depth=2
	s_and_not1_b32 vcc_lo, exec_lo, s42
	s_cbranch_vccnz .LBB29_31
; %bb.30:                               ;   in Loop: Header=BB29_26 Depth=2
	s_wait_xcnt 0x0
	s_add_co_i32 s40, s38, 1
	s_mov_b32 s27, s37
	s_mov_b32 s41, s26
.LBB29_31:                              ;   in Loop: Header=BB29_26 Depth=2
	s_mov_b32 s42, 0
.LBB29_32:                              ;   in Loop: Header=BB29_26 Depth=2
	s_delay_alu instid0(SALU_CYCLE_1)
	s_and_not1_b32 vcc_lo, exec_lo, s42
	s_cbranch_vccnz .LBB29_34
; %bb.33:                               ;   in Loop: Header=BB29_26 Depth=2
	s_wait_xcnt 0x0
	s_add_co_i32 s41, s26, 1
	s_mov_b32 s40, s38
	s_mov_b32 s27, s37
.LBB29_34:                              ;   in Loop: Header=BB29_26 Depth=2
	s_cmp_le_i32 s41, s25
	s_cselect_b32 s26, -1, 0
	s_cmp_le_i32 s39, s24
	s_cselect_b32 s37, -1, 0
	s_delay_alu instid0(SALU_CYCLE_1) | instskip(NEXT) | instid1(SALU_CYCLE_1)
	s_and_b32 s26, s26, s37
	s_and_b32 vcc_lo, exec_lo, s26
	s_cbranch_vccz .LBB29_36
; %bb.35:                               ;   in Loop: Header=BB29_26 Depth=2
	s_mov_b32 s37, s27
	s_mov_b32 s26, s41
	;; [unrolled: 1-line block ×3, first 2 shown]
	s_branch .LBB29_26
.LBB29_36:                              ;   in Loop: Header=BB29_10 Depth=1
	s_add_nc_u64 s[22:23], s[6:7], s[22:23]
	s_wait_dscnt 0x0
.LBB29_37:                              ;   Parent Loop BB29_10 Depth=1
                                        ; =>  This Inner Loop Header: Depth=2
	global_load_b32 v2, v22, s[22:23] scope:SCOPE_DEV
	s_wait_loadcnt 0x0
	v_cmp_eq_u32_e32 vcc_lo, 0, v2
	s_cbranch_vccnz .LBB29_37
; %bb.38:                               ;   in Loop: Header=BB29_10 Depth=1
	global_inv scope:SCOPE_DEV
	s_wait_xcnt 0x0
	s_and_saveexec_b32 s22, s0
	s_cbranch_execz .LBB29_51
; %bb.39:                               ;   in Loop: Header=BB29_10 Depth=1
	s_mul_i32 s25, s25, s28
	s_delay_alu instid0(SALU_CYCLE_1) | instskip(SKIP_2) | instid1(VALU_DEP_2)
	v_dual_mov_b32 v6, v8 :: v_dual_add_nc_u32 v2, s25, v9
	v_mov_b32_e32 v5, v13
	s_mov_b32 s23, 0
	v_mul_lo_u32 v4, v2, s28
	s_branch .LBB29_41
.LBB29_40:                              ;   in Loop: Header=BB29_41 Depth=2
	s_wait_xcnt 0x0
	s_or_b32 exec_lo, exec_lo, s26
	v_add_nc_u32_e32 v6, 4, v6
	s_wait_loadcnt 0x0
	ds_store_b64 v5, v[2:3]
	v_add_nc_u32_e32 v5, 32, v5
	v_cmp_le_i32_e32 vcc_lo, s28, v6
	s_or_b32 s23, vcc_lo, s23
	s_delay_alu instid0(SALU_CYCLE_1)
	s_and_not1_b32 exec_lo, exec_lo, s23
	s_cbranch_execz .LBB29_51
.LBB29_41:                              ;   Parent Loop BB29_10 Depth=1
                                        ; =>  This Inner Loop Header: Depth=2
	s_and_b32 vcc_lo, exec_lo, s31
	s_cbranch_vccz .LBB29_48
; %bb.42:                               ;   in Loop: Header=BB29_41 Depth=2
	s_mov_b32 s26, 0
	s_mov_b32 s24, 0
                                        ; implicit-def: $vgpr7
	s_and_saveexec_b32 s37, s1
	s_delay_alu instid0(SALU_CYCLE_1)
	s_xor_b32 s37, exec_lo, s37
; %bb.43:                               ;   in Loop: Header=BB29_41 Depth=2
	v_add_nc_u32_e32 v2, s25, v6
	s_mov_b32 s24, exec_lo
	s_delay_alu instid0(VALU_DEP_1)
	v_mad_u32 v7, v2, s28, v9
; %bb.44:                               ;   in Loop: Header=BB29_41 Depth=2
	s_or_b32 exec_lo, exec_lo, s37
	s_delay_alu instid0(SALU_CYCLE_1)
	s_and_b32 vcc_lo, exec_lo, s26
	s_cbranch_vccz .LBB29_49
.LBB29_45:                              ;   in Loop: Header=BB29_41 Depth=2
                                        ; implicit-def: $vgpr7
	s_and_saveexec_b32 s26, s1
; %bb.46:                               ;   in Loop: Header=BB29_41 Depth=2
	s_delay_alu instid0(VALU_DEP_1)
	v_add_nc_u32_e32 v7, v4, v6
	s_or_b32 s24, s24, exec_lo
; %bb.47:                               ;   in Loop: Header=BB29_41 Depth=2
	s_or_b32 exec_lo, exec_lo, s26
	v_mov_b64_e32 v[2:3], 0
	s_and_saveexec_b32 s26, s24
	s_cbranch_execz .LBB29_40
	s_branch .LBB29_50
.LBB29_48:                              ;   in Loop: Header=BB29_41 Depth=2
	s_mov_b32 s24, 0
                                        ; implicit-def: $vgpr7
	s_cbranch_execnz .LBB29_45
.LBB29_49:                              ;   in Loop: Header=BB29_41 Depth=2
	v_mov_b64_e32 v[2:3], 0
	s_and_saveexec_b32 s26, s24
	s_cbranch_execz .LBB29_40
.LBB29_50:                              ;   in Loop: Header=BB29_41 Depth=2
	global_load_b64 v[2:3], v7, s[18:19] scale_offset
	s_branch .LBB29_40
.LBB29_51:                              ;   in Loop: Header=BB29_10 Depth=1
	s_or_b32 exec_lo, exec_lo, s22
	s_cmp_lt_i32 s27, 2
	s_cbranch_scc1 .LBB29_67
; %bb.52:                               ;   in Loop: Header=BB29_10 Depth=1
	s_add_co_i32 s22, s27, -2
	s_mov_b32 s23, 0
	s_branch .LBB29_54
.LBB29_53:                              ;   in Loop: Header=BB29_54 Depth=2
	s_or_b32 exec_lo, exec_lo, s24
	s_add_co_i32 s24, s23, 1
	s_cmp_eq_u32 s23, s22
	s_mov_b32 s23, s24
	s_cbranch_scc1 .LBB29_67
.LBB29_54:                              ;   Parent Loop BB29_10 Depth=1
                                        ; =>  This Loop Header: Depth=2
                                        ;       Child Loop BB29_56 Depth 3
	s_and_saveexec_b32 s24, s0
	s_cbranch_execz .LBB29_53
; %bb.55:                               ;   in Loop: Header=BB29_54 Depth=2
	s_lshl_b32 s25, s23, 2
	v_mov_b32_e32 v27, v8
	v_add_nc_u32_e64 v2, 0x2000, s25
	s_mov_b32 s25, 0
	ds_load_2addr_b32 v[2:3], v2 offset0:128 offset1:160
	s_wait_dscnt 0x0
	v_dual_add_nc_u32 v23, v3, v15 :: v_dual_add_nc_u32 v25, v8, v2
	v_add_nc_u32_e32 v24, v9, v3
	v_add_nc_u32_e32 v26, v17, v2
.LBB29_56:                              ;   Parent Loop BB29_10 Depth=1
                                        ;     Parent Loop BB29_54 Depth=2
                                        ; =>    This Inner Loop Header: Depth=3
	v_mov_b64_e32 v[2:3], 0
	s_delay_alu instid0(VALU_DEP_3)
	v_dual_mov_b32 v28, v25 :: v_dual_mov_b32 v29, v24
	s_mov_b32 s26, 0
	s_and_b32 vcc_lo, exec_lo, s31
	s_cbranch_vccnz .LBB29_59
	s_branch .LBB29_58
.LBB29_57:                              ;   in Loop: Header=BB29_56 Depth=3
	s_delay_alu instid0(VALU_DEP_2)
	v_mov_b64_e32 v[2:3], v[4:5]
	s_and_b32 vcc_lo, exec_lo, s31
	s_cbranch_vccnz .LBB29_59
.LBB29_58:                              ;   in Loop: Header=BB29_56 Depth=3
                                        ; implicit-def: $vgpr4_vgpr5
	s_cbranch_execz .LBB29_65
	s_branch .LBB29_62
.LBB29_59:                              ;   in Loop: Header=BB29_56 Depth=3
	global_load_b64 v[4:5], v28, s[18:19] scale_offset
	v_mov_b64_e32 v[6:7], 0
	s_wait_xcnt 0x0
	s_and_saveexec_b32 s27, s1
	s_cbranch_execz .LBB29_61
; %bb.60:                               ;   in Loop: Header=BB29_56 Depth=3
	global_load_b64 v[6:7], v29, s[18:19] scale_offset
.LBB29_61:                              ;   in Loop: Header=BB29_56 Depth=3
	s_wait_xcnt 0x0
	s_or_b32 exec_lo, exec_lo, s27
	s_wait_loadcnt 0x0
	v_fma_f64 v[4:5], v[4:5], v[6:7], v[2:3]
	s_branch .LBB29_65
.LBB29_62:                              ;   in Loop: Header=BB29_56 Depth=3
	v_add_nc_u32_e32 v4, s26, v26
	v_mov_b64_e32 v[6:7], 0
	global_load_b64 v[4:5], v4, s[18:19] scale_offset
	s_wait_xcnt 0x0
	s_and_saveexec_b32 s27, s1
	s_cbranch_execz .LBB29_64
; %bb.63:                               ;   in Loop: Header=BB29_56 Depth=3
	v_add_nc_u32_e32 v6, s26, v23
	global_load_b64 v[6:7], v6, s[18:19] scale_offset
.LBB29_64:                              ;   in Loop: Header=BB29_56 Depth=3
	s_wait_xcnt 0x0
	s_or_b32 exec_lo, exec_lo, s27
	s_wait_loadcnt 0x0
	v_fmac_f64_e32 v[2:3], v[4:5], v[6:7]
	s_delay_alu instid0(VALU_DEP_1)
	v_mov_b64_e32 v[4:5], v[2:3]
.LBB29_65:                              ;   in Loop: Header=BB29_56 Depth=3
	v_dual_add_nc_u32 v29, s28, v29 :: v_dual_add_nc_u32 v28, s28, v28
	s_add_co_i32 s26, s26, 1
	s_delay_alu instid0(SALU_CYCLE_1)
	s_cmp_eq_u32 s28, s26
	s_cbranch_scc0 .LBB29_57
; %bb.66:                               ;   in Loop: Header=BB29_56 Depth=3
	v_lshl_add_u32 v6, v27, 3, v14
	v_dual_add_nc_u32 v27, 4, v27 :: v_dual_add_nc_u32 v26, s35, v26
	v_add_nc_u32_e32 v25, 4, v25
	ds_load_b64 v[2:3], v6
	v_cmp_le_i32_e32 vcc_lo, s28, v27
	s_or_b32 s25, vcc_lo, s25
	s_wait_dscnt 0x0
	v_add_f64_e32 v[2:3], v[4:5], v[2:3]
	ds_store_b64 v6, v[2:3]
	s_and_not1_b32 exec_lo, exec_lo, s25
	s_cbranch_execnz .LBB29_56
	s_branch .LBB29_53
.LBB29_67:                              ;   in Loop: Header=BB29_10 Depth=1
	s_and_not1_b32 vcc_lo, exec_lo, s33
	s_wait_loadcnt_dscnt 0x0
	s_cbranch_vccnz .LBB29_79
; %bb.68:                               ;   in Loop: Header=BB29_10 Depth=1
	v_mov_b32_e32 v23, v19
	s_mov_b32 s22, 0
	s_mov_b32 s23, 0
	s_branch .LBB29_70
.LBB29_69:                              ;   in Loop: Header=BB29_70 Depth=2
	s_or_b32 exec_lo, exec_lo, s24
	v_add_nc_u32_e32 v23, 8, v23
	s_add_co_i32 s23, s23, 1
	s_addk_co_i32 s22, 0x88
	s_cmp_eq_u32 s23, s28
	s_wait_dscnt 0x0
	s_cbranch_scc1 .LBB29_79
.LBB29_70:                              ;   Parent Loop BB29_10 Depth=1
                                        ; =>  This Loop Header: Depth=2
                                        ;       Child Loop BB29_75 Depth 3
                                        ;       Child Loop BB29_78 Depth 3
	s_lshl_b32 s24, s23, 3
	s_mul_i32 s25, s23, 0x88
	v_add_nc_u32_e32 v24, s24, v12
	s_add_co_i32 s25, s25, s24
	s_delay_alu instid0(SALU_CYCLE_1)
	v_mov_b32_e32 v2, s25
	ds_load_b64 v[4:5], v2
	ds_load_b64 v[2:3], v24
	s_wait_dscnt 0x1
	v_cmp_neq_f64_e32 vcc_lo, 0, v[4:5]
	v_cndmask_b32_e32 v5, 0x3ff00000, v5, vcc_lo
	v_cndmask_b32_e32 v4, 0, v4, vcc_lo
	s_nor_b32 s25, vcc_lo, s2
	s_delay_alu instid0(SALU_CYCLE_1)
	s_and_saveexec_b32 s24, s25
	s_cbranch_execz .LBB29_74
; %bb.71:                               ;   in Loop: Header=BB29_70 Depth=2
	v_mbcnt_lo_u32_b32 v4, exec_lo, 0
	s_mov_b32 s25, exec_lo
	s_delay_alu instid0(VALU_DEP_1)
	v_cmpx_eq_u32_e32 0, v4
	s_cbranch_execz .LBB29_73
; %bb.72:                               ;   in Loop: Header=BB29_70 Depth=2
	v_mov_b32_e32 v4, s36
	global_atomic_min_i32 v22, v4, s[10:11] scope:SCOPE_DEV
.LBB29_73:                              ;   in Loop: Header=BB29_70 Depth=2
	s_wait_xcnt 0x0
	s_or_b32 exec_lo, exec_lo, s25
	v_mov_b64_e32 v[4:5], 1.0
.LBB29_74:                              ;   in Loop: Header=BB29_70 Depth=2
	s_or_b32 exec_lo, exec_lo, s24
	v_lshl_add_u32 v6, s23, 3, v14
	v_mov_b32_e32 v25, v12
	s_cmp_eq_u32 s23, 0
	s_mov_b32 s24, s22
	s_mov_b32 s25, s23
	ds_load_b64 v[6:7], v6
	s_cbranch_scc1 .LBB29_76
.LBB29_75:                              ;   Parent Loop BB29_10 Depth=1
                                        ;     Parent Loop BB29_70 Depth=2
                                        ; =>    This Inner Loop Header: Depth=3
	v_mov_b32_e32 v28, s24
	s_add_co_i32 s25, s25, -1
	s_add_co_i32 s24, s24, 8
	s_cmp_eq_u32 s25, 0
	ds_load_b64 v[26:27], v25
	ds_load_b64 v[28:29], v28
	v_add_nc_u32_e32 v25, 8, v25
	s_wait_dscnt 0x0
	v_fmac_f64_e32 v[6:7], v[28:29], v[26:27]
	s_cbranch_scc0 .LBB29_75
.LBB29_76:                              ;   in Loop: Header=BB29_70 Depth=2
	s_wait_dscnt 0x0
	s_delay_alu instid0(VALU_DEP_1) | instskip(NEXT) | instid1(VALU_DEP_1)
	v_add_f64_e64 v[2:3], v[2:3], -v[6:7]
	v_div_scale_f64 v[6:7], null, v[4:5], v[4:5], v[2:3]
	v_div_scale_f64 v[30:31], vcc_lo, v[2:3], v[4:5], v[2:3]
	s_delay_alu instid0(VALU_DEP_2) | instskip(SKIP_1) | instid1(TRANS32_DEP_1)
	v_rcp_f64_e32 v[26:27], v[6:7]
	v_nop
	v_fma_f64 v[28:29], -v[6:7], v[26:27], 1.0
	s_delay_alu instid0(VALU_DEP_1) | instskip(NEXT) | instid1(VALU_DEP_1)
	v_fmac_f64_e32 v[26:27], v[26:27], v[28:29]
	v_fma_f64 v[28:29], -v[6:7], v[26:27], 1.0
	s_delay_alu instid0(VALU_DEP_1) | instskip(NEXT) | instid1(VALU_DEP_1)
	v_fmac_f64_e32 v[26:27], v[26:27], v[28:29]
	v_mul_f64_e32 v[28:29], v[30:31], v[26:27]
	s_delay_alu instid0(VALU_DEP_1) | instskip(NEXT) | instid1(VALU_DEP_1)
	v_fma_f64 v[6:7], -v[6:7], v[28:29], v[30:31]
	v_div_fmas_f64 v[6:7], v[6:7], v[26:27], v[28:29]
	s_delay_alu instid0(VALU_DEP_1)
	v_div_fixup_f64 v[2:3], v[6:7], v[4:5], v[2:3]
	ds_store_b64 v24, v[2:3]
	s_wait_storecnt_dscnt 0x0
	s_and_saveexec_b32 s24, s0
	s_cbranch_execz .LBB29_69
; %bb.77:                               ;   in Loop: Header=BB29_70 Depth=2
	v_dual_mov_b32 v4, v23 :: v_dual_mov_b32 v5, v18
	v_mov_b32_e32 v6, v8
	s_mov_b32 s25, 0
.LBB29_78:                              ;   Parent Loop BB29_10 Depth=1
                                        ;     Parent Loop BB29_70 Depth=2
                                        ; =>    This Inner Loop Header: Depth=3
	ds_load_b64 v[24:25], v4
	ds_load_b64 v[26:27], v5
	v_add_nc_u32_e32 v6, 4, v6
	v_add_nc_u32_e32 v4, 0x220, v4
	s_wait_dscnt 0x0
	v_fmac_f64_e32 v[26:27], v[2:3], v[24:25]
	ds_store_b64 v5, v[26:27]
	v_add_nc_u32_e32 v5, 32, v5
	v_cmp_le_i32_e32 vcc_lo, s28, v6
	s_or_b32 s25, vcc_lo, s25
	s_delay_alu instid0(SALU_CYCLE_1)
	s_and_not1_b32 exec_lo, exec_lo, s25
	s_cbranch_execnz .LBB29_78
	s_branch .LBB29_69
.LBB29_79:                              ;   in Loop: Header=BB29_10 Depth=1
	s_and_saveexec_b32 s22, s0
	s_cbranch_execz .LBB29_9
; %bb.80:                               ;   in Loop: Header=BB29_10 Depth=1
	v_dual_mov_b32 v4, v21 :: v_dual_mov_b32 v5, v8
	s_mov_b32 s23, 0
	s_branch .LBB29_84
.LBB29_81:                              ;   in Loop: Header=BB29_84 Depth=2
	v_add_nc_u32_e32 v6, v20, v5
.LBB29_82:                              ;   in Loop: Header=BB29_84 Depth=2
	s_wait_dscnt 0x0
	global_store_b64 v6, v[2:3], s[18:19] scale_offset
.LBB29_83:                              ;   in Loop: Header=BB29_84 Depth=2
	s_wait_xcnt 0x0
	s_or_b32 exec_lo, exec_lo, s24
	v_dual_add_nc_u32 v5, 4, v5 :: v_dual_add_nc_u32 v4, 32, v4
	s_delay_alu instid0(VALU_DEP_1) | instskip(SKIP_1) | instid1(SALU_CYCLE_1)
	v_cmp_le_i32_e32 vcc_lo, s28, v5
	s_or_b32 s23, vcc_lo, s23
	s_and_not1_b32 exec_lo, exec_lo, s23
	s_cbranch_execz .LBB29_9
.LBB29_84:                              ;   Parent Loop BB29_10 Depth=1
                                        ; =>  This Inner Loop Header: Depth=2
	s_and_saveexec_b32 s24, s1
	s_cbranch_execz .LBB29_83
; %bb.85:                               ;   in Loop: Header=BB29_84 Depth=2
	ds_load_b64 v[2:3], v4
	s_and_b32 vcc_lo, exec_lo, s31
	s_cbranch_vccz .LBB29_87
; %bb.86:                               ;   in Loop: Header=BB29_84 Depth=2
	v_add_nc_u32_e32 v6, s21, v5
	s_delay_alu instid0(VALU_DEP_1)
	v_mad_u32 v6, v6, s28, v9
	s_cbranch_execnz .LBB29_82
	s_branch .LBB29_81
.LBB29_87:                              ;   in Loop: Header=BB29_84 Depth=2
                                        ; implicit-def: $vgpr6
	s_branch .LBB29_81
.LBB29_88:                              ;   in Loop: Header=BB29_10 Depth=1
                                        ; implicit-def: $sgpr20
                                        ; implicit-def: $vgpr20
	s_cbranch_execz .LBB29_10
.LBB29_89:
	v_cmp_gt_i32_e64 s0, s28, v8
	s_and_saveexec_b32 s2, s0
	s_cbranch_execz .LBB29_102
; %bb.90:
	s_mul_i32 s4, s17, s28
	v_cmp_gt_i32_e64 s1, s28, v9
	v_dual_add_nc_u32 v0, s4, v9 :: v_dual_mov_b32 v4, v8
	v_add3_u32 v3, v10, v11, 0x1100
	s_cmp_lg_u32 s29, 0
	s_mov_b32 s5, 0
	s_delay_alu instid0(VALU_DEP_2)
	v_mul_lo_u32 v2, v0, s28
	s_cselect_b32 s12, -1, 0
	s_branch .LBB29_92
.LBB29_91:                              ;   in Loop: Header=BB29_92 Depth=1
	s_wait_xcnt 0x0
	s_or_b32 exec_lo, exec_lo, s14
	v_add_nc_u32_e32 v4, 4, v4
	s_wait_loadcnt 0x0
	ds_store_b64 v3, v[0:1]
	v_add_nc_u32_e32 v3, 32, v3
	v_cmp_le_i32_e32 vcc_lo, s28, v4
	s_or_b32 s5, vcc_lo, s5
	s_delay_alu instid0(SALU_CYCLE_1)
	s_and_not1_b32 exec_lo, exec_lo, s5
	s_cbranch_execz .LBB29_102
.LBB29_92:                              ; =>This Inner Loop Header: Depth=1
	s_and_b32 vcc_lo, exec_lo, s12
	s_cbranch_vccz .LBB29_99
; %bb.93:                               ;   in Loop: Header=BB29_92 Depth=1
	s_mov_b32 s14, 0
	s_mov_b32 s13, 0
                                        ; implicit-def: $vgpr5
	s_and_saveexec_b32 s15, s1
	s_delay_alu instid0(SALU_CYCLE_1)
	s_xor_b32 s15, exec_lo, s15
; %bb.94:                               ;   in Loop: Header=BB29_92 Depth=1
	v_add_nc_u32_e32 v0, s4, v4
	s_mov_b32 s13, exec_lo
	s_delay_alu instid0(VALU_DEP_1)
	v_mad_u32 v5, v0, s28, v9
; %bb.95:                               ;   in Loop: Header=BB29_92 Depth=1
	s_or_b32 exec_lo, exec_lo, s15
	s_delay_alu instid0(SALU_CYCLE_1)
	s_and_b32 vcc_lo, exec_lo, s14
	s_cbranch_vccz .LBB29_100
.LBB29_96:                              ;   in Loop: Header=BB29_92 Depth=1
                                        ; implicit-def: $vgpr5
	s_and_saveexec_b32 s14, s1
; %bb.97:                               ;   in Loop: Header=BB29_92 Depth=1
	s_delay_alu instid0(VALU_DEP_1)
	v_add_nc_u32_e32 v5, v2, v4
	s_or_b32 s13, s13, exec_lo
; %bb.98:                               ;   in Loop: Header=BB29_92 Depth=1
	s_or_b32 exec_lo, exec_lo, s14
	v_mov_b64_e32 v[0:1], 0
	s_and_saveexec_b32 s14, s13
	s_cbranch_execz .LBB29_91
	s_branch .LBB29_101
.LBB29_99:                              ;   in Loop: Header=BB29_92 Depth=1
	s_mov_b32 s13, 0
                                        ; implicit-def: $vgpr5
	s_cbranch_execnz .LBB29_96
.LBB29_100:                             ;   in Loop: Header=BB29_92 Depth=1
	v_mov_b64_e32 v[0:1], 0
	s_and_saveexec_b32 s14, s13
	s_cbranch_execz .LBB29_91
.LBB29_101:                             ;   in Loop: Header=BB29_92 Depth=1
	global_load_b64 v[0:1], v5, s[18:19] scale_offset
	s_branch .LBB29_91
.LBB29_102:
	s_or_b32 exec_lo, exec_lo, s2
	s_cmp_lt_i32 s28, 1
	s_wait_loadcnt_dscnt 0x0
	s_cbranch_scc1 .LBB29_115
; %bb.103:
	s_movk_i32 s2, 0x88
	s_movk_i32 s1, 0x1980
	v_dual_lshlrev_b32 v1, 3, v9 :: v_dual_bitop2_b32 v0, v8, v9 bitop3:0x54
	v_mad_u32_u24 v4, v9, s2, 0x1100
	v_mad_u32_u24 v5, 0x88, v9, s1
	v_add3_u32 v12, v10, v11, 0x1980
	s_delay_alu instid0(VALU_DEP_4) | instskip(SKIP_1) | instid1(VALU_DEP_4)
	v_cmp_ne_u32_e64 s1, 0, v0
	v_mad_u32_u24 v13, v8, s2, 0x1100
	v_dual_add_nc_u32 v6, v4, v1 :: v_dual_add_nc_u32 v7, v5, v1
	v_mov_b32_e32 v14, 0
	s_mov_b32 s2, 0
	s_add_co_i32 s4, s16, s3
	s_branch .LBB29_105
.LBB29_104:                             ;   in Loop: Header=BB29_105 Depth=1
	s_or_b32 exec_lo, exec_lo, s5
	v_add_nc_u32_e32 v13, 8, v13
	s_add_co_i32 s2, s2, 1
	s_wait_storecnt_dscnt 0x0
	s_cmp_eq_u32 s2, s28
	s_cbranch_scc1 .LBB29_115
.LBB29_105:                             ; =>This Loop Header: Depth=1
                                        ;     Child Loop BB29_114 Depth 2
	s_mov_b32 s5, exec_lo
	v_cmpx_eq_u32_e64 s2, v9
	s_cbranch_execz .LBB29_107
; %bb.106:                              ;   in Loop: Header=BB29_105 Depth=1
	ds_load_b64 v[0:1], v6
	ds_load_b64 v[2:3], v7
	s_wait_dscnt 0x0
	v_add_f64_e64 v[0:1], v[0:1], -v[2:3]
	s_delay_alu instid0(VALU_DEP_1) | instskip(SKIP_1) | instid1(VALU_DEP_1)
	v_cmp_gt_f64_e32 vcc_lo, 0, v[0:1]
	v_xor_b32_e32 v2, 0x80000000, v1
	v_cndmask_b32_e32 v1, v1, v2, vcc_lo
	s_delay_alu instid0(VALU_DEP_1) | instskip(SKIP_1) | instid1(VALU_DEP_1)
	v_cmp_gt_f64_e32 vcc_lo, 0x10000000, v[0:1]
	v_cndmask_b32_e64 v2, 0, 0x100, vcc_lo
	v_ldexp_f64 v[0:1], v[0:1], v2
	s_delay_alu instid0(VALU_DEP_1) | instskip(SKIP_1) | instid1(TRANS32_DEP_1)
	v_rsq_f64_e32 v[2:3], v[0:1]
	v_nop
	v_mul_f64_e32 v[16:17], v[0:1], v[2:3]
	v_mul_f64_e32 v[2:3], 0.5, v[2:3]
	s_delay_alu instid0(VALU_DEP_1) | instskip(NEXT) | instid1(VALU_DEP_1)
	v_fma_f64 v[18:19], -v[2:3], v[16:17], 0.5
	v_fmac_f64_e32 v[16:17], v[16:17], v[18:19]
	v_fmac_f64_e32 v[2:3], v[2:3], v[18:19]
	s_delay_alu instid0(VALU_DEP_2) | instskip(NEXT) | instid1(VALU_DEP_1)
	v_fma_f64 v[18:19], -v[16:17], v[16:17], v[0:1]
	v_fmac_f64_e32 v[16:17], v[18:19], v[2:3]
	s_delay_alu instid0(VALU_DEP_1) | instskip(NEXT) | instid1(VALU_DEP_1)
	v_fma_f64 v[18:19], -v[16:17], v[16:17], v[0:1]
	v_fmac_f64_e32 v[16:17], v[18:19], v[2:3]
	v_cndmask_b32_e64 v2, 0, 0xffffff80, vcc_lo
	v_cmp_class_f64_e64 vcc_lo, v[0:1], 0x260
	s_delay_alu instid0(VALU_DEP_2) | instskip(NEXT) | instid1(VALU_DEP_1)
	v_ldexp_f64 v[2:3], v[16:17], v2
	v_dual_cndmask_b32 v1, v3, v1 :: v_dual_cndmask_b32 v0, v2, v0
	ds_store_b64 v6, v[0:1]
.LBB29_107:                             ;   in Loop: Header=BB29_105 Depth=1
	s_or_b32 exec_lo, exec_lo, s5
	s_lshl_b32 s5, s2, 3
	s_mul_i32 s12, s2, 0x88
	s_wait_dscnt 0x0
	s_add_co_i32 s12, s12, s5
	s_delay_alu instid0(SALU_CYCLE_1)
	v_dual_mov_b32 v0, s12 :: v_dual_add_nc_u32 v15, s5, v4
	ds_load_b64 v[2:3], v0 offset:4352
	ds_load_b64 v[0:1], v15
	s_wait_dscnt 0x1
	v_cmp_neq_f64_e32 vcc_lo, 0, v[2:3]
	v_cndmask_b32_e32 v3, 0x3ff00000, v3, vcc_lo
	v_cndmask_b32_e32 v2, 0, v2, vcc_lo
	s_nor_b32 s12, vcc_lo, s1
	s_delay_alu instid0(SALU_CYCLE_1)
	s_and_saveexec_b32 s5, s12
	s_cbranch_execz .LBB29_111
; %bb.108:                              ;   in Loop: Header=BB29_105 Depth=1
	v_mbcnt_lo_u32_b32 v2, exec_lo, 0
	s_mov_b32 s12, exec_lo
	s_delay_alu instid0(VALU_DEP_1)
	v_cmpx_eq_u32_e32 0, v2
	s_cbranch_execz .LBB29_110
; %bb.109:                              ;   in Loop: Header=BB29_105 Depth=1
	v_mov_b32_e32 v2, s4
	global_atomic_min_i32 v14, v2, s[10:11] scope:SCOPE_DEV
.LBB29_110:                             ;   in Loop: Header=BB29_105 Depth=1
	s_wait_xcnt 0x0
	s_or_b32 exec_lo, exec_lo, s12
	v_mov_b64_e32 v[2:3], 1.0
.LBB29_111:                             ;   in Loop: Header=BB29_105 Depth=1
	s_or_b32 exec_lo, exec_lo, s5
	s_delay_alu instid0(SALU_CYCLE_1)
	s_mov_b32 s5, exec_lo
	v_cmpx_lt_u32_e64 s2, v9
	s_cbranch_execz .LBB29_104
; %bb.112:                              ;   in Loop: Header=BB29_105 Depth=1
	v_lshl_add_u32 v16, s2, 3, v5
	ds_load_b64 v[16:17], v16
	s_wait_dscnt 0x0
	v_add_f64_e64 v[0:1], v[0:1], -v[16:17]
	s_delay_alu instid0(VALU_DEP_1) | instskip(SKIP_1) | instid1(VALU_DEP_2)
	v_div_scale_f64 v[16:17], null, v[2:3], v[2:3], v[0:1]
	v_div_scale_f64 v[22:23], vcc_lo, v[0:1], v[2:3], v[0:1]
	v_rcp_f64_e32 v[18:19], v[16:17]
	v_nop
	s_delay_alu instid0(TRANS32_DEP_1) | instskip(NEXT) | instid1(VALU_DEP_1)
	v_fma_f64 v[20:21], -v[16:17], v[18:19], 1.0
	v_fmac_f64_e32 v[18:19], v[18:19], v[20:21]
	s_delay_alu instid0(VALU_DEP_1) | instskip(NEXT) | instid1(VALU_DEP_1)
	v_fma_f64 v[20:21], -v[16:17], v[18:19], 1.0
	v_fmac_f64_e32 v[18:19], v[18:19], v[20:21]
	s_delay_alu instid0(VALU_DEP_1) | instskip(NEXT) | instid1(VALU_DEP_1)
	v_mul_f64_e32 v[20:21], v[22:23], v[18:19]
	v_fma_f64 v[16:17], -v[16:17], v[20:21], v[22:23]
	s_delay_alu instid0(VALU_DEP_1) | instskip(NEXT) | instid1(VALU_DEP_1)
	v_div_fmas_f64 v[16:17], v[16:17], v[18:19], v[20:21]
	v_div_fixup_f64 v[0:1], v[16:17], v[2:3], v[0:1]
	ds_store_b64 v15, v[0:1]
	s_wait_storecnt_dscnt 0x0
	s_and_b32 exec_lo, exec_lo, s0
	s_cbranch_execz .LBB29_104
; %bb.113:                              ;   in Loop: Header=BB29_105 Depth=1
	v_dual_mov_b32 v2, v13 :: v_dual_mov_b32 v3, v12
	v_mov_b32_e32 v15, v8
	s_mov_b32 s12, 0
.LBB29_114:                             ;   Parent Loop BB29_105 Depth=1
                                        ; =>  This Inner Loop Header: Depth=2
	ds_load_b64 v[16:17], v2
	ds_load_b64 v[18:19], v3
	v_add_nc_u32_e32 v15, 4, v15
	v_add_nc_u32_e32 v2, 0x220, v2
	s_delay_alu instid0(VALU_DEP_2)
	v_cmp_le_i32_e32 vcc_lo, s28, v15
	s_or_b32 s12, vcc_lo, s12
	s_wait_dscnt 0x0
	v_fmac_f64_e32 v[18:19], v[0:1], v[16:17]
	ds_store_b64 v3, v[18:19]
	v_add_nc_u32_e32 v3, 32, v3
	s_and_not1_b32 exec_lo, exec_lo, s12
	s_cbranch_execnz .LBB29_114
	s_branch .LBB29_104
.LBB29_115:
	s_and_saveexec_b32 s1, s0
	s_cbranch_execz .LBB29_124
; %bb.116:
	s_mul_i32 s17, s17, s28
	v_cmp_gt_i32_e64 s0, s28, v9
	v_dual_add_nc_u32 v0, s17, v9 :: v_dual_mov_b32 v4, v8
	v_add3_u32 v3, v10, v11, 0x1100
	s_cmp_lg_u32 s29, 0
	s_mov_b32 s2, 0
	s_delay_alu instid0(VALU_DEP_2)
	v_mul_lo_u32 v2, v0, s28
	s_cselect_b32 s4, -1, 0
	s_branch .LBB29_120
.LBB29_117:                             ;   in Loop: Header=BB29_120 Depth=1
	v_add_nc_u32_e32 v5, v2, v4
.LBB29_118:                             ;   in Loop: Header=BB29_120 Depth=1
	s_wait_dscnt 0x0
	global_store_b64 v5, v[0:1], s[18:19] scale_offset
.LBB29_119:                             ;   in Loop: Header=BB29_120 Depth=1
	s_wait_xcnt 0x0
	s_or_b32 exec_lo, exec_lo, s5
	v_dual_add_nc_u32 v4, 4, v4 :: v_dual_add_nc_u32 v3, 32, v3
	s_delay_alu instid0(VALU_DEP_1) | instskip(SKIP_1) | instid1(SALU_CYCLE_1)
	v_cmp_le_i32_e32 vcc_lo, s28, v4
	s_or_b32 s2, vcc_lo, s2
	s_and_not1_b32 exec_lo, exec_lo, s2
	s_cbranch_execz .LBB29_124
.LBB29_120:                             ; =>This Inner Loop Header: Depth=1
	s_and_saveexec_b32 s5, s0
	s_cbranch_execz .LBB29_119
; %bb.121:                              ;   in Loop: Header=BB29_120 Depth=1
	ds_load_b64 v[0:1], v3
	s_and_b32 vcc_lo, exec_lo, s4
	s_cbranch_vccz .LBB29_123
; %bb.122:                              ;   in Loop: Header=BB29_120 Depth=1
	v_add_nc_u32_e32 v5, s17, v4
	s_delay_alu instid0(VALU_DEP_1)
	v_mad_u32 v5, v5, s28, v9
	s_cbranch_execnz .LBB29_118
	s_branch .LBB29_117
.LBB29_123:                             ;   in Loop: Header=BB29_120 Depth=1
                                        ; implicit-def: $vgpr5
	s_branch .LBB29_117
.LBB29_124:
	s_or_b32 exec_lo, exec_lo, s1
	v_or_b32_e32 v0, v8, v9
	s_mov_b32 s0, 0
	s_mov_b32 s1, exec_lo
	s_delay_alu instid0(VALU_DEP_1)
	v_cmpx_eq_u32_e32 0, v0
	s_cbranch_execz .LBB29_126
; %bb.125:
	v_dual_mov_b32 v0, 0 :: v_dual_mov_b32 v1, 1
	s_add_nc_u64 s[4:5], s[6:7], s[8:9]
	global_wb scope:SCOPE_DEV
	s_wait_storecnt 0x0
	global_store_b32 v0, v1, s[4:5] scope:SCOPE_DEV
.LBB29_126:
	s_wait_xcnt 0x0
	s_or_b32 exec_lo, exec_lo, s1
	s_delay_alu instid0(SALU_CYCLE_1)
	s_and_b32 vcc_lo, exec_lo, s0
	s_cbranch_vccnz .LBB29_129
.LBB29_127:
	s_endpgm
.LBB29_128:
	s_cbranch_execz .LBB29_127
.LBB29_129:
	v_or_b32_e32 v0, v8, v9
	s_mov_b32 s0, exec_lo
	s_delay_alu instid0(VALU_DEP_1)
	v_cmpx_eq_u32_e32 0, v0
	s_cbranch_execz .LBB29_127
; %bb.130:
	v_mbcnt_lo_u32_b32 v0, exec_lo, 0
	s_mov_b32 s0, exec_lo
	s_delay_alu instid0(VALU_DEP_1)
	v_cmpx_eq_u32_e32 0, v0
	s_cbranch_execz .LBB29_132
; %bb.131:
	s_add_co_i32 s1, s16, s3
	s_delay_alu instid0(SALU_CYCLE_1)
	v_dual_mov_b32 v0, 0 :: v_dual_mov_b32 v1, s1
	global_atomic_min_i32 v0, v1, s[10:11] scope:SCOPE_DEV
.LBB29_132:
	s_wait_xcnt 0x0
	s_or_b32 exec_lo, exec_lo, s0
	v_dual_mov_b32 v0, 0 :: v_dual_mov_b32 v1, 1
	s_add_nc_u64 s[0:1], s[6:7], s[8:9]
	global_wb scope:SCOPE_DEV
	s_wait_storecnt 0x0
	global_store_b32 v0, v1, s[0:1] scope:SCOPE_DEV
	s_endpgm
	.section	.rodata,"a",@progbits
	.p2align	6, 0x0
	.amdhsa_kernel _ZN9rocsparseL18bsric0_9_16_kernelILi64ELi32ELi16EdEEv20rocsparse_direction_iiPKiS3_PT2_S3_PiS3_S6_21rocsparse_index_base_
		.amdhsa_group_segment_fixed_size 9088
		.amdhsa_private_segment_fixed_size 0
		.amdhsa_kernarg_size 76
		.amdhsa_user_sgpr_count 2
		.amdhsa_user_sgpr_dispatch_ptr 0
		.amdhsa_user_sgpr_queue_ptr 0
		.amdhsa_user_sgpr_kernarg_segment_ptr 1
		.amdhsa_user_sgpr_dispatch_id 0
		.amdhsa_user_sgpr_kernarg_preload_length 0
		.amdhsa_user_sgpr_kernarg_preload_offset 0
		.amdhsa_user_sgpr_private_segment_size 0
		.amdhsa_wavefront_size32 1
		.amdhsa_uses_dynamic_stack 0
		.amdhsa_enable_private_segment 0
		.amdhsa_system_sgpr_workgroup_id_x 1
		.amdhsa_system_sgpr_workgroup_id_y 0
		.amdhsa_system_sgpr_workgroup_id_z 0
		.amdhsa_system_sgpr_workgroup_info 0
		.amdhsa_system_vgpr_workitem_id 1
		.amdhsa_next_free_vgpr 97
		.amdhsa_next_free_sgpr 44
		.amdhsa_named_barrier_count 0
		.amdhsa_reserve_vcc 1
		.amdhsa_float_round_mode_32 0
		.amdhsa_float_round_mode_16_64 0
		.amdhsa_float_denorm_mode_32 3
		.amdhsa_float_denorm_mode_16_64 3
		.amdhsa_fp16_overflow 0
		.amdhsa_memory_ordered 1
		.amdhsa_forward_progress 1
		.amdhsa_inst_pref_size 32
		.amdhsa_round_robin_scheduling 0
		.amdhsa_exception_fp_ieee_invalid_op 0
		.amdhsa_exception_fp_denorm_src 0
		.amdhsa_exception_fp_ieee_div_zero 0
		.amdhsa_exception_fp_ieee_overflow 0
		.amdhsa_exception_fp_ieee_underflow 0
		.amdhsa_exception_fp_ieee_inexact 0
		.amdhsa_exception_int_div_zero 0
	.end_amdhsa_kernel
	.section	.text._ZN9rocsparseL18bsric0_9_16_kernelILi64ELi32ELi16EdEEv20rocsparse_direction_iiPKiS3_PT2_S3_PiS3_S6_21rocsparse_index_base_,"axG",@progbits,_ZN9rocsparseL18bsric0_9_16_kernelILi64ELi32ELi16EdEEv20rocsparse_direction_iiPKiS3_PT2_S3_PiS3_S6_21rocsparse_index_base_,comdat
.Lfunc_end29:
	.size	_ZN9rocsparseL18bsric0_9_16_kernelILi64ELi32ELi16EdEEv20rocsparse_direction_iiPKiS3_PT2_S3_PiS3_S6_21rocsparse_index_base_, .Lfunc_end29-_ZN9rocsparseL18bsric0_9_16_kernelILi64ELi32ELi16EdEEv20rocsparse_direction_iiPKiS3_PT2_S3_PiS3_S6_21rocsparse_index_base_
                                        ; -- End function
	.set _ZN9rocsparseL18bsric0_9_16_kernelILi64ELi32ELi16EdEEv20rocsparse_direction_iiPKiS3_PT2_S3_PiS3_S6_21rocsparse_index_base_.num_vgpr, 32
	.set _ZN9rocsparseL18bsric0_9_16_kernelILi64ELi32ELi16EdEEv20rocsparse_direction_iiPKiS3_PT2_S3_PiS3_S6_21rocsparse_index_base_.num_agpr, 0
	.set _ZN9rocsparseL18bsric0_9_16_kernelILi64ELi32ELi16EdEEv20rocsparse_direction_iiPKiS3_PT2_S3_PiS3_S6_21rocsparse_index_base_.numbered_sgpr, 44
	.set _ZN9rocsparseL18bsric0_9_16_kernelILi64ELi32ELi16EdEEv20rocsparse_direction_iiPKiS3_PT2_S3_PiS3_S6_21rocsparse_index_base_.num_named_barrier, 0
	.set _ZN9rocsparseL18bsric0_9_16_kernelILi64ELi32ELi16EdEEv20rocsparse_direction_iiPKiS3_PT2_S3_PiS3_S6_21rocsparse_index_base_.private_seg_size, 0
	.set _ZN9rocsparseL18bsric0_9_16_kernelILi64ELi32ELi16EdEEv20rocsparse_direction_iiPKiS3_PT2_S3_PiS3_S6_21rocsparse_index_base_.uses_vcc, 1
	.set _ZN9rocsparseL18bsric0_9_16_kernelILi64ELi32ELi16EdEEv20rocsparse_direction_iiPKiS3_PT2_S3_PiS3_S6_21rocsparse_index_base_.uses_flat_scratch, 0
	.set _ZN9rocsparseL18bsric0_9_16_kernelILi64ELi32ELi16EdEEv20rocsparse_direction_iiPKiS3_PT2_S3_PiS3_S6_21rocsparse_index_base_.has_dyn_sized_stack, 0
	.set _ZN9rocsparseL18bsric0_9_16_kernelILi64ELi32ELi16EdEEv20rocsparse_direction_iiPKiS3_PT2_S3_PiS3_S6_21rocsparse_index_base_.has_recursion, 0
	.set _ZN9rocsparseL18bsric0_9_16_kernelILi64ELi32ELi16EdEEv20rocsparse_direction_iiPKiS3_PT2_S3_PiS3_S6_21rocsparse_index_base_.has_indirect_call, 0
	.section	.AMDGPU.csdata,"",@progbits
; Kernel info:
; codeLenInByte = 4028
; TotalNumSgprs: 46
; NumVgprs: 32
; ScratchSize: 0
; MemoryBound: 0
; FloatMode: 240
; IeeeMode: 1
; LDSByteSize: 9088 bytes/workgroup (compile time only)
; SGPRBlocks: 0
; VGPRBlocks: 6
; NumSGPRsForWavesPerEU: 46
; NumVGPRsForWavesPerEU: 97
; NamedBarCnt: 0
; Occupancy: 9
; WaveLimiterHint : 1
; COMPUTE_PGM_RSRC2:SCRATCH_EN: 0
; COMPUTE_PGM_RSRC2:USER_SGPR: 2
; COMPUTE_PGM_RSRC2:TRAP_HANDLER: 0
; COMPUTE_PGM_RSRC2:TGID_X_EN: 1
; COMPUTE_PGM_RSRC2:TGID_Y_EN: 0
; COMPUTE_PGM_RSRC2:TGID_Z_EN: 0
; COMPUTE_PGM_RSRC2:TIDIG_COMP_CNT: 1
	.section	.text._ZN9rocsparseL19bsric0_17_32_kernelILi64ELi32ELi32EdEEv20rocsparse_direction_iiPKiS3_PT2_S3_PiS3_S6_21rocsparse_index_base_,"axG",@progbits,_ZN9rocsparseL19bsric0_17_32_kernelILi64ELi32ELi32EdEEv20rocsparse_direction_iiPKiS3_PT2_S3_PiS3_S6_21rocsparse_index_base_,comdat
	.globl	_ZN9rocsparseL19bsric0_17_32_kernelILi64ELi32ELi32EdEEv20rocsparse_direction_iiPKiS3_PT2_S3_PiS3_S6_21rocsparse_index_base_ ; -- Begin function _ZN9rocsparseL19bsric0_17_32_kernelILi64ELi32ELi32EdEEv20rocsparse_direction_iiPKiS3_PT2_S3_PiS3_S6_21rocsparse_index_base_
	.p2align	8
	.type	_ZN9rocsparseL19bsric0_17_32_kernelILi64ELi32ELi32EdEEv20rocsparse_direction_iiPKiS3_PT2_S3_PiS3_S6_21rocsparse_index_base_,@function
_ZN9rocsparseL19bsric0_17_32_kernelILi64ELi32ELi32EdEEv20rocsparse_direction_iiPKiS3_PT2_S3_PiS3_S6_21rocsparse_index_base_: ; @_ZN9rocsparseL19bsric0_17_32_kernelILi64ELi32ELi32EdEEv20rocsparse_direction_iiPKiS3_PT2_S3_PiS3_S6_21rocsparse_index_base_
; %bb.0:
	s_load_b256 s[4:11], s[0:1], 0x28
	s_bfe_u32 s2, ttmp6, 0x4000c
	s_and_b32 s3, ttmp6, 15
	s_add_co_i32 s2, s2, 1
	s_getreg_b32 s12, hwreg(HW_REG_IB_STS2, 6, 4)
	s_mul_i32 s2, ttmp9, s2
	v_and_b32_e32 v8, 0x3ff, v0
	s_add_co_i32 s3, s3, s2
	s_cmp_eq_u32 s12, 0
	v_bfe_u32 v9, v0, 10, 10
	s_cselect_b32 s2, ttmp9, s3
	s_wait_kmcnt 0x0
	s_load_b32 s16, s[8:9], s2 offset:0x0 scale_offset
	s_wait_kmcnt 0x0
	s_ashr_i32 s17, s16, 31
	s_delay_alu instid0(SALU_CYCLE_1) | instskip(NEXT) | instid1(SALU_CYCLE_1)
	s_lshl_b64 s[8:9], s[16:17], 2
	s_add_nc_u64 s[12:13], s[4:5], s[8:9]
	s_load_b32 s17, s[12:13], 0x0
	s_load_b32 s3, s[0:1], 0x48
	s_wait_kmcnt 0x0
	s_cmp_lg_u32 s17, -1
	s_cbranch_scc0 .LBB30_118
; %bb.1:
	s_clause 0x1
	s_load_b128 s[12:15], s[0:1], 0x10
	s_load_b64 s[18:19], s[0:1], 0x20
	v_dual_lshlrev_b32 v0, 1, v9 :: v_dual_lshlrev_b32 v12, 3, v9
	s_wait_kmcnt 0x0
	s_add_nc_u64 s[20:21], s[12:13], s[8:9]
	s_load_b32 s2, s[20:21], 0x0
	s_wait_kmcnt 0x0
	s_sub_co_i32 s30, s2, s3
	s_mov_b32 s2, exec_lo
	v_add3_u32 v0, v0, v8, s30
	s_delay_alu instid0(VALU_DEP_1)
	v_cmpx_ge_i32_e64 s17, v0
	s_cbranch_execz .LBB30_4
; %bb.2:
	v_lshlrev_b32_e32 v1, 2, v8
	s_mov_b32 s20, 0
	s_delay_alu instid0(VALU_DEP_1)
	v_add3_u32 v1, v12, v1, 0x6400
.LBB30_3:                               ; =>This Inner Loop Header: Depth=1
	global_load_b32 v2, v0, s[14:15] scale_offset
	s_wait_xcnt 0x0
	v_add_nc_u32_e32 v0, 64, v0
	s_delay_alu instid0(VALU_DEP_1)
	v_cmp_lt_i32_e32 vcc_lo, s17, v0
	s_or_b32 s20, vcc_lo, s20
	s_wait_loadcnt 0x0
	v_subrev_nc_u32_e32 v2, s3, v2
	ds_store_b32 v1, v2
	v_add_nc_u32_e32 v1, 0x100, v1
	s_and_not1_b32 exec_lo, exec_lo, s20
	s_cbranch_execnz .LBB30_3
.LBB30_4:
	s_or_b32 exec_lo, exec_lo, s2
	v_mul_u32_u24_e32 v10, 0x108, v9
	v_lshlrev_b32_e32 v11, 3, v8
	s_mov_b32 s2, exec_lo
	v_cmpx_gt_u32_e32 32, v8
	s_cbranch_execz .LBB30_7
; %bb.5:
	v_mov_b64_e32 v[0:1], 0
	v_add_nc_u32_e32 v2, -2, v8
	v_add3_u32 v3, v10, v11, 0x4200
	s_mov_b32 s20, 0
.LBB30_6:                               ; =>This Inner Loop Header: Depth=1
	s_delay_alu instid0(VALU_DEP_2) | instskip(SKIP_4) | instid1(SALU_CYCLE_1)
	v_add_nc_u32_e32 v2, 2, v2
	ds_store_b64 v3, v[0:1]
	v_add_nc_u32_e32 v3, 16, v3
	v_cmp_lt_u32_e32 vcc_lo, 29, v2
	s_or_b32 s20, vcc_lo, s20
	s_and_not1_b32 exec_lo, exec_lo, s20
	s_cbranch_execnz .LBB30_6
.LBB30_7:
	s_or_b32 exec_lo, exec_lo, s2
	s_clause 0x1
	s_load_b32 s28, s[0:1], 0x8
	s_load_b32 s29, s[0:1], 0x0
	s_cmp_ge_i32 s30, s17
	s_wait_dscnt 0x0
	s_wait_kmcnt 0x0
	v_cmp_gt_i32_e64 s0, s28, v8
	s_cbranch_scc1 .LBB30_79
; %bb.8:
	v_mad_u32 v0, s28, s30, v9
	v_dual_mov_b32 v21, 0 :: v_dual_bitop2_b32 v1, v8, v9 bitop3:0x54
	v_mul_lo_u32 v14, s28, v9
	v_mul_lo_u32 v16, v8, s28
	v_mad_u32_u24 v15, 0x108, v9, v11
	s_cmp_eq_u32 s29, 0
	s_movk_i32 s20, 0x2100
	v_cmp_ne_u32_e64 s2, 0, v1
	s_cselect_b32 s31, -1, 0
	s_cmp_lg_u32 s29, 0
	v_mul_lo_u32 v19, s28, v0
	v_mov_b64_e32 v[0:1], 0
	v_cmp_gt_i32_e64 s1, s28, v9
	v_mad_u32_u24 v13, 0x108, v9, s20
	v_add_nc_u32_e32 v17, 0x4200, v15
	v_mad_u32_u24 v18, 0x108, v8, s20
	v_add_nc_u32_e32 v20, 0x2100, v15
	s_cselect_b32 s33, -1, 0
	s_cmp_gt_i32 s28, 0
	s_mul_i32 s35, s28, s28
	s_cselect_b32 s34, -1, 0
	s_lshl_b32 s36, s28, 1
	s_mov_b32 s20, s30
	s_branch .LBB30_10
.LBB30_9:                               ;   in Loop: Header=BB30_10 Depth=1
	s_or_b32 exec_lo, exec_lo, s22
	s_add_co_i32 s20, s20, 1
	v_add_nc_u32_e32 v19, s35, v19
	s_cmp_ge_i32 s20, s17
	global_wb scope:SCOPE_DEV
	s_wait_storecnt 0x0
	global_inv scope:SCOPE_DEV
	s_cselect_b32 s21, -1, 0
	s_delay_alu instid0(SALU_CYCLE_1)
	s_and_b32 vcc_lo, exec_lo, s21
	s_cbranch_vccnz .LBB30_79
.LBB30_10:                              ; =>This Loop Header: Depth=1
                                        ;     Child Loop BB30_14 Depth 2
                                        ;     Child Loop BB30_26 Depth 2
	;; [unrolled: 1-line block ×4, first 2 shown]
                                        ;       Child Loop BB30_43 Depth 3
                                        ;         Child Loop BB30_48 Depth 4
                                        ;     Child Loop BB30_57 Depth 2
                                        ;       Child Loop BB30_64 Depth 3
                                        ;       Child Loop BB30_68 Depth 3
                                        ;     Child Loop BB30_73 Depth 2
	s_ashr_i32 s21, s20, 31
	s_delay_alu instid0(SALU_CYCLE_1) | instskip(NEXT) | instid1(SALU_CYCLE_1)
	s_lshl_b64 s[22:23], s[20:21], 2
	s_add_nc_u64 s[22:23], s[14:15], s[22:23]
	s_load_b32 s37, s[22:23], 0x0
	s_wait_kmcnt 0x0
	s_sub_co_i32 s24, s37, s3
	s_delay_alu instid0(SALU_CYCLE_1) | instskip(SKIP_2) | instid1(SALU_CYCLE_1)
	s_ashr_i32 s25, s24, 31
	s_wait_xcnt 0x0
	s_lshl_b64 s[22:23], s[24:25], 2
	s_add_nc_u64 s[26:27], s[4:5], s[22:23]
	s_load_b32 s25, s[26:27], 0x0
	s_wait_kmcnt 0x0
	s_cmp_eq_u32 s25, -1
	s_cbranch_scc1 .LBB30_78
; %bb.11:                               ;   in Loop: Header=BB30_10 Depth=1
	s_wait_xcnt 0x0
	s_add_nc_u64 s[26:27], s[12:13], s[22:23]
	s_mul_i32 s21, s20, s28
	s_load_b32 s26, s[26:27], 0x0
	s_wait_xcnt 0x0
	s_and_saveexec_b32 s27, s0
	s_cbranch_execz .LBB30_24
; %bb.12:                               ;   in Loop: Header=BB30_10 Depth=1
	v_dual_mov_b32 v4, v15 :: v_dual_mov_b32 v5, v8
	s_mov_b32 s38, 0
	s_branch .LBB30_14
.LBB30_13:                              ;   in Loop: Header=BB30_14 Depth=2
	s_wait_xcnt 0x0
	s_or_b32 exec_lo, exec_lo, s40
	v_add_nc_u32_e32 v5, 2, v5
	s_wait_loadcnt 0x0
	ds_store_b64 v4, v[2:3] offset:8448
	ds_store_b64 v4, v[0:1]
	v_add_nc_u32_e32 v4, 16, v4
	v_cmp_le_i32_e32 vcc_lo, s28, v5
	s_or_b32 s38, vcc_lo, s38
	s_delay_alu instid0(SALU_CYCLE_1)
	s_and_not1_b32 exec_lo, exec_lo, s38
	s_cbranch_execz .LBB30_24
.LBB30_14:                              ;   Parent Loop BB30_10 Depth=1
                                        ; =>  This Inner Loop Header: Depth=2
	s_mov_b32 s40, -1
	s_and_b32 vcc_lo, exec_lo, s33
	s_mov_b32 s39, 0
                                        ; implicit-def: $vgpr6
	s_cbranch_vccz .LBB30_19
; %bb.15:                               ;   in Loop: Header=BB30_14 Depth=2
	s_mov_b32 s40, 0
                                        ; implicit-def: $vgpr6
	s_and_saveexec_b32 s41, s1
	s_delay_alu instid0(SALU_CYCLE_1)
	s_xor_b32 s41, exec_lo, s41
; %bb.16:                               ;   in Loop: Header=BB30_14 Depth=2
	v_add_nc_u32_e32 v2, s21, v5
	s_mov_b32 s39, exec_lo
	s_delay_alu instid0(VALU_DEP_1)
	v_mad_u32 v6, v2, s28, v9
; %bb.17:                               ;   in Loop: Header=BB30_14 Depth=2
	s_or_b32 exec_lo, exec_lo, s41
	s_delay_alu instid0(SALU_CYCLE_1)
	s_and_b32 vcc_lo, exec_lo, s40
	s_cbranch_vccnz .LBB30_20
.LBB30_18:                              ;   in Loop: Header=BB30_14 Depth=2
	v_mov_b64_e32 v[2:3], 0
	s_and_saveexec_b32 s40, s39
	s_cbranch_execz .LBB30_13
	s_branch .LBB30_23
.LBB30_19:                              ;   in Loop: Header=BB30_14 Depth=2
	s_and_b32 vcc_lo, exec_lo, s40
	s_cbranch_vccz .LBB30_18
.LBB30_20:                              ;   in Loop: Header=BB30_14 Depth=2
                                        ; implicit-def: $vgpr6
	s_and_saveexec_b32 s40, s1
; %bb.21:                               ;   in Loop: Header=BB30_14 Depth=2
	v_add_nc_u32_e32 v6, v19, v5
	s_or_b32 s39, s39, exec_lo
; %bb.22:                               ;   in Loop: Header=BB30_14 Depth=2
	s_or_b32 exec_lo, exec_lo, s40
	v_mov_b64_e32 v[2:3], 0
	s_and_saveexec_b32 s40, s39
	s_cbranch_execz .LBB30_13
.LBB30_23:                              ;   in Loop: Header=BB30_14 Depth=2
	global_load_b64 v[2:3], v6, s[18:19] scale_offset
	s_branch .LBB30_13
.LBB30_24:                              ;   in Loop: Header=BB30_10 Depth=1
	s_or_b32 exec_lo, exec_lo, s27
	ds_load_b32 v2, v21 offset:25600
	s_wait_kmcnt 0x0
	s_sub_co_i32 s26, s26, s3
	s_delay_alu instid0(SALU_CYCLE_1) | instskip(SKIP_4) | instid1(SALU_CYCLE_1)
	s_cmp_le_i32 s26, s25
	s_cselect_b32 s27, -1, 0
	s_wait_dscnt 0x0
	v_cmp_ge_i32_e32 vcc_lo, s24, v2
	s_and_b32 s27, s27, vcc_lo
	s_and_not1_b32 vcc_lo, exec_lo, s27
	s_mov_b32 s27, 0
	s_cbranch_vccnz .LBB30_36
; %bb.25:                               ;   in Loop: Header=BB30_10 Depth=1
	s_mov_b32 s38, 0
	s_mov_b32 s39, 0
.LBB30_26:                              ;   Parent Loop BB30_10 Depth=1
                                        ; =>  This Inner Loop Header: Depth=2
	s_ashr_i32 s27, s26, 31
	s_lshl_b32 s42, s39, 2
	s_lshl_b64 s[40:41], s[26:27], 2
	v_mov_b32_e32 v2, s42
	s_add_nc_u64 s[40:41], s[14:15], s[40:41]
	s_mov_b32 s43, -1
	s_load_b32 s27, s[40:41], 0x0
                                        ; implicit-def: $sgpr42
                                        ; implicit-def: $sgpr41
	ds_load_b32 v2, v2 offset:25600
	s_wait_kmcnt 0x0
	s_sub_co_i32 s44, s27, s3
                                        ; implicit-def: $sgpr27
	s_wait_dscnt 0x0
	s_wait_xcnt 0x0
	v_readfirstlane_b32 s40, v2
	v_cmp_ge_i32_e32 vcc_lo, s44, v2
	s_cbranch_vccz .LBB30_32
; %bb.27:                               ;   in Loop: Header=BB30_26 Depth=2
	s_cmp_le_i32 s44, s40
                                        ; implicit-def: $sgpr27
                                        ; implicit-def: $sgpr42
                                        ; implicit-def: $sgpr41
	s_cbranch_scc0 .LBB30_29
; %bb.28:                               ;   in Loop: Header=BB30_26 Depth=2
	s_add_co_i32 s27, s39, s30
	s_lshl_b32 s41, s38, 2
	s_mul_i32 s27, s27, s35
	s_mul_i32 s42, s26, s35
	s_delay_alu instid0(SALU_CYCLE_1)
	v_dual_mov_b32 v2, s27 :: v_dual_mov_b32 v3, s42
	v_add_nc_u32_e64 v4, 0x6000, s41
	s_add_co_i32 s41, s39, 1
	s_add_co_i32 s42, s26, 1
	;; [unrolled: 1-line block ×3, first 2 shown]
	s_mov_b32 s43, 0
	ds_store_2addr_b32 v4, v3, v2 offset0:192 offset1:224
.LBB30_29:                              ;   in Loop: Header=BB30_26 Depth=2
	s_and_not1_b32 vcc_lo, exec_lo, s43
	s_cbranch_vccnz .LBB30_31
; %bb.30:                               ;   in Loop: Header=BB30_26 Depth=2
	s_add_co_i32 s41, s39, 1
	s_mov_b32 s27, s38
	s_mov_b32 s42, s26
.LBB30_31:                              ;   in Loop: Header=BB30_26 Depth=2
	s_mov_b32 s43, 0
.LBB30_32:                              ;   in Loop: Header=BB30_26 Depth=2
	s_delay_alu instid0(SALU_CYCLE_1)
	s_and_not1_b32 vcc_lo, exec_lo, s43
	s_cbranch_vccnz .LBB30_34
; %bb.33:                               ;   in Loop: Header=BB30_26 Depth=2
	s_add_co_i32 s42, s26, 1
	s_mov_b32 s41, s39
	s_mov_b32 s27, s38
.LBB30_34:                              ;   in Loop: Header=BB30_26 Depth=2
	s_cmp_le_i32 s42, s25
	s_cselect_b32 s26, -1, 0
	s_cmp_le_i32 s40, s24
	s_cselect_b32 s38, -1, 0
	s_delay_alu instid0(SALU_CYCLE_1) | instskip(NEXT) | instid1(SALU_CYCLE_1)
	s_and_b32 s26, s26, s38
	s_and_b32 vcc_lo, exec_lo, s26
	s_cbranch_vccz .LBB30_36
; %bb.35:                               ;   in Loop: Header=BB30_26 Depth=2
	s_mov_b32 s38, s27
	s_mov_b32 s26, s42
	;; [unrolled: 1-line block ×3, first 2 shown]
	s_branch .LBB30_26
.LBB30_36:                              ;   in Loop: Header=BB30_10 Depth=1
	s_add_nc_u64 s[22:23], s[6:7], s[22:23]
	s_wait_dscnt 0x0
.LBB30_37:                              ;   Parent Loop BB30_10 Depth=1
                                        ; =>  This Inner Loop Header: Depth=2
	global_load_b32 v2, v21, s[22:23] scope:SCOPE_DEV
	s_wait_loadcnt 0x0
	v_cmp_eq_u32_e32 vcc_lo, 0, v2
	s_cbranch_vccnz .LBB30_37
; %bb.38:                               ;   in Loop: Header=BB30_10 Depth=1
	s_cmp_lt_i32 s27, 2
	global_inv scope:SCOPE_DEV
	s_cbranch_scc1 .LBB30_54
; %bb.39:                               ;   in Loop: Header=BB30_10 Depth=1
	s_wait_xcnt 0x0
	s_add_co_i32 s22, s27, -2
	s_mov_b32 s23, 0
	s_branch .LBB30_41
.LBB30_40:                              ;   in Loop: Header=BB30_41 Depth=2
	s_or_b32 exec_lo, exec_lo, s24
	s_add_co_i32 s24, s23, 1
	s_cmp_eq_u32 s23, s22
	s_mov_b32 s23, s24
	s_cbranch_scc1 .LBB30_54
.LBB30_41:                              ;   Parent Loop BB30_10 Depth=1
                                        ; =>  This Loop Header: Depth=2
                                        ;       Child Loop BB30_43 Depth 3
                                        ;         Child Loop BB30_48 Depth 4
	s_and_saveexec_b32 s24, s0
	s_cbranch_execz .LBB30_40
; %bb.42:                               ;   in Loop: Header=BB30_41 Depth=2
	s_lshl_b32 s26, s23, 2
	v_mov_b32_e32 v26, v8
	v_add_nc_u32_e64 v2, 0x6000, s26
	s_mov_b32 s26, 0
	ds_load_2addr_b32 v[2:3], v2 offset0:192 offset1:224
	s_wait_dscnt 0x0
	v_dual_add_nc_u32 v22, v3, v14 :: v_dual_add_nc_u32 v23, v9, v3
	v_add_nc_u32_e32 v24, v8, v2
	v_add_nc_u32_e32 v25, v16, v2
.LBB30_43:                              ;   Parent Loop BB30_10 Depth=1
                                        ;     Parent Loop BB30_41 Depth=2
                                        ; =>    This Loop Header: Depth=3
                                        ;         Child Loop BB30_48 Depth 4
	v_mov_b64_e32 v[2:3], 0
	s_delay_alu instid0(VALU_DEP_3)
	v_dual_mov_b32 v27, v24 :: v_dual_mov_b32 v28, v23
	s_mov_b32 s27, 0
	s_and_b32 vcc_lo, exec_lo, s33
	s_mov_b32 s38, -1
                                        ; implicit-def: $vgpr4_vgpr5
	s_cbranch_vccz .LBB30_48
	s_branch .LBB30_45
.LBB30_44:                              ;   in Loop: Header=BB30_48 Depth=4
	s_delay_alu instid0(VALU_DEP_2)
	v_mov_b64_e32 v[2:3], v[4:5]
	s_and_b32 vcc_lo, exec_lo, s33
	s_mov_b32 s38, -1
                                        ; implicit-def: $vgpr4_vgpr5
	s_cbranch_vccz .LBB30_48
.LBB30_45:                              ;   in Loop: Header=BB30_43 Depth=3
	global_load_b64 v[4:5], v27, s[18:19] scale_offset
	v_mov_b64_e32 v[6:7], 0
	s_wait_xcnt 0x0
	s_and_saveexec_b32 s38, s1
	s_cbranch_execz .LBB30_47
; %bb.46:                               ;   in Loop: Header=BB30_43 Depth=3
	global_load_b64 v[6:7], v28, s[18:19] scale_offset
.LBB30_47:                              ;   in Loop: Header=BB30_43 Depth=3
	s_wait_xcnt 0x0
	s_or_b32 exec_lo, exec_lo, s38
	s_wait_loadcnt 0x0
	v_fma_f64 v[4:5], v[4:5], v[6:7], v[2:3]
	s_mov_b32 s38, 0
.LBB30_48:                              ;   Parent Loop BB30_10 Depth=1
                                        ;     Parent Loop BB30_41 Depth=2
                                        ;       Parent Loop BB30_43 Depth=3
                                        ; =>      This Inner Loop Header: Depth=4
	s_delay_alu instid0(SALU_CYCLE_1)
	s_and_b32 vcc_lo, exec_lo, s38
	s_cbranch_vccz .LBB30_52
; %bb.49:                               ;   in Loop: Header=BB30_48 Depth=4
	v_add_nc_u32_e32 v4, s27, v25
	v_mov_b64_e32 v[6:7], 0
	global_load_b64 v[4:5], v4, s[18:19] scale_offset
	s_wait_xcnt 0x0
	s_and_saveexec_b32 s38, s1
	s_cbranch_execz .LBB30_51
; %bb.50:                               ;   in Loop: Header=BB30_48 Depth=4
	v_add_nc_u32_e32 v6, s27, v22
	global_load_b64 v[6:7], v6, s[18:19] scale_offset
.LBB30_51:                              ;   in Loop: Header=BB30_48 Depth=4
	s_wait_xcnt 0x0
	s_or_b32 exec_lo, exec_lo, s38
	s_wait_loadcnt 0x0
	v_fmac_f64_e32 v[2:3], v[4:5], v[6:7]
	s_delay_alu instid0(VALU_DEP_1)
	v_mov_b64_e32 v[4:5], v[2:3]
.LBB30_52:                              ;   in Loop: Header=BB30_48 Depth=4
	v_dual_add_nc_u32 v28, s28, v28 :: v_dual_add_nc_u32 v27, s28, v27
	s_add_co_i32 s27, s27, 1
	s_delay_alu instid0(SALU_CYCLE_1)
	s_cmp_eq_u32 s28, s27
	s_cbranch_scc0 .LBB30_44
; %bb.53:                               ;   in Loop: Header=BB30_43 Depth=3
	v_lshl_add_u32 v6, v26, 3, v10
	v_dual_add_nc_u32 v26, 2, v26 :: v_dual_add_nc_u32 v25, s36, v25
	v_add_nc_u32_e32 v24, 2, v24
	ds_load_b64 v[2:3], v6
	v_cmp_le_i32_e32 vcc_lo, s28, v26
	s_or_b32 s26, vcc_lo, s26
	s_wait_dscnt 0x0
	v_add_f64_e32 v[2:3], v[4:5], v[2:3]
	ds_store_b64 v6, v[2:3]
	s_and_not1_b32 exec_lo, exec_lo, s26
	s_cbranch_execnz .LBB30_43
	s_branch .LBB30_40
.LBB30_54:                              ;   in Loop: Header=BB30_10 Depth=1
	s_and_not1_b32 vcc_lo, exec_lo, s34
	s_wait_loadcnt_dscnt 0x0
	s_cbranch_vccnz .LBB30_69
; %bb.55:                               ;   in Loop: Header=BB30_10 Depth=1
	v_mov_b32_e32 v22, v18
	s_wait_xcnt 0x0
	s_mul_i32 s22, s35, s25
	s_mov_b32 s23, 0
	s_mov_b32 s24, s22
	s_branch .LBB30_57
.LBB30_56:                              ;   in Loop: Header=BB30_57 Depth=2
	s_or_b32 exec_lo, exec_lo, s25
	v_add_nc_u32_e32 v22, 8, v22
	s_add_co_i32 s23, s23, 1
	s_add_co_i32 s24, s24, 1
	s_cmp_eq_u32 s23, s28
	s_wait_dscnt 0x0
	s_cbranch_scc1 .LBB30_69
.LBB30_57:                              ;   Parent Loop BB30_10 Depth=1
                                        ; =>  This Loop Header: Depth=2
                                        ;       Child Loop BB30_64 Depth 3
                                        ;       Child Loop BB30_68 Depth 3
	s_mul_i32 s25, s23, s28
	v_lshl_add_u32 v23, s23, 3, v13
	s_add_co_i32 s25, s25, s22
	s_delay_alu instid0(SALU_CYCLE_1) | instskip(NEXT) | instid1(SALU_CYCLE_1)
	s_add_co_i32 s26, s25, s23
	v_mov_b32_e32 v2, s26
	global_load_b64 v[4:5], v2, s[18:19] scale_offset
	s_wait_xcnt 0x0
	ds_load_b64 v[2:3], v23
	s_wait_loadcnt 0x0
	v_cmp_neq_f64_e32 vcc_lo, 0, v[4:5]
	v_cndmask_b32_e32 v5, 0x3ff00000, v5, vcc_lo
	v_cndmask_b32_e32 v4, 0, v4, vcc_lo
	s_nor_b32 s27, vcc_lo, s2
	s_delay_alu instid0(SALU_CYCLE_1)
	s_and_saveexec_b32 s26, s27
	s_cbranch_execz .LBB30_61
; %bb.58:                               ;   in Loop: Header=BB30_57 Depth=2
	v_mbcnt_lo_u32_b32 v4, exec_lo, 0
	s_mov_b32 s27, exec_lo
	s_delay_alu instid0(VALU_DEP_1)
	v_cmpx_eq_u32_e32 0, v4
	s_cbranch_execz .LBB30_60
; %bb.59:                               ;   in Loop: Header=BB30_57 Depth=2
	v_mov_b32_e32 v4, s37
	global_atomic_min_i32 v21, v4, s[10:11] scope:SCOPE_DEV
.LBB30_60:                              ;   in Loop: Header=BB30_57 Depth=2
	s_wait_xcnt 0x0
	s_or_b32 exec_lo, exec_lo, s27
	v_mov_b64_e32 v[4:5], 1.0
.LBB30_61:                              ;   in Loop: Header=BB30_57 Depth=2
	s_or_b32 exec_lo, exec_lo, s26
	v_lshl_add_u32 v6, s23, 3, v10
	s_cmp_eq_u32 s23, 0
	ds_load_b64 v[6:7], v6
	s_cbranch_scc1 .LBB30_66
; %bb.62:                               ;   in Loop: Header=BB30_57 Depth=2
	v_mov_b32_e32 v24, v13
	s_mov_b32 s26, 0
	s_mov_b32 s27, s23
	;; [unrolled: 1-line block ×3, first 2 shown]
	s_branch .LBB30_64
.LBB30_63:                              ;   in Loop: Header=BB30_64 Depth=3
	s_wait_xcnt 0x0
	v_mov_b32_e32 v25, s39
	ds_load_b64 v[28:29], v24
	v_add_nc_u32_e32 v24, 8, v24
	s_add_co_i32 s27, s27, -1
	s_add_co_i32 s26, s26, 1
	global_load_b64 v[26:27], v25, s[18:19] scale_offset
	s_add_co_i32 s38, s38, s28
	s_cmp_eq_u32 s27, 0
	s_wait_loadcnt_dscnt 0x0
	v_fmac_f64_e32 v[6:7], v[26:27], v[28:29]
	s_cbranch_scc1 .LBB30_66
.LBB30_64:                              ;   Parent Loop BB30_10 Depth=1
                                        ;     Parent Loop BB30_57 Depth=2
                                        ; =>    This Inner Loop Header: Depth=3
	s_and_not1_b32 vcc_lo, exec_lo, s31
	s_mov_b32 s39, s38
	s_cbranch_vccnz .LBB30_63
; %bb.65:                               ;   in Loop: Header=BB30_64 Depth=3
	s_add_co_i32 s39, s26, s25
	s_branch .LBB30_63
.LBB30_66:                              ;   in Loop: Header=BB30_57 Depth=2
	s_wait_dscnt 0x0
	s_delay_alu instid0(VALU_DEP_1) | instskip(NEXT) | instid1(VALU_DEP_1)
	v_add_f64_e64 v[2:3], v[2:3], -v[6:7]
	v_div_scale_f64 v[6:7], null, v[4:5], v[4:5], v[2:3]
	v_div_scale_f64 v[28:29], vcc_lo, v[2:3], v[4:5], v[2:3]
	s_wait_xcnt 0x0
	s_delay_alu instid0(VALU_DEP_2) | instskip(SKIP_1) | instid1(TRANS32_DEP_1)
	v_rcp_f64_e32 v[24:25], v[6:7]
	v_nop
	v_fma_f64 v[26:27], -v[6:7], v[24:25], 1.0
	s_delay_alu instid0(VALU_DEP_1) | instskip(NEXT) | instid1(VALU_DEP_1)
	v_fmac_f64_e32 v[24:25], v[24:25], v[26:27]
	v_fma_f64 v[26:27], -v[6:7], v[24:25], 1.0
	s_delay_alu instid0(VALU_DEP_1) | instskip(NEXT) | instid1(VALU_DEP_1)
	v_fmac_f64_e32 v[24:25], v[24:25], v[26:27]
	v_mul_f64_e32 v[26:27], v[28:29], v[24:25]
	s_delay_alu instid0(VALU_DEP_1) | instskip(NEXT) | instid1(VALU_DEP_1)
	v_fma_f64 v[6:7], -v[6:7], v[26:27], v[28:29]
	v_div_fmas_f64 v[6:7], v[6:7], v[24:25], v[26:27]
	s_delay_alu instid0(VALU_DEP_1)
	v_div_fixup_f64 v[2:3], v[6:7], v[4:5], v[2:3]
	ds_store_b64 v23, v[2:3]
	s_wait_storecnt_dscnt 0x0
	s_and_saveexec_b32 s25, s0
	s_cbranch_execz .LBB30_56
; %bb.67:                               ;   in Loop: Header=BB30_57 Depth=2
	v_dual_mov_b32 v4, v22 :: v_dual_mov_b32 v5, v17
	v_mov_b32_e32 v6, v8
	s_mov_b32 s26, 0
.LBB30_68:                              ;   Parent Loop BB30_10 Depth=1
                                        ;     Parent Loop BB30_57 Depth=2
                                        ; =>    This Inner Loop Header: Depth=3
	ds_load_b64 v[24:25], v4
	ds_load_b64 v[26:27], v5
	v_add_nc_u32_e32 v6, 2, v6
	v_add_nc_u32_e32 v4, 0x210, v4
	s_wait_dscnt 0x0
	v_fmac_f64_e32 v[26:27], v[2:3], v[24:25]
	ds_store_b64 v5, v[26:27]
	v_add_nc_u32_e32 v5, 16, v5
	v_cmp_le_i32_e32 vcc_lo, s28, v6
	s_or_b32 s26, vcc_lo, s26
	s_delay_alu instid0(SALU_CYCLE_1)
	s_and_not1_b32 exec_lo, exec_lo, s26
	s_cbranch_execnz .LBB30_68
	s_branch .LBB30_56
.LBB30_69:                              ;   in Loop: Header=BB30_10 Depth=1
	s_wait_xcnt 0x0
	s_and_saveexec_b32 s22, s0
	s_cbranch_execz .LBB30_9
; %bb.70:                               ;   in Loop: Header=BB30_10 Depth=1
	v_dual_mov_b32 v4, v20 :: v_dual_mov_b32 v5, v8
	s_mov_b32 s23, 0
	s_branch .LBB30_73
.LBB30_71:                              ;   in Loop: Header=BB30_73 Depth=2
	s_wait_dscnt 0x0
	global_store_b64 v6, v[2:3], s[18:19] scale_offset
.LBB30_72:                              ;   in Loop: Header=BB30_73 Depth=2
	s_wait_xcnt 0x0
	s_or_b32 exec_lo, exec_lo, s24
	v_dual_add_nc_u32 v5, 2, v5 :: v_dual_add_nc_u32 v4, 16, v4
	s_delay_alu instid0(VALU_DEP_1) | instskip(SKIP_1) | instid1(SALU_CYCLE_1)
	v_cmp_le_i32_e32 vcc_lo, s28, v5
	s_or_b32 s23, vcc_lo, s23
	s_and_not1_b32 exec_lo, exec_lo, s23
	s_cbranch_execz .LBB30_9
.LBB30_73:                              ;   Parent Loop BB30_10 Depth=1
                                        ; =>  This Inner Loop Header: Depth=2
	s_and_saveexec_b32 s24, s1
	s_cbranch_execz .LBB30_72
; %bb.74:                               ;   in Loop: Header=BB30_73 Depth=2
	ds_load_b64 v[2:3], v4
	s_and_b32 vcc_lo, exec_lo, s33
	s_mov_b32 s25, -1
                                        ; implicit-def: $vgpr6
	s_cbranch_vccz .LBB30_76
; %bb.75:                               ;   in Loop: Header=BB30_73 Depth=2
	v_add_nc_u32_e32 v6, s21, v5
	s_mov_b32 s25, 0
	s_delay_alu instid0(VALU_DEP_1)
	v_mad_u32 v6, v6, s28, v9
.LBB30_76:                              ;   in Loop: Header=BB30_73 Depth=2
	s_and_not1_b32 vcc_lo, exec_lo, s25
	s_cbranch_vccnz .LBB30_71
; %bb.77:                               ;   in Loop: Header=BB30_73 Depth=2
	v_add_nc_u32_e32 v6, v19, v5
	s_branch .LBB30_71
.LBB30_78:                              ;   in Loop: Header=BB30_10 Depth=1
                                        ; implicit-def: $sgpr20
                                        ; implicit-def: $vgpr19
	s_cbranch_execz .LBB30_10
.LBB30_79:
	v_cmp_gt_i32_e64 s0, s28, v8
	s_and_saveexec_b32 s2, s0
	s_cbranch_execz .LBB30_92
; %bb.80:
	s_mul_i32 s4, s17, s28
	v_cmp_gt_i32_e64 s1, s28, v9
	v_dual_add_nc_u32 v0, s4, v9 :: v_dual_mov_b32 v4, v8
	v_add3_u32 v3, v10, v11, 0x2100
	s_cmp_lg_u32 s29, 0
	s_mov_b32 s5, 0
	s_delay_alu instid0(VALU_DEP_2)
	v_mul_lo_u32 v2, v0, s28
	s_cselect_b32 s12, -1, 0
	s_branch .LBB30_82
.LBB30_81:                              ;   in Loop: Header=BB30_82 Depth=1
	s_wait_xcnt 0x0
	s_or_b32 exec_lo, exec_lo, s14
	v_add_nc_u32_e32 v4, 2, v4
	s_wait_loadcnt 0x0
	ds_store_b64 v3, v[0:1]
	v_add_nc_u32_e32 v3, 16, v3
	v_cmp_le_i32_e32 vcc_lo, s28, v4
	s_or_b32 s5, vcc_lo, s5
	s_delay_alu instid0(SALU_CYCLE_1)
	s_and_not1_b32 exec_lo, exec_lo, s5
	s_cbranch_execz .LBB30_92
.LBB30_82:                              ; =>This Inner Loop Header: Depth=1
	s_and_b32 vcc_lo, exec_lo, s12
	s_cbranch_vccz .LBB30_89
; %bb.83:                               ;   in Loop: Header=BB30_82 Depth=1
	s_mov_b32 s14, 0
	s_mov_b32 s13, 0
                                        ; implicit-def: $vgpr5
	s_and_saveexec_b32 s15, s1
	s_delay_alu instid0(SALU_CYCLE_1)
	s_xor_b32 s15, exec_lo, s15
; %bb.84:                               ;   in Loop: Header=BB30_82 Depth=1
	v_add_nc_u32_e32 v0, s4, v4
	s_mov_b32 s13, exec_lo
	s_delay_alu instid0(VALU_DEP_1)
	v_mad_u32 v5, v0, s28, v9
; %bb.85:                               ;   in Loop: Header=BB30_82 Depth=1
	s_or_b32 exec_lo, exec_lo, s15
	s_delay_alu instid0(SALU_CYCLE_1)
	s_and_b32 vcc_lo, exec_lo, s14
	s_cbranch_vccz .LBB30_90
.LBB30_86:                              ;   in Loop: Header=BB30_82 Depth=1
                                        ; implicit-def: $vgpr5
	s_and_saveexec_b32 s14, s1
; %bb.87:                               ;   in Loop: Header=BB30_82 Depth=1
	s_delay_alu instid0(VALU_DEP_1)
	v_add_nc_u32_e32 v5, v2, v4
	s_or_b32 s13, s13, exec_lo
; %bb.88:                               ;   in Loop: Header=BB30_82 Depth=1
	s_or_b32 exec_lo, exec_lo, s14
	v_mov_b64_e32 v[0:1], 0
	s_and_saveexec_b32 s14, s13
	s_cbranch_execz .LBB30_81
	s_branch .LBB30_91
.LBB30_89:                              ;   in Loop: Header=BB30_82 Depth=1
	s_mov_b32 s13, 0
                                        ; implicit-def: $vgpr5
	s_cbranch_execnz .LBB30_86
.LBB30_90:                              ;   in Loop: Header=BB30_82 Depth=1
	v_mov_b64_e32 v[0:1], 0
	s_and_saveexec_b32 s14, s13
	s_cbranch_execz .LBB30_81
.LBB30_91:                              ;   in Loop: Header=BB30_82 Depth=1
	global_load_b64 v[0:1], v5, s[18:19] scale_offset
	s_branch .LBB30_81
.LBB30_92:
	s_or_b32 exec_lo, exec_lo, s2
	s_cmp_lt_i32 s28, 1
	s_wait_loadcnt_dscnt 0x0
	s_cbranch_scc1 .LBB30_105
; %bb.93:
	s_movk_i32 s2, 0x108
	s_movk_i32 s1, 0x4200
	v_mad_u32_u24 v4, v9, s2, 0x2100
	v_mad_u32_u24 v5, 0x108, v9, s1
	v_or_b32_e32 v0, v8, v9
	v_mad_u32_u24 v13, v8, s2, 0x2100
	s_mov_b32 s2, 0
	v_dual_add_nc_u32 v6, v4, v12 :: v_dual_mov_b32 v14, 0
	v_add_nc_u32_e32 v7, v5, v12
	v_cmp_ne_u32_e64 s1, 0, v0
	v_add3_u32 v12, v10, v11, 0x4200
	s_add_co_i32 s4, s16, s3
	s_branch .LBB30_95
.LBB30_94:                              ;   in Loop: Header=BB30_95 Depth=1
	s_or_b32 exec_lo, exec_lo, s5
	v_add_nc_u32_e32 v13, 8, v13
	s_add_co_i32 s2, s2, 1
	s_wait_storecnt_dscnt 0x0
	s_cmp_eq_u32 s2, s28
	s_cbranch_scc1 .LBB30_105
.LBB30_95:                              ; =>This Loop Header: Depth=1
                                        ;     Child Loop BB30_104 Depth 2
	s_mov_b32 s5, exec_lo
	v_cmpx_eq_u32_e64 s2, v9
	s_cbranch_execz .LBB30_97
; %bb.96:                               ;   in Loop: Header=BB30_95 Depth=1
	ds_load_b64 v[0:1], v6
	ds_load_b64 v[2:3], v7
	s_wait_dscnt 0x0
	v_add_f64_e64 v[0:1], v[0:1], -v[2:3]
	s_delay_alu instid0(VALU_DEP_1) | instskip(SKIP_1) | instid1(VALU_DEP_1)
	v_cmp_gt_f64_e32 vcc_lo, 0, v[0:1]
	v_xor_b32_e32 v2, 0x80000000, v1
	v_cndmask_b32_e32 v1, v1, v2, vcc_lo
	s_delay_alu instid0(VALU_DEP_1) | instskip(SKIP_1) | instid1(VALU_DEP_1)
	v_cmp_gt_f64_e32 vcc_lo, 0x10000000, v[0:1]
	v_cndmask_b32_e64 v2, 0, 0x100, vcc_lo
	v_ldexp_f64 v[0:1], v[0:1], v2
	s_delay_alu instid0(VALU_DEP_1) | instskip(SKIP_1) | instid1(TRANS32_DEP_1)
	v_rsq_f64_e32 v[2:3], v[0:1]
	v_nop
	v_mul_f64_e32 v[16:17], v[0:1], v[2:3]
	v_mul_f64_e32 v[2:3], 0.5, v[2:3]
	s_delay_alu instid0(VALU_DEP_1) | instskip(NEXT) | instid1(VALU_DEP_1)
	v_fma_f64 v[18:19], -v[2:3], v[16:17], 0.5
	v_fmac_f64_e32 v[16:17], v[16:17], v[18:19]
	v_fmac_f64_e32 v[2:3], v[2:3], v[18:19]
	s_delay_alu instid0(VALU_DEP_2) | instskip(NEXT) | instid1(VALU_DEP_1)
	v_fma_f64 v[18:19], -v[16:17], v[16:17], v[0:1]
	v_fmac_f64_e32 v[16:17], v[18:19], v[2:3]
	s_delay_alu instid0(VALU_DEP_1) | instskip(NEXT) | instid1(VALU_DEP_1)
	v_fma_f64 v[18:19], -v[16:17], v[16:17], v[0:1]
	v_fmac_f64_e32 v[16:17], v[18:19], v[2:3]
	v_cndmask_b32_e64 v2, 0, 0xffffff80, vcc_lo
	v_cmp_class_f64_e64 vcc_lo, v[0:1], 0x260
	s_delay_alu instid0(VALU_DEP_2) | instskip(NEXT) | instid1(VALU_DEP_1)
	v_ldexp_f64 v[2:3], v[16:17], v2
	v_dual_cndmask_b32 v1, v3, v1 :: v_dual_cndmask_b32 v0, v2, v0
	ds_store_b64 v6, v[0:1]
.LBB30_97:                              ;   in Loop: Header=BB30_95 Depth=1
	s_or_b32 exec_lo, exec_lo, s5
	s_lshl_b32 s5, s2, 3
	s_mul_i32 s12, s2, 0x108
	s_wait_dscnt 0x0
	s_add_co_i32 s12, s12, s5
	s_delay_alu instid0(SALU_CYCLE_1)
	v_dual_mov_b32 v0, s12 :: v_dual_add_nc_u32 v15, s5, v4
	ds_load_b64 v[2:3], v0 offset:8448
	ds_load_b64 v[0:1], v15
	s_wait_dscnt 0x1
	v_cmp_neq_f64_e32 vcc_lo, 0, v[2:3]
	v_cndmask_b32_e32 v3, 0x3ff00000, v3, vcc_lo
	v_cndmask_b32_e32 v2, 0, v2, vcc_lo
	s_nor_b32 s12, vcc_lo, s1
	s_delay_alu instid0(SALU_CYCLE_1)
	s_and_saveexec_b32 s5, s12
	s_cbranch_execz .LBB30_101
; %bb.98:                               ;   in Loop: Header=BB30_95 Depth=1
	v_mbcnt_lo_u32_b32 v2, exec_lo, 0
	s_mov_b32 s12, exec_lo
	s_delay_alu instid0(VALU_DEP_1)
	v_cmpx_eq_u32_e32 0, v2
	s_cbranch_execz .LBB30_100
; %bb.99:                               ;   in Loop: Header=BB30_95 Depth=1
	v_mov_b32_e32 v2, s4
	global_atomic_min_i32 v14, v2, s[10:11] scope:SCOPE_DEV
.LBB30_100:                             ;   in Loop: Header=BB30_95 Depth=1
	s_wait_xcnt 0x0
	s_or_b32 exec_lo, exec_lo, s12
	v_mov_b64_e32 v[2:3], 1.0
.LBB30_101:                             ;   in Loop: Header=BB30_95 Depth=1
	s_or_b32 exec_lo, exec_lo, s5
	s_delay_alu instid0(SALU_CYCLE_1)
	s_mov_b32 s5, exec_lo
	v_cmpx_lt_u32_e64 s2, v9
	s_cbranch_execz .LBB30_94
; %bb.102:                              ;   in Loop: Header=BB30_95 Depth=1
	v_lshl_add_u32 v16, s2, 3, v5
	ds_load_b64 v[16:17], v16
	s_wait_dscnt 0x0
	v_add_f64_e64 v[0:1], v[0:1], -v[16:17]
	s_delay_alu instid0(VALU_DEP_1) | instskip(SKIP_1) | instid1(VALU_DEP_2)
	v_div_scale_f64 v[16:17], null, v[2:3], v[2:3], v[0:1]
	v_div_scale_f64 v[22:23], vcc_lo, v[0:1], v[2:3], v[0:1]
	v_rcp_f64_e32 v[18:19], v[16:17]
	v_nop
	s_delay_alu instid0(TRANS32_DEP_1) | instskip(NEXT) | instid1(VALU_DEP_1)
	v_fma_f64 v[20:21], -v[16:17], v[18:19], 1.0
	v_fmac_f64_e32 v[18:19], v[18:19], v[20:21]
	s_delay_alu instid0(VALU_DEP_1) | instskip(NEXT) | instid1(VALU_DEP_1)
	v_fma_f64 v[20:21], -v[16:17], v[18:19], 1.0
	v_fmac_f64_e32 v[18:19], v[18:19], v[20:21]
	s_delay_alu instid0(VALU_DEP_1) | instskip(NEXT) | instid1(VALU_DEP_1)
	v_mul_f64_e32 v[20:21], v[22:23], v[18:19]
	v_fma_f64 v[16:17], -v[16:17], v[20:21], v[22:23]
	s_delay_alu instid0(VALU_DEP_1) | instskip(NEXT) | instid1(VALU_DEP_1)
	v_div_fmas_f64 v[16:17], v[16:17], v[18:19], v[20:21]
	v_div_fixup_f64 v[0:1], v[16:17], v[2:3], v[0:1]
	ds_store_b64 v15, v[0:1]
	s_wait_storecnt_dscnt 0x0
	s_and_b32 exec_lo, exec_lo, s0
	s_cbranch_execz .LBB30_94
; %bb.103:                              ;   in Loop: Header=BB30_95 Depth=1
	v_dual_mov_b32 v2, v13 :: v_dual_mov_b32 v3, v12
	v_mov_b32_e32 v15, v8
	s_mov_b32 s12, 0
.LBB30_104:                             ;   Parent Loop BB30_95 Depth=1
                                        ; =>  This Inner Loop Header: Depth=2
	ds_load_b64 v[16:17], v2
	ds_load_b64 v[18:19], v3
	v_add_nc_u32_e32 v15, 2, v15
	v_add_nc_u32_e32 v2, 0x210, v2
	s_delay_alu instid0(VALU_DEP_2)
	v_cmp_le_i32_e32 vcc_lo, s28, v15
	s_or_b32 s12, vcc_lo, s12
	s_wait_dscnt 0x0
	v_fmac_f64_e32 v[18:19], v[0:1], v[16:17]
	ds_store_b64 v3, v[18:19]
	v_add_nc_u32_e32 v3, 16, v3
	s_and_not1_b32 exec_lo, exec_lo, s12
	s_cbranch_execnz .LBB30_104
	s_branch .LBB30_94
.LBB30_105:
	s_and_saveexec_b32 s1, s0
	s_cbranch_execz .LBB30_114
; %bb.106:
	s_mul_i32 s17, s17, s28
	v_cmp_gt_i32_e64 s0, s28, v9
	v_dual_add_nc_u32 v0, s17, v9 :: v_dual_mov_b32 v4, v8
	v_add3_u32 v3, v10, v11, 0x2100
	s_cmp_lg_u32 s29, 0
	s_mov_b32 s2, 0
	s_delay_alu instid0(VALU_DEP_2)
	v_mul_lo_u32 v2, v0, s28
	s_cselect_b32 s4, -1, 0
	s_branch .LBB30_110
.LBB30_107:                             ;   in Loop: Header=BB30_110 Depth=1
	v_add_nc_u32_e32 v5, v2, v4
.LBB30_108:                             ;   in Loop: Header=BB30_110 Depth=1
	s_wait_dscnt 0x0
	global_store_b64 v5, v[0:1], s[18:19] scale_offset
.LBB30_109:                             ;   in Loop: Header=BB30_110 Depth=1
	s_wait_xcnt 0x0
	s_or_b32 exec_lo, exec_lo, s5
	v_dual_add_nc_u32 v4, 2, v4 :: v_dual_add_nc_u32 v3, 16, v3
	s_delay_alu instid0(VALU_DEP_1) | instskip(SKIP_1) | instid1(SALU_CYCLE_1)
	v_cmp_le_i32_e32 vcc_lo, s28, v4
	s_or_b32 s2, vcc_lo, s2
	s_and_not1_b32 exec_lo, exec_lo, s2
	s_cbranch_execz .LBB30_114
.LBB30_110:                             ; =>This Inner Loop Header: Depth=1
	s_and_saveexec_b32 s5, s0
	s_cbranch_execz .LBB30_109
; %bb.111:                              ;   in Loop: Header=BB30_110 Depth=1
	ds_load_b64 v[0:1], v3
	s_and_b32 vcc_lo, exec_lo, s4
	s_cbranch_vccz .LBB30_113
; %bb.112:                              ;   in Loop: Header=BB30_110 Depth=1
	v_add_nc_u32_e32 v5, s17, v4
	s_delay_alu instid0(VALU_DEP_1)
	v_mad_u32 v5, v5, s28, v9
	s_cbranch_execnz .LBB30_108
	s_branch .LBB30_107
.LBB30_113:                             ;   in Loop: Header=BB30_110 Depth=1
                                        ; implicit-def: $vgpr5
	s_branch .LBB30_107
.LBB30_114:
	s_or_b32 exec_lo, exec_lo, s1
	v_or_b32_e32 v0, v8, v9
	s_mov_b32 s0, 0
	s_mov_b32 s1, exec_lo
	s_delay_alu instid0(VALU_DEP_1)
	v_cmpx_eq_u32_e32 0, v0
	s_cbranch_execz .LBB30_116
; %bb.115:
	v_dual_mov_b32 v0, 0 :: v_dual_mov_b32 v1, 1
	s_add_nc_u64 s[4:5], s[6:7], s[8:9]
	global_wb scope:SCOPE_DEV
	s_wait_storecnt 0x0
	global_store_b32 v0, v1, s[4:5] scope:SCOPE_DEV
.LBB30_116:
	s_wait_xcnt 0x0
	s_or_b32 exec_lo, exec_lo, s1
	s_delay_alu instid0(SALU_CYCLE_1)
	s_and_b32 vcc_lo, exec_lo, s0
	s_cbranch_vccnz .LBB30_119
.LBB30_117:
	s_endpgm
.LBB30_118:
	s_cbranch_execz .LBB30_117
.LBB30_119:
	v_or_b32_e32 v0, v8, v9
	s_mov_b32 s0, exec_lo
	s_delay_alu instid0(VALU_DEP_1)
	v_cmpx_eq_u32_e32 0, v0
	s_cbranch_execz .LBB30_117
; %bb.120:
	v_mbcnt_lo_u32_b32 v0, exec_lo, 0
	s_mov_b32 s0, exec_lo
	s_delay_alu instid0(VALU_DEP_1)
	v_cmpx_eq_u32_e32 0, v0
	s_cbranch_execz .LBB30_122
; %bb.121:
	s_add_co_i32 s1, s16, s3
	s_delay_alu instid0(SALU_CYCLE_1)
	v_dual_mov_b32 v0, 0 :: v_dual_mov_b32 v1, s1
	global_atomic_min_i32 v0, v1, s[10:11] scope:SCOPE_DEV
.LBB30_122:
	s_wait_xcnt 0x0
	s_or_b32 exec_lo, exec_lo, s0
	v_dual_mov_b32 v0, 0 :: v_dual_mov_b32 v1, 1
	s_add_nc_u64 s[0:1], s[6:7], s[8:9]
	global_wb scope:SCOPE_DEV
	s_wait_storecnt 0x0
	global_store_b32 v0, v1, s[0:1] scope:SCOPE_DEV
	s_endpgm
	.section	.rodata,"a",@progbits
	.p2align	6, 0x0
	.amdhsa_kernel _ZN9rocsparseL19bsric0_17_32_kernelILi64ELi32ELi32EdEEv20rocsparse_direction_iiPKiS3_PT2_S3_PiS3_S6_21rocsparse_index_base_
		.amdhsa_group_segment_fixed_size 25728
		.amdhsa_private_segment_fixed_size 0
		.amdhsa_kernarg_size 76
		.amdhsa_user_sgpr_count 2
		.amdhsa_user_sgpr_dispatch_ptr 0
		.amdhsa_user_sgpr_queue_ptr 0
		.amdhsa_user_sgpr_kernarg_segment_ptr 1
		.amdhsa_user_sgpr_dispatch_id 0
		.amdhsa_user_sgpr_kernarg_preload_length 0
		.amdhsa_user_sgpr_kernarg_preload_offset 0
		.amdhsa_user_sgpr_private_segment_size 0
		.amdhsa_wavefront_size32 1
		.amdhsa_uses_dynamic_stack 0
		.amdhsa_enable_private_segment 0
		.amdhsa_system_sgpr_workgroup_id_x 1
		.amdhsa_system_sgpr_workgroup_id_y 0
		.amdhsa_system_sgpr_workgroup_id_z 0
		.amdhsa_system_sgpr_workgroup_info 0
		.amdhsa_system_vgpr_workitem_id 1
		.amdhsa_next_free_vgpr 145
		.amdhsa_next_free_sgpr 45
		.amdhsa_named_barrier_count 0
		.amdhsa_reserve_vcc 1
		.amdhsa_float_round_mode_32 0
		.amdhsa_float_round_mode_16_64 0
		.amdhsa_float_denorm_mode_32 3
		.amdhsa_float_denorm_mode_16_64 3
		.amdhsa_fp16_overflow 0
		.amdhsa_memory_ordered 1
		.amdhsa_forward_progress 1
		.amdhsa_inst_pref_size 30
		.amdhsa_round_robin_scheduling 0
		.amdhsa_exception_fp_ieee_invalid_op 0
		.amdhsa_exception_fp_denorm_src 0
		.amdhsa_exception_fp_ieee_div_zero 0
		.amdhsa_exception_fp_ieee_overflow 0
		.amdhsa_exception_fp_ieee_underflow 0
		.amdhsa_exception_fp_ieee_inexact 0
		.amdhsa_exception_int_div_zero 0
	.end_amdhsa_kernel
	.section	.text._ZN9rocsparseL19bsric0_17_32_kernelILi64ELi32ELi32EdEEv20rocsparse_direction_iiPKiS3_PT2_S3_PiS3_S6_21rocsparse_index_base_,"axG",@progbits,_ZN9rocsparseL19bsric0_17_32_kernelILi64ELi32ELi32EdEEv20rocsparse_direction_iiPKiS3_PT2_S3_PiS3_S6_21rocsparse_index_base_,comdat
.Lfunc_end30:
	.size	_ZN9rocsparseL19bsric0_17_32_kernelILi64ELi32ELi32EdEEv20rocsparse_direction_iiPKiS3_PT2_S3_PiS3_S6_21rocsparse_index_base_, .Lfunc_end30-_ZN9rocsparseL19bsric0_17_32_kernelILi64ELi32ELi32EdEEv20rocsparse_direction_iiPKiS3_PT2_S3_PiS3_S6_21rocsparse_index_base_
                                        ; -- End function
	.set _ZN9rocsparseL19bsric0_17_32_kernelILi64ELi32ELi32EdEEv20rocsparse_direction_iiPKiS3_PT2_S3_PiS3_S6_21rocsparse_index_base_.num_vgpr, 30
	.set _ZN9rocsparseL19bsric0_17_32_kernelILi64ELi32ELi32EdEEv20rocsparse_direction_iiPKiS3_PT2_S3_PiS3_S6_21rocsparse_index_base_.num_agpr, 0
	.set _ZN9rocsparseL19bsric0_17_32_kernelILi64ELi32ELi32EdEEv20rocsparse_direction_iiPKiS3_PT2_S3_PiS3_S6_21rocsparse_index_base_.numbered_sgpr, 45
	.set _ZN9rocsparseL19bsric0_17_32_kernelILi64ELi32ELi32EdEEv20rocsparse_direction_iiPKiS3_PT2_S3_PiS3_S6_21rocsparse_index_base_.num_named_barrier, 0
	.set _ZN9rocsparseL19bsric0_17_32_kernelILi64ELi32ELi32EdEEv20rocsparse_direction_iiPKiS3_PT2_S3_PiS3_S6_21rocsparse_index_base_.private_seg_size, 0
	.set _ZN9rocsparseL19bsric0_17_32_kernelILi64ELi32ELi32EdEEv20rocsparse_direction_iiPKiS3_PT2_S3_PiS3_S6_21rocsparse_index_base_.uses_vcc, 1
	.set _ZN9rocsparseL19bsric0_17_32_kernelILi64ELi32ELi32EdEEv20rocsparse_direction_iiPKiS3_PT2_S3_PiS3_S6_21rocsparse_index_base_.uses_flat_scratch, 0
	.set _ZN9rocsparseL19bsric0_17_32_kernelILi64ELi32ELi32EdEEv20rocsparse_direction_iiPKiS3_PT2_S3_PiS3_S6_21rocsparse_index_base_.has_dyn_sized_stack, 0
	.set _ZN9rocsparseL19bsric0_17_32_kernelILi64ELi32ELi32EdEEv20rocsparse_direction_iiPKiS3_PT2_S3_PiS3_S6_21rocsparse_index_base_.has_recursion, 0
	.set _ZN9rocsparseL19bsric0_17_32_kernelILi64ELi32ELi32EdEEv20rocsparse_direction_iiPKiS3_PT2_S3_PiS3_S6_21rocsparse_index_base_.has_indirect_call, 0
	.section	.AMDGPU.csdata,"",@progbits
; Kernel info:
; codeLenInByte = 3840
; TotalNumSgprs: 47
; NumVgprs: 30
; ScratchSize: 0
; MemoryBound: 0
; FloatMode: 240
; IeeeMode: 1
; LDSByteSize: 25728 bytes/workgroup (compile time only)
; SGPRBlocks: 0
; VGPRBlocks: 9
; NumSGPRsForWavesPerEU: 47
; NumVGPRsForWavesPerEU: 145
; NamedBarCnt: 0
; Occupancy: 6
; WaveLimiterHint : 1
; COMPUTE_PGM_RSRC2:SCRATCH_EN: 0
; COMPUTE_PGM_RSRC2:USER_SGPR: 2
; COMPUTE_PGM_RSRC2:TRAP_HANDLER: 0
; COMPUTE_PGM_RSRC2:TGID_X_EN: 1
; COMPUTE_PGM_RSRC2:TGID_Y_EN: 0
; COMPUTE_PGM_RSRC2:TGID_Z_EN: 0
; COMPUTE_PGM_RSRC2:TIDIG_COMP_CNT: 1
	.section	.text._ZN9rocsparseL23bsric0_binsearch_kernelILj64ELj64ELb0EdEEv20rocsparse_direction_iiPKiS3_PT2_S3_PiS3_S6_21rocsparse_index_base_,"axG",@progbits,_ZN9rocsparseL23bsric0_binsearch_kernelILj64ELj64ELb0EdEEv20rocsparse_direction_iiPKiS3_PT2_S3_PiS3_S6_21rocsparse_index_base_,comdat
	.globl	_ZN9rocsparseL23bsric0_binsearch_kernelILj64ELj64ELb0EdEEv20rocsparse_direction_iiPKiS3_PT2_S3_PiS3_S6_21rocsparse_index_base_ ; -- Begin function _ZN9rocsparseL23bsric0_binsearch_kernelILj64ELj64ELb0EdEEv20rocsparse_direction_iiPKiS3_PT2_S3_PiS3_S6_21rocsparse_index_base_
	.p2align	8
	.type	_ZN9rocsparseL23bsric0_binsearch_kernelILj64ELj64ELb0EdEEv20rocsparse_direction_iiPKiS3_PT2_S3_PiS3_S6_21rocsparse_index_base_,@function
_ZN9rocsparseL23bsric0_binsearch_kernelILj64ELj64ELb0EdEEv20rocsparse_direction_iiPKiS3_PT2_S3_PiS3_S6_21rocsparse_index_base_: ; @_ZN9rocsparseL23bsric0_binsearch_kernelILj64ELj64ELb0EdEEv20rocsparse_direction_iiPKiS3_PT2_S3_PiS3_S6_21rocsparse_index_base_
; %bb.0:
	s_load_b256 s[8:15], s[0:1], 0x28
	s_bfe_u32 s2, ttmp6, 0x4000c
	s_and_b32 s3, ttmp6, 15
	s_add_co_i32 s2, s2, 1
	s_getreg_b32 s4, hwreg(HW_REG_IB_STS2, 6, 4)
	s_mul_i32 s2, ttmp9, s2
	s_load_b32 s7, s[0:1], 0x48
	s_add_co_i32 s3, s3, s2
	s_cmp_eq_u32 s4, 0
	s_cselect_b32 s2, ttmp9, s3
	s_delay_alu instid0(SALU_CYCLE_1)
	v_mov_b32_e32 v1, s2
	s_wait_kmcnt 0x0
	global_load_b32 v2, v1, s[12:13] scale_offset
	s_wait_loadcnt 0x0
	global_load_b32 v1, v2, s[8:9] scale_offset
	v_ashrrev_i32_e32 v3, 31, v2
	s_wait_loadcnt 0x0
	v_readfirstlane_b32 s2, v1
	s_cmp_lg_u32 s2, -1
	s_cselect_b32 s2, -1, 0
	s_delay_alu instid0(SALU_CYCLE_1) | instskip(NEXT) | instid1(SALU_CYCLE_1)
	s_and_saveexec_b32 s3, s2
	s_xor_b32 s20, exec_lo, s3
	s_cbranch_execz .LBB31_69
; %bb.1:
	s_load_b32 s21, s[0:1], 0x8
	s_mov_b32 s22, exec_lo
	s_wait_kmcnt 0x0
	v_cmpx_gt_i32_e64 s21, v0
	s_cbranch_execz .LBB31_66
; %bb.2:
	s_clause 0x2
	s_load_b128 s[16:19], s[0:1], 0x10
	s_load_b32 s5, s[0:1], 0x0
	s_load_b64 s[12:13], s[0:1], 0x20
	s_mul_i32 s23, s21, s21
	s_wait_xcnt 0x0
	v_cmp_ne_u32_e64 s0, 0, v0
	v_mul_lo_u32 v23, v1, s23
	s_mov_b32 s24, 0
	v_mov_b32_e32 v22, 0
	s_wait_kmcnt 0x0
	v_lshl_add_u64 v[4:5], v[2:3], 2, s[16:17]
	s_cmp_eq_u32 s5, 0
	s_cselect_b32 s1, -1, 0
	s_cmp_lg_u32 s5, 0
	global_load_b64 v[4:5], v[4:5], off
	s_cselect_b32 s25, -1, 0
	s_wait_loadcnt 0x0
	v_subrev_nc_u32_e32 v18, s7, v4
	v_xad_u32 v19, s7, -1, v5
	s_delay_alu instid0(VALU_DEP_2) | instskip(NEXT) | instid1(VALU_DEP_2)
	v_mul_lo_u32 v21, s23, v18
	v_add_nc_u32_e32 v4, v19, v18
	v_add_nc_u32_e32 v20, s7, v2
	v_cmp_lt_i32_e64 s2, v18, v1
	v_cmp_ge_i32_e64 s3, v18, v1
	v_cmp_lt_i32_e64 s4, v18, v19
	v_ashrrev_i32_e32 v4, 1, v4
	s_delay_alu instid0(VALU_DEP_1) | instskip(SKIP_1) | instid1(VALU_DEP_2)
	v_ashrrev_i32_e32 v5, 31, v4
	v_add_nc_u32_e32 v24, v21, v0
	v_lshl_add_u64 v[6:7], v[4:5], 2, s[18:19]
	v_mov_b32_e32 v5, v0
	s_branch .LBB31_4
.LBB31_3:                               ;   in Loop: Header=BB31_4 Depth=1
	v_dual_add_nc_u32 v5, 64, v5 :: v_dual_add_nc_u32 v24, 64, v24
	s_delay_alu instid0(VALU_DEP_1) | instskip(SKIP_1) | instid1(SALU_CYCLE_1)
	v_cmp_le_i32_e32 vcc_lo, s21, v5
	s_or_b32 s24, vcc_lo, s24
	s_and_not1_b32 exec_lo, exec_lo, s24
	s_cbranch_execz .LBB31_66
.LBB31_4:                               ; =>This Loop Header: Depth=1
                                        ;     Child Loop BB31_9 Depth 2
                                        ;       Child Loop BB31_12 Depth 3
                                        ;       Child Loop BB31_16 Depth 3
                                        ;         Child Loop BB31_18 Depth 4
                                        ;         Child Loop BB31_25 Depth 4
                                        ;           Child Loop BB31_27 Depth 5
                                        ;           Child Loop BB31_33 Depth 5
                                        ;     Child Loop BB31_40 Depth 2
                                        ;       Child Loop BB31_44 Depth 3
                                        ;       Child Loop BB31_52 Depth 3
                                        ;         Child Loop BB31_54 Depth 4
                                        ;       Child Loop BB31_62 Depth 3
	s_delay_alu instid0(VALU_DEP_1) | instskip(SKIP_1) | instid1(SALU_CYCLE_1)
	v_mul_lo_u32 v25, v5, s21
	s_and_saveexec_b32 s5, s3
	s_xor_b32 s5, exec_lo, s5
; %bb.5:                                ;   in Loop: Header=BB31_4 Depth=1
	v_mul_lo_u32 v25, v5, s21
; %bb.6:                                ;   in Loop: Header=BB31_4 Depth=1
	s_or_saveexec_b32 s26, s5
	v_mov_b64_e32 v[8:9], 0
	s_xor_b32 exec_lo, exec_lo, s26
	s_cbranch_execz .LBB31_37
; %bb.7:                                ;   in Loop: Header=BB31_4 Depth=1
	v_mov_b64_e32 v[8:9], 0
	v_mov_b32_e32 v26, v18
	s_mov_b32 s27, 0
	s_branch .LBB31_9
.LBB31_8:                               ;   in Loop: Header=BB31_9 Depth=2
	s_wait_xcnt 0x0
	s_or_b32 exec_lo, exec_lo, s28
	v_add_nc_u32_e32 v26, 1, v26
	s_xor_b32 s5, s5, -1
	s_delay_alu instid0(VALU_DEP_1) | instskip(SKIP_1) | instid1(SALU_CYCLE_1)
	v_cmp_ge_i32_e32 vcc_lo, v26, v1
	s_or_b32 s5, s5, vcc_lo
	s_and_b32 s5, exec_lo, s5
	s_delay_alu instid0(SALU_CYCLE_1) | instskip(NEXT) | instid1(SALU_CYCLE_1)
	s_or_b32 s27, s5, s27
	s_and_not1_b32 exec_lo, exec_lo, s27
	s_cbranch_execz .LBB31_36
.LBB31_9:                               ;   Parent Loop BB31_4 Depth=1
                                        ; =>  This Loop Header: Depth=2
                                        ;       Child Loop BB31_12 Depth 3
                                        ;       Child Loop BB31_16 Depth 3
                                        ;         Child Loop BB31_18 Depth 4
                                        ;         Child Loop BB31_25 Depth 4
                                        ;           Child Loop BB31_27 Depth 5
                                        ;           Child Loop BB31_33 Depth 5
	global_load_b32 v27, v26, s[18:19] scale_offset
	s_wait_loadcnt 0x0
	v_subrev_nc_u32_e32 v10, s7, v27
	global_load_b32 v28, v10, s[8:9] scale_offset
	s_wait_loadcnt 0x0
	v_cmp_ne_u32_e64 s5, -1, v28
	s_wait_xcnt 0x0
	s_and_saveexec_b32 s28, s5
	s_cbranch_execz .LBB31_8
; %bb.10:                               ;   in Loop: Header=BB31_9 Depth=2
	v_ashrrev_i32_e32 v11, 31, v10
	s_mov_b32 s6, exec_lo
	s_delay_alu instid0(VALU_DEP_1) | instskip(NEXT) | instid1(VALU_DEP_1)
	v_lshlrev_b64_e32 v[12:13], 2, v[10:11]
	v_add_nc_u64_e32 v[14:15], s[16:17], v[12:13]
	v_add_nc_u64_e32 v[12:13], s[10:11], v[12:13]
	global_load_b32 v11, v[14:15], off
	global_load_b32 v16, v[12:13], off scope:SCOPE_DEV
	s_wait_loadcnt 0x0
	s_wait_xcnt 0x0
	v_cmpx_eq_u32_e32 0, v16
	s_cbranch_execz .LBB31_13
; %bb.11:                               ;   in Loop: Header=BB31_9 Depth=2
	s_mov_b32 s29, 0
.LBB31_12:                              ;   Parent Loop BB31_4 Depth=1
                                        ;     Parent Loop BB31_9 Depth=2
                                        ; =>    This Inner Loop Header: Depth=3
	global_load_b32 v14, v[12:13], off scope:SCOPE_DEV
	s_wait_loadcnt 0x0
	v_cmp_ne_u32_e32 vcc_lo, 0, v14
	s_or_b32 s29, vcc_lo, s29
	s_wait_xcnt 0x0
	s_and_not1_b32 exec_lo, exec_lo, s29
	s_cbranch_execnz .LBB31_12
.LBB31_13:                              ;   in Loop: Header=BB31_9 Depth=2
	s_or_b32 exec_lo, exec_lo, s6
	v_mul_lo_u32 v12, v26, s23
	v_subrev_nc_u32_e32 v29, s7, v11
	v_mul_lo_u32 v30, v10, s21
	v_mul_lo_u32 v31, v28, s23
	s_mov_b32 s29, 0
	global_inv scope:SCOPE_DEV
	v_mul_lo_u32 v32, s23, v29
	v_cmp_le_i32_e64 s6, v29, v28
	v_add_nc_u32_e32 v33, v12, v5
	v_add_nc_u32_e32 v34, v12, v25
	s_branch .LBB31_16
.LBB31_14:                              ;   in Loop: Header=BB31_16 Depth=3
	s_or_b32 exec_lo, exec_lo, s33
.LBB31_15:                              ;   in Loop: Header=BB31_16 Depth=3
	s_delay_alu instid0(SALU_CYCLE_1) | instskip(SKIP_4) | instid1(SALU_CYCLE_1)
	s_or_b32 exec_lo, exec_lo, s31
	s_wait_loadcnt 0x0
	v_dual_add_f64 v[12:13], v[12:13], -v[16:17] :: v_dual_ashrrev_i32 v15, 31, v14
	v_add_nc_u32_e32 v32, 1, v32
	s_add_co_i32 s29, s29, 1
	s_cmp_eq_u32 s29, s21
	s_delay_alu instid0(VALU_DEP_2) | instskip(NEXT) | instid1(VALU_DEP_3)
	v_lshl_add_u64 v[14:15], v[14:15], 3, s[12:13]
	v_div_scale_f64 v[16:17], null, v[10:11], v[10:11], v[12:13]
	s_delay_alu instid0(VALU_DEP_1) | instskip(SKIP_1) | instid1(TRANS32_DEP_1)
	v_rcp_f64_e32 v[36:37], v[16:17]
	v_nop
	v_fma_f64 v[38:39], -v[16:17], v[36:37], 1.0
	s_delay_alu instid0(VALU_DEP_1) | instskip(NEXT) | instid1(VALU_DEP_1)
	v_fmac_f64_e32 v[36:37], v[36:37], v[38:39]
	v_fma_f64 v[38:39], -v[16:17], v[36:37], 1.0
	s_delay_alu instid0(VALU_DEP_1) | instskip(SKIP_1) | instid1(VALU_DEP_1)
	v_fmac_f64_e32 v[36:37], v[36:37], v[38:39]
	v_div_scale_f64 v[38:39], vcc_lo, v[12:13], v[10:11], v[12:13]
	v_mul_f64_e32 v[40:41], v[38:39], v[36:37]
	s_delay_alu instid0(VALU_DEP_1) | instskip(NEXT) | instid1(VALU_DEP_1)
	v_fma_f64 v[16:17], -v[16:17], v[40:41], v[38:39]
	v_div_fmas_f64 v[16:17], v[16:17], v[36:37], v[40:41]
	s_delay_alu instid0(VALU_DEP_1) | instskip(NEXT) | instid1(VALU_DEP_1)
	v_div_fixup_f64 v[10:11], v[16:17], v[10:11], v[12:13]
	v_fmac_f64_e32 v[8:9], v[10:11], v[10:11]
	global_store_b64 v[14:15], v[10:11], off
	s_cbranch_scc1 .LBB31_8
.LBB31_16:                              ;   Parent Loop BB31_4 Depth=1
                                        ;     Parent Loop BB31_9 Depth=2
                                        ; =>    This Loop Header: Depth=3
                                        ;         Child Loop BB31_18 Depth 4
                                        ;         Child Loop BB31_25 Depth 4
                                        ;           Child Loop BB31_27 Depth 5
                                        ;           Child Loop BB31_33 Depth 5
	s_mul_i32 s30, s29, s21
	s_wait_xcnt 0x0
	v_add3_u32 v10, s30, s29, v31
	global_load_b64 v[10:11], v10, s[12:13] scale_offset
	s_wait_loadcnt 0x0
	v_cmp_neq_f64_e32 vcc_lo, 0, v[10:11]
	v_cndmask_b32_e32 v11, 0x3ff00000, v11, vcc_lo
	s_wait_xcnt 0x0
	v_cndmask_b32_e32 v10, 0, v10, vcc_lo
	s_nor_b32 s33, vcc_lo, s0
	s_delay_alu instid0(SALU_CYCLE_1)
	s_and_saveexec_b32 s31, s33
	s_cbranch_execz .LBB31_22
; %bb.17:                               ;   in Loop: Header=BB31_16 Depth=3
	s_mov_b32 s34, exec_lo
	s_brev_b32 s33, -2
.LBB31_18:                              ;   Parent Loop BB31_4 Depth=1
                                        ;     Parent Loop BB31_9 Depth=2
                                        ;       Parent Loop BB31_16 Depth=3
                                        ; =>      This Inner Loop Header: Depth=4
	s_ctz_i32_b32 s35, s34
	s_delay_alu instid0(SALU_CYCLE_1) | instskip(SKIP_1) | instid1(SALU_CYCLE_1)
	v_readlane_b32 s36, v27, s35
	s_lshl_b32 s35, 1, s35
	s_and_not1_b32 s34, s34, s35
	s_min_i32 s33, s33, s36
	s_cmp_lg_u32 s34, 0
	s_cbranch_scc1 .LBB31_18
; %bb.19:                               ;   in Loop: Header=BB31_16 Depth=3
	v_mbcnt_lo_u32_b32 v10, exec_lo, 0
	s_mov_b32 s34, exec_lo
	s_delay_alu instid0(VALU_DEP_1)
	v_cmpx_eq_u32_e32 0, v10
	s_xor_b32 s34, exec_lo, s34
	s_cbranch_execz .LBB31_21
; %bb.20:                               ;   in Loop: Header=BB31_16 Depth=3
	v_mov_b32_e32 v10, s33
	global_atomic_min_i32 v22, v10, s[14:15] scope:SCOPE_DEV
.LBB31_21:                              ;   in Loop: Header=BB31_16 Depth=3
	s_wait_xcnt 0x0
	s_or_b32 exec_lo, exec_lo, s34
	v_mov_b64_e32 v[10:11], 1.0
.LBB31_22:                              ;   in Loop: Header=BB31_16 Depth=3
	s_or_b32 exec_lo, exec_lo, s31
	v_dual_add_nc_u32 v12, s30, v33 :: v_dual_add_nc_u32 v13, s29, v34
	v_mov_b64_e32 v[16:17], 0
	s_delay_alu instid0(VALU_DEP_2)
	v_cndmask_b32_e64 v14, v12, v13, s1
	global_load_b64 v[12:13], v14, s[12:13] scale_offset
	s_wait_xcnt 0x0
	s_and_saveexec_b32 s31, s6
	s_cbranch_execz .LBB31_15
; %bb.23:                               ;   in Loop: Header=BB31_16 Depth=3
	global_load_b32 v15, v[6:7], off
	v_mov_b64_e32 v[16:17], 0
	v_dual_mov_b32 v36, v32 :: v_dual_add_nc_u32 v35, s29, v30
	v_mov_b32_e32 v37, v29
	s_mov_b32 s33, 0
	s_branch .LBB31_25
.LBB31_24:                              ;   in Loop: Header=BB31_25 Depth=4
	s_or_b32 exec_lo, exec_lo, s34
	v_dual_add_nc_u32 v38, 1, v37 :: v_dual_add_nc_u32 v36, s23, v36
	v_cmp_ge_i32_e32 vcc_lo, v37, v28
	s_delay_alu instid0(VALU_DEP_2) | instskip(SKIP_1) | instid1(SALU_CYCLE_1)
	v_mov_b32_e32 v37, v38
	s_or_b32 s33, vcc_lo, s33
	s_and_not1_b32 exec_lo, exec_lo, s33
	s_cbranch_execz .LBB31_14
.LBB31_25:                              ;   Parent Loop BB31_4 Depth=1
                                        ;     Parent Loop BB31_9 Depth=2
                                        ;       Parent Loop BB31_16 Depth=3
                                        ; =>      This Loop Header: Depth=4
                                        ;           Child Loop BB31_27 Depth 5
                                        ;           Child Loop BB31_33 Depth 5
	global_load_b32 v38, v37, s[18:19] scale_offset
	s_wait_loadcnt 0x1
	v_dual_mov_b32 v40, v15 :: v_dual_mov_b32 v39, v4
	s_wait_xcnt 0x0
	s_and_saveexec_b32 s34, s4
	s_cbranch_execz .LBB31_29
; %bb.26:                               ;   in Loop: Header=BB31_25 Depth=4
	v_dual_mov_b32 v40, v15 :: v_dual_mov_b32 v39, v4
	v_dual_mov_b32 v41, v19 :: v_dual_mov_b32 v42, v18
	s_mov_b32 s35, 0
.LBB31_27:                              ;   Parent Loop BB31_4 Depth=1
                                        ;     Parent Loop BB31_9 Depth=2
                                        ;       Parent Loop BB31_16 Depth=3
                                        ;         Parent Loop BB31_25 Depth=4
                                        ; =>        This Inner Loop Header: Depth=5
	s_wait_loadcnt 0x0
	s_delay_alu instid0(VALU_DEP_2) | instskip(NEXT) | instid1(VALU_DEP_2)
	v_cmp_lt_i32_e32 vcc_lo, v40, v38
	v_dual_add_nc_u32 v43, 1, v39 :: v_dual_cndmask_b32 v41, v39, v41, vcc_lo
	s_delay_alu instid0(VALU_DEP_1) | instskip(NEXT) | instid1(VALU_DEP_1)
	v_cndmask_b32_e32 v42, v42, v43, vcc_lo
	v_add_nc_u32_e32 v39, v41, v42
	v_cmp_ge_i32_e32 vcc_lo, v42, v41
	s_delay_alu instid0(VALU_DEP_2)
	v_ashrrev_i32_e32 v39, 1, v39
	s_or_b32 s35, vcc_lo, s35
	global_load_b32 v40, v39, s[18:19] scale_offset
	s_wait_xcnt 0x0
	s_and_not1_b32 exec_lo, exec_lo, s35
	s_cbranch_execnz .LBB31_27
; %bb.28:                               ;   in Loop: Header=BB31_25 Depth=4
	s_or_b32 exec_lo, exec_lo, s35
.LBB31_29:                              ;   in Loop: Header=BB31_25 Depth=4
	s_delay_alu instid0(SALU_CYCLE_1) | instskip(NEXT) | instid1(SALU_CYCLE_1)
	s_or_b32 exec_lo, exec_lo, s34
	s_mov_b32 s34, exec_lo
	s_wait_loadcnt 0x0
	v_cmpx_eq_u32_e64 v40, v38
	s_cbranch_execz .LBB31_24
; %bb.30:                               ;   in Loop: Header=BB31_25 Depth=4
	v_mul_lo_u32 v41, v39, s23
	v_subrev_nc_u32_e32 v39, s7, v38
	v_mad_u32 v38, v37, s23, s30
	s_mov_b32 s35, 0
	v_mov_b32_e32 v42, v36
	s_delay_alu instid0(VALU_DEP_3)
	v_mul_lo_u32 v39, v39, s21
	v_add_nc_u32_e32 v40, v41, v25
	v_add_nc_u32_e32 v41, v5, v41
	s_branch .LBB31_33
.LBB31_31:                              ;   in Loop: Header=BB31_33 Depth=5
	s_clause 0x1
	global_load_b64 v[46:47], v44, s[12:13] scale_offset
	global_load_b64 v[48:49], v43, s[12:13] scale_offset
	s_wait_loadcnt 0x0
	v_fmac_f64_e32 v[16:17], v[46:47], v[48:49]
.LBB31_32:                              ;   in Loop: Header=BB31_33 Depth=5
	s_wait_xcnt 0x0
	s_or_b32 exec_lo, exec_lo, s36
	v_dual_add_nc_u32 v41, s21, v41 :: v_dual_add_nc_u32 v42, s21, v42
	s_add_co_i32 s35, s35, 1
	s_delay_alu instid0(SALU_CYCLE_1)
	s_cmp_lg_u32 s21, s35
	s_cbranch_scc0 .LBB31_24
.LBB31_33:                              ;   Parent Loop BB31_4 Depth=1
                                        ;     Parent Loop BB31_9 Depth=2
                                        ;       Parent Loop BB31_16 Depth=3
                                        ;         Parent Loop BB31_25 Depth=4
                                        ; =>        This Inner Loop Header: Depth=5
	s_delay_alu instid0(VALU_DEP_3) | instskip(SKIP_1) | instid1(VALU_DEP_1)
	v_add_nc_u32_e32 v43, s35, v39
	s_mov_b32 s36, exec_lo
	v_cmpx_lt_i32_e64 v43, v35
	s_cbranch_execz .LBB31_32
; %bb.34:                               ;   in Loop: Header=BB31_33 Depth=5
	v_dual_mov_b32 v43, v41 :: v_dual_mov_b32 v44, v42
	s_and_not1_b32 vcc_lo, exec_lo, s1
	s_cbranch_vccnz .LBB31_31
; %bb.35:                               ;   in Loop: Header=BB31_33 Depth=5
	v_dual_add_nc_u32 v44, s35, v38 :: v_dual_add_nc_u32 v43, s35, v40
	s_branch .LBB31_31
.LBB31_36:                              ;   in Loop: Header=BB31_4 Depth=1
	s_or_b32 exec_lo, exec_lo, s27
.LBB31_37:                              ;   in Loop: Header=BB31_4 Depth=1
	s_delay_alu instid0(SALU_CYCLE_1) | instskip(NEXT) | instid1(VALU_DEP_2)
	s_or_b32 exec_lo, exec_lo, s26
	v_add_nc_u32_e32 v26, v25, v23
	v_mov_b32_e32 v27, v21
	s_mov_b32 s5, 0
	s_branch .LBB31_40
.LBB31_38:                              ;   in Loop: Header=BB31_40 Depth=2
	s_wait_loadcnt 0x0
	s_delay_alu instid0(VALU_DEP_1) | instskip(NEXT) | instid1(VALU_DEP_1)
	v_add_f64_e64 v[12:13], v[12:13], -v[14:15]
	v_div_scale_f64 v[14:15], null, v[10:11], v[10:11], v[12:13]
	s_delay_alu instid0(VALU_DEP_1) | instskip(SKIP_2) | instid1(TRANS32_DEP_1)
	v_rcp_f64_e32 v[28:29], v[14:15]
	s_wait_xcnt 0x0
	v_nop
	v_fma_f64 v[30:31], -v[14:15], v[28:29], 1.0
	s_delay_alu instid0(VALU_DEP_1) | instskip(NEXT) | instid1(VALU_DEP_1)
	v_fmac_f64_e32 v[28:29], v[28:29], v[30:31]
	v_fma_f64 v[30:31], -v[14:15], v[28:29], 1.0
	s_delay_alu instid0(VALU_DEP_1) | instskip(SKIP_1) | instid1(VALU_DEP_1)
	v_fmac_f64_e32 v[28:29], v[28:29], v[30:31]
	v_div_scale_f64 v[30:31], vcc_lo, v[12:13], v[10:11], v[12:13]
	v_mul_f64_e32 v[32:33], v[30:31], v[28:29]
	s_delay_alu instid0(VALU_DEP_1) | instskip(NEXT) | instid1(VALU_DEP_1)
	v_fma_f64 v[14:15], -v[14:15], v[32:33], v[30:31]
	v_div_fmas_f64 v[14:15], v[14:15], v[28:29], v[32:33]
	s_delay_alu instid0(VALU_DEP_1) | instskip(NEXT) | instid1(VALU_DEP_1)
	v_div_fixup_f64 v[10:11], v[14:15], v[10:11], v[12:13]
	v_fmac_f64_e32 v[8:9], v[10:11], v[10:11]
	global_store_b64 v[16:17], v[10:11], off
.LBB31_39:                              ;   in Loop: Header=BB31_40 Depth=2
	s_wait_xcnt 0x0
	s_or_b32 exec_lo, exec_lo, s26
	v_add_nc_u32_e32 v27, 1, v27
	s_add_co_i32 s5, s5, 1
	global_wb scope:SCOPE_DEV
	s_wait_storecnt 0x0
	global_inv scope:SCOPE_DEV
	s_cmp_eq_u32 s5, s21
	s_cbranch_scc1 .LBB31_3
.LBB31_40:                              ;   Parent Loop BB31_4 Depth=1
                                        ; =>  This Loop Header: Depth=2
                                        ;       Child Loop BB31_44 Depth 3
                                        ;       Child Loop BB31_52 Depth 3
                                        ;         Child Loop BB31_54 Depth 4
                                        ;       Child Loop BB31_62 Depth 3
	s_mul_i32 s6, s5, s21
	s_mov_b32 s26, exec_lo
	v_add_nc_u32_e32 v28, s6, v23
	s_delay_alu instid0(VALU_DEP_1) | instskip(NEXT) | instid1(VALU_DEP_1)
	v_add_nc_u32_e32 v10, s5, v28
	v_ashrrev_i32_e32 v11, 31, v10
	s_delay_alu instid0(VALU_DEP_1)
	v_lshl_add_u64 v[10:11], v[10:11], 3, s[12:13]
	v_cmpx_eq_u32_e64 s5, v5
	s_cbranch_execz .LBB31_42
; %bb.41:                               ;   in Loop: Header=BB31_40 Depth=2
	global_load_b64 v[12:13], v[10:11], off
	s_wait_loadcnt 0x0
	v_add_f64_e64 v[12:13], v[12:13], -v[8:9]
	s_delay_alu instid0(VALU_DEP_1) | instskip(SKIP_1) | instid1(VALU_DEP_1)
	v_cmp_gt_f64_e32 vcc_lo, 0, v[12:13]
	v_xor_b32_e32 v14, 0x80000000, v13
	v_cndmask_b32_e32 v13, v13, v14, vcc_lo
	s_delay_alu instid0(VALU_DEP_1) | instskip(SKIP_1) | instid1(VALU_DEP_1)
	v_cmp_gt_f64_e32 vcc_lo, 0x10000000, v[12:13]
	v_cndmask_b32_e64 v14, 0, 0x100, vcc_lo
	v_ldexp_f64 v[12:13], v[12:13], v14
	s_delay_alu instid0(VALU_DEP_1) | instskip(SKIP_1) | instid1(TRANS32_DEP_1)
	v_rsq_f64_e32 v[14:15], v[12:13]
	v_nop
	v_mul_f64_e32 v[16:17], v[12:13], v[14:15]
	v_mul_f64_e32 v[14:15], 0.5, v[14:15]
	s_delay_alu instid0(VALU_DEP_1) | instskip(NEXT) | instid1(VALU_DEP_1)
	v_fma_f64 v[30:31], -v[14:15], v[16:17], 0.5
	v_fmac_f64_e32 v[16:17], v[16:17], v[30:31]
	v_fmac_f64_e32 v[14:15], v[14:15], v[30:31]
	s_delay_alu instid0(VALU_DEP_2) | instskip(NEXT) | instid1(VALU_DEP_1)
	v_fma_f64 v[30:31], -v[16:17], v[16:17], v[12:13]
	v_fmac_f64_e32 v[16:17], v[30:31], v[14:15]
	s_delay_alu instid0(VALU_DEP_1) | instskip(NEXT) | instid1(VALU_DEP_1)
	v_fma_f64 v[30:31], -v[16:17], v[16:17], v[12:13]
	v_fmac_f64_e32 v[16:17], v[30:31], v[14:15]
	v_cndmask_b32_e64 v14, 0, 0xffffff80, vcc_lo
	v_cmp_class_f64_e64 vcc_lo, v[12:13], 0x260
	s_delay_alu instid0(VALU_DEP_2) | instskip(NEXT) | instid1(VALU_DEP_1)
	v_ldexp_f64 v[14:15], v[16:17], v14
	v_dual_cndmask_b32 v13, v15, v13 :: v_dual_cndmask_b32 v12, v14, v12
	global_store_b64 v[10:11], v[12:13], off
.LBB31_42:                              ;   in Loop: Header=BB31_40 Depth=2
	s_wait_xcnt 0x0
	s_or_b32 exec_lo, exec_lo, s26
	global_wb scope:SCOPE_DEV
	s_wait_storecnt 0x0
	global_inv scope:SCOPE_DEV
	global_load_b64 v[10:11], v[10:11], off
	s_wait_loadcnt 0x0
	v_cmp_neq_f64_e32 vcc_lo, 0, v[10:11]
	s_wait_xcnt 0x0
	v_cndmask_b32_e32 v11, 0x3ff00000, v11, vcc_lo
	v_cndmask_b32_e32 v10, 0, v10, vcc_lo
	s_nor_b32 s27, vcc_lo, s0
	s_delay_alu instid0(SALU_CYCLE_1)
	s_and_saveexec_b32 s26, s27
	s_cbranch_execz .LBB31_48
; %bb.43:                               ;   in Loop: Header=BB31_40 Depth=2
	s_mov_b32 s28, exec_lo
	s_brev_b32 s27, -2
.LBB31_44:                              ;   Parent Loop BB31_4 Depth=1
                                        ;     Parent Loop BB31_40 Depth=2
                                        ; =>    This Inner Loop Header: Depth=3
	s_ctz_i32_b32 s29, s28
	s_delay_alu instid0(SALU_CYCLE_1) | instskip(SKIP_1) | instid1(SALU_CYCLE_1)
	v_readlane_b32 s30, v20, s29
	s_lshl_b32 s29, 1, s29
	s_and_not1_b32 s28, s28, s29
	s_min_i32 s27, s27, s30
	s_cmp_lg_u32 s28, 0
	s_cbranch_scc1 .LBB31_44
; %bb.45:                               ;   in Loop: Header=BB31_40 Depth=2
	v_mbcnt_lo_u32_b32 v10, exec_lo, 0
	s_mov_b32 s28, exec_lo
	s_delay_alu instid0(VALU_DEP_1)
	v_cmpx_eq_u32_e32 0, v10
	s_xor_b32 s28, exec_lo, s28
	s_cbranch_execz .LBB31_47
; %bb.46:                               ;   in Loop: Header=BB31_40 Depth=2
	v_mov_b32_e32 v10, s27
	global_atomic_min_i32 v22, v10, s[14:15] scope:SCOPE_DEV
.LBB31_47:                              ;   in Loop: Header=BB31_40 Depth=2
	s_wait_xcnt 0x0
	s_or_b32 exec_lo, exec_lo, s28
	v_mov_b64_e32 v[10:11], 1.0
.LBB31_48:                              ;   in Loop: Header=BB31_40 Depth=2
	s_or_b32 exec_lo, exec_lo, s26
	s_delay_alu instid0(SALU_CYCLE_1)
	s_mov_b32 s26, exec_lo
	v_cmpx_lt_i32_e64 s5, v5
	s_cbranch_execz .LBB31_39
; %bb.49:                               ;   in Loop: Header=BB31_40 Depth=2
	v_dual_add_nc_u32 v12, v28, v5 :: v_dual_add_nc_u32 v13, s5, v26
	v_mov_b64_e32 v[14:15], 0
	s_delay_alu instid0(VALU_DEP_2)
	v_cndmask_b32_e64 v16, v12, v13, s1
	global_load_b64 v[12:13], v16, s[12:13] scale_offset
	s_wait_xcnt 0x0
	s_and_saveexec_b32 s27, s2
	s_cbranch_execz .LBB31_59
; %bb.50:                               ;   in Loop: Header=BB31_40 Depth=2
	v_mov_b64_e32 v[14:15], 0
	v_dual_mov_b32 v17, v27 :: v_dual_mov_b32 v29, v24
	v_mov_b32_e32 v30, v18
	s_mov_b32 s28, 0
	s_branch .LBB31_52
.LBB31_51:                              ;   in Loop: Header=BB31_52 Depth=3
	v_dual_add_nc_u32 v30, 1, v30 :: v_dual_add_nc_u32 v29, s23, v29
	v_add_nc_u32_e32 v17, s23, v17
	s_delay_alu instid0(VALU_DEP_2)
	v_cmp_ge_i32_e32 vcc_lo, v30, v1
	s_or_b32 s28, vcc_lo, s28
	s_wait_xcnt 0x0
	s_and_not1_b32 exec_lo, exec_lo, s28
	s_cbranch_execz .LBB31_58
.LBB31_52:                              ;   Parent Loop BB31_4 Depth=1
                                        ;     Parent Loop BB31_40 Depth=2
                                        ; =>    This Loop Header: Depth=3
                                        ;         Child Loop BB31_54 Depth 4
	s_delay_alu instid0(VALU_DEP_1) | instskip(SKIP_3) | instid1(VALU_DEP_1)
	v_mul_lo_u32 v32, v30, s23
	s_mov_b32 s29, s21
	s_mov_b32 s30, 0
	;; [unrolled: 1-line block ×3, first 2 shown]
	v_dual_add_nc_u32 v31, s6, v32 :: v_dual_add_nc_u32 v32, v32, v25
	s_branch .LBB31_54
.LBB31_53:                              ;   in Loop: Header=BB31_54 Depth=4
	s_clause 0x1
	global_load_b64 v[36:37], v33, s[12:13] scale_offset
	global_load_b64 v[38:39], v34, s[12:13] scale_offset
	s_add_co_i32 s29, s29, -1
	s_add_co_i32 s31, s31, 1
	s_add_co_i32 s30, s30, s21
	s_cmp_eq_u32 s29, 0
	s_wait_loadcnt 0x0
	v_fmac_f64_e32 v[14:15], v[36:37], v[38:39]
	s_cbranch_scc1 .LBB31_51
.LBB31_54:                              ;   Parent Loop BB31_4 Depth=1
                                        ;     Parent Loop BB31_40 Depth=2
                                        ;       Parent Loop BB31_52 Depth=3
                                        ; =>      This Inner Loop Header: Depth=4
	s_and_b32 vcc_lo, exec_lo, s25
	s_mov_b32 s33, -1
                                        ; implicit-def: $vgpr33
                                        ; implicit-def: $vgpr34
	s_cbranch_vccz .LBB31_56
; %bb.55:                               ;   in Loop: Header=BB31_54 Depth=4
	s_wait_xcnt 0x1
	v_add_nc_u32_e32 v33, s30, v17
	s_wait_xcnt 0x0
	v_add_nc_u32_e32 v34, s30, v29
	s_mov_b32 s33, 0
.LBB31_56:                              ;   in Loop: Header=BB31_54 Depth=4
	s_delay_alu instid0(SALU_CYCLE_1)
	s_and_not1_b32 vcc_lo, exec_lo, s33
	s_cbranch_vccnz .LBB31_53
; %bb.57:                               ;   in Loop: Header=BB31_54 Depth=4
	s_wait_xcnt 0x0
	v_dual_add_nc_u32 v33, s31, v31 :: v_dual_add_nc_u32 v34, s31, v32
	s_branch .LBB31_53
.LBB31_58:                              ;   in Loop: Header=BB31_40 Depth=2
	s_or_b32 exec_lo, exec_lo, s28
.LBB31_59:                              ;   in Loop: Header=BB31_40 Depth=2
	s_delay_alu instid0(SALU_CYCLE_1) | instskip(SKIP_2) | instid1(VALU_DEP_1)
	s_or_b32 exec_lo, exec_lo, s27
	v_ashrrev_i32_e32 v17, 31, v16
	s_cmp_eq_u32 s5, 0
	v_lshl_add_u64 v[16:17], v[16:17], 3, s[12:13]
	s_cbranch_scc1 .LBB31_38
; %bb.60:                               ;   in Loop: Header=BB31_40 Depth=2
	v_mov_b32_e32 v29, v23
	s_mov_b32 s6, 0
	s_branch .LBB31_62
.LBB31_61:                              ;   in Loop: Header=BB31_62 Depth=3
	s_clause 0x1
	global_load_b64 v[32:33], v30, s[12:13] scale_offset
	global_load_b64 v[34:35], v31, s[12:13] scale_offset
	v_add_nc_u32_e32 v29, s21, v29
	s_add_co_i32 s6, s6, 1
	s_delay_alu instid0(SALU_CYCLE_1)
	s_cmp_eq_u32 s5, s6
	s_wait_loadcnt 0x0
	v_fmac_f64_e32 v[14:15], v[32:33], v[34:35]
	s_cbranch_scc1 .LBB31_38
.LBB31_62:                              ;   Parent Loop BB31_4 Depth=1
                                        ;     Parent Loop BB31_40 Depth=2
                                        ; =>    This Inner Loop Header: Depth=3
	s_and_b32 vcc_lo, exec_lo, s25
	s_mov_b32 s27, -1
                                        ; implicit-def: $vgpr30
                                        ; implicit-def: $vgpr31
	s_cbranch_vccz .LBB31_64
; %bb.63:                               ;   in Loop: Header=BB31_62 Depth=3
	s_wait_xcnt 0x0
	v_dual_add_nc_u32 v30, s5, v29 :: v_dual_add_nc_u32 v31, v5, v29
	s_mov_b32 s27, 0
.LBB31_64:                              ;   in Loop: Header=BB31_62 Depth=3
	s_delay_alu instid0(SALU_CYCLE_1)
	s_and_not1_b32 vcc_lo, exec_lo, s27
	s_cbranch_vccnz .LBB31_61
; %bb.65:                               ;   in Loop: Header=BB31_62 Depth=3
	s_wait_xcnt 0x0
	v_dual_add_nc_u32 v30, s6, v28 :: v_dual_add_nc_u32 v31, s6, v26
	s_branch .LBB31_61
.LBB31_66:
	s_or_b32 exec_lo, exec_lo, s22
	s_delay_alu instid0(SALU_CYCLE_1)
	s_mov_b32 s0, exec_lo
	v_cmpx_eq_u32_e32 63, v0
	s_cbranch_execz .LBB31_68
; %bb.67:
	v_lshl_add_u64 v[0:1], v[2:3], 2, s[10:11]
	v_mov_b32_e32 v2, 1
	global_wb scope:SCOPE_DEV
	s_wait_loadcnt 0x0
	s_wait_storecnt 0x0
	global_store_b32 v[0:1], v2, off scope:SCOPE_DEV
.LBB31_68:
	s_wait_xcnt 0x0
	s_or_b32 exec_lo, exec_lo, s0
                                        ; implicit-def: $vgpr0
                                        ; implicit-def: $vgpr2_vgpr3
.LBB31_69:
	s_and_not1_saveexec_b32 s0, s20
	s_cbranch_execz .LBB31_76
; %bb.70:
	s_mov_b32 s0, exec_lo
	v_cmpx_eq_u32_e32 63, v0
	s_cbranch_execz .LBB31_76
; %bb.71:
	v_add_nc_u32_e32 v0, s7, v2
	s_mov_b32 s1, exec_lo
	s_brev_b32 s0, -2
.LBB31_72:                              ; =>This Inner Loop Header: Depth=1
	s_ctz_i32_b32 s2, s1
	s_delay_alu instid0(VALU_DEP_1) | instid1(SALU_CYCLE_1)
	v_readlane_b32 s3, v0, s2
	s_lshl_b32 s2, 1, s2
	s_delay_alu instid0(SALU_CYCLE_1)
	s_and_not1_b32 s1, s1, s2
	s_min_i32 s0, s0, s3
	s_cmp_lg_u32 s1, 0
	s_cbranch_scc1 .LBB31_72
; %bb.73:
	v_mbcnt_lo_u32_b32 v0, exec_lo, 0
	s_mov_b32 s1, exec_lo
	s_delay_alu instid0(VALU_DEP_1)
	v_cmpx_eq_u32_e32 0, v0
	s_xor_b32 s1, exec_lo, s1
	s_cbranch_execz .LBB31_75
; %bb.74:
	v_dual_mov_b32 v0, 0 :: v_dual_mov_b32 v1, s0
	global_atomic_min_i32 v0, v1, s[14:15] scope:SCOPE_DEV
.LBB31_75:
	s_wait_xcnt 0x0
	s_or_b32 exec_lo, exec_lo, s1
	v_lshl_add_u64 v[0:1], v[2:3], 2, s[10:11]
	v_mov_b32_e32 v2, 1
	global_wb scope:SCOPE_DEV
	s_wait_loadcnt 0x0
	s_wait_storecnt 0x0
	global_store_b32 v[0:1], v2, off scope:SCOPE_DEV
.LBB31_76:
	s_endpgm
	.section	.rodata,"a",@progbits
	.p2align	6, 0x0
	.amdhsa_kernel _ZN9rocsparseL23bsric0_binsearch_kernelILj64ELj64ELb0EdEEv20rocsparse_direction_iiPKiS3_PT2_S3_PiS3_S6_21rocsparse_index_base_
		.amdhsa_group_segment_fixed_size 0
		.amdhsa_private_segment_fixed_size 0
		.amdhsa_kernarg_size 76
		.amdhsa_user_sgpr_count 2
		.amdhsa_user_sgpr_dispatch_ptr 0
		.amdhsa_user_sgpr_queue_ptr 0
		.amdhsa_user_sgpr_kernarg_segment_ptr 1
		.amdhsa_user_sgpr_dispatch_id 0
		.amdhsa_user_sgpr_kernarg_preload_length 0
		.amdhsa_user_sgpr_kernarg_preload_offset 0
		.amdhsa_user_sgpr_private_segment_size 0
		.amdhsa_wavefront_size32 1
		.amdhsa_uses_dynamic_stack 0
		.amdhsa_enable_private_segment 0
		.amdhsa_system_sgpr_workgroup_id_x 1
		.amdhsa_system_sgpr_workgroup_id_y 0
		.amdhsa_system_sgpr_workgroup_id_z 0
		.amdhsa_system_sgpr_workgroup_info 0
		.amdhsa_system_vgpr_workitem_id 0
		.amdhsa_next_free_vgpr 50
		.amdhsa_next_free_sgpr 37
		.amdhsa_named_barrier_count 0
		.amdhsa_reserve_vcc 1
		.amdhsa_float_round_mode_32 0
		.amdhsa_float_round_mode_16_64 0
		.amdhsa_float_denorm_mode_32 3
		.amdhsa_float_denorm_mode_16_64 3
		.amdhsa_fp16_overflow 0
		.amdhsa_memory_ordered 1
		.amdhsa_forward_progress 1
		.amdhsa_inst_pref_size 23
		.amdhsa_round_robin_scheduling 0
		.amdhsa_exception_fp_ieee_invalid_op 0
		.amdhsa_exception_fp_denorm_src 0
		.amdhsa_exception_fp_ieee_div_zero 0
		.amdhsa_exception_fp_ieee_overflow 0
		.amdhsa_exception_fp_ieee_underflow 0
		.amdhsa_exception_fp_ieee_inexact 0
		.amdhsa_exception_int_div_zero 0
	.end_amdhsa_kernel
	.section	.text._ZN9rocsparseL23bsric0_binsearch_kernelILj64ELj64ELb0EdEEv20rocsparse_direction_iiPKiS3_PT2_S3_PiS3_S6_21rocsparse_index_base_,"axG",@progbits,_ZN9rocsparseL23bsric0_binsearch_kernelILj64ELj64ELb0EdEEv20rocsparse_direction_iiPKiS3_PT2_S3_PiS3_S6_21rocsparse_index_base_,comdat
.Lfunc_end31:
	.size	_ZN9rocsparseL23bsric0_binsearch_kernelILj64ELj64ELb0EdEEv20rocsparse_direction_iiPKiS3_PT2_S3_PiS3_S6_21rocsparse_index_base_, .Lfunc_end31-_ZN9rocsparseL23bsric0_binsearch_kernelILj64ELj64ELb0EdEEv20rocsparse_direction_iiPKiS3_PT2_S3_PiS3_S6_21rocsparse_index_base_
                                        ; -- End function
	.set _ZN9rocsparseL23bsric0_binsearch_kernelILj64ELj64ELb0EdEEv20rocsparse_direction_iiPKiS3_PT2_S3_PiS3_S6_21rocsparse_index_base_.num_vgpr, 50
	.set _ZN9rocsparseL23bsric0_binsearch_kernelILj64ELj64ELb0EdEEv20rocsparse_direction_iiPKiS3_PT2_S3_PiS3_S6_21rocsparse_index_base_.num_agpr, 0
	.set _ZN9rocsparseL23bsric0_binsearch_kernelILj64ELj64ELb0EdEEv20rocsparse_direction_iiPKiS3_PT2_S3_PiS3_S6_21rocsparse_index_base_.numbered_sgpr, 37
	.set _ZN9rocsparseL23bsric0_binsearch_kernelILj64ELj64ELb0EdEEv20rocsparse_direction_iiPKiS3_PT2_S3_PiS3_S6_21rocsparse_index_base_.num_named_barrier, 0
	.set _ZN9rocsparseL23bsric0_binsearch_kernelILj64ELj64ELb0EdEEv20rocsparse_direction_iiPKiS3_PT2_S3_PiS3_S6_21rocsparse_index_base_.private_seg_size, 0
	.set _ZN9rocsparseL23bsric0_binsearch_kernelILj64ELj64ELb0EdEEv20rocsparse_direction_iiPKiS3_PT2_S3_PiS3_S6_21rocsparse_index_base_.uses_vcc, 1
	.set _ZN9rocsparseL23bsric0_binsearch_kernelILj64ELj64ELb0EdEEv20rocsparse_direction_iiPKiS3_PT2_S3_PiS3_S6_21rocsparse_index_base_.uses_flat_scratch, 0
	.set _ZN9rocsparseL23bsric0_binsearch_kernelILj64ELj64ELb0EdEEv20rocsparse_direction_iiPKiS3_PT2_S3_PiS3_S6_21rocsparse_index_base_.has_dyn_sized_stack, 0
	.set _ZN9rocsparseL23bsric0_binsearch_kernelILj64ELj64ELb0EdEEv20rocsparse_direction_iiPKiS3_PT2_S3_PiS3_S6_21rocsparse_index_base_.has_recursion, 0
	.set _ZN9rocsparseL23bsric0_binsearch_kernelILj64ELj64ELb0EdEEv20rocsparse_direction_iiPKiS3_PT2_S3_PiS3_S6_21rocsparse_index_base_.has_indirect_call, 0
	.section	.AMDGPU.csdata,"",@progbits
; Kernel info:
; codeLenInByte = 2904
; TotalNumSgprs: 39
; NumVgprs: 50
; ScratchSize: 0
; MemoryBound: 0
; FloatMode: 240
; IeeeMode: 1
; LDSByteSize: 0 bytes/workgroup (compile time only)
; SGPRBlocks: 0
; VGPRBlocks: 3
; NumSGPRsForWavesPerEU: 39
; NumVGPRsForWavesPerEU: 50
; NamedBarCnt: 0
; Occupancy: 16
; WaveLimiterHint : 1
; COMPUTE_PGM_RSRC2:SCRATCH_EN: 0
; COMPUTE_PGM_RSRC2:USER_SGPR: 2
; COMPUTE_PGM_RSRC2:TRAP_HANDLER: 0
; COMPUTE_PGM_RSRC2:TGID_X_EN: 1
; COMPUTE_PGM_RSRC2:TGID_Y_EN: 0
; COMPUTE_PGM_RSRC2:TGID_Z_EN: 0
; COMPUTE_PGM_RSRC2:TIDIG_COMP_CNT: 0
	.section	.text._ZN9rocsparseL17bsric0_2_8_kernelILi64ELi64ELi8EdEEv20rocsparse_direction_iiPKiS3_PT2_S3_PiS3_S6_21rocsparse_index_base_,"axG",@progbits,_ZN9rocsparseL17bsric0_2_8_kernelILi64ELi64ELi8EdEEv20rocsparse_direction_iiPKiS3_PT2_S3_PiS3_S6_21rocsparse_index_base_,comdat
	.globl	_ZN9rocsparseL17bsric0_2_8_kernelILi64ELi64ELi8EdEEv20rocsparse_direction_iiPKiS3_PT2_S3_PiS3_S6_21rocsparse_index_base_ ; -- Begin function _ZN9rocsparseL17bsric0_2_8_kernelILi64ELi64ELi8EdEEv20rocsparse_direction_iiPKiS3_PT2_S3_PiS3_S6_21rocsparse_index_base_
	.p2align	8
	.type	_ZN9rocsparseL17bsric0_2_8_kernelILi64ELi64ELi8EdEEv20rocsparse_direction_iiPKiS3_PT2_S3_PiS3_S6_21rocsparse_index_base_,@function
_ZN9rocsparseL17bsric0_2_8_kernelILi64ELi64ELi8EdEEv20rocsparse_direction_iiPKiS3_PT2_S3_PiS3_S6_21rocsparse_index_base_: ; @_ZN9rocsparseL17bsric0_2_8_kernelILi64ELi64ELi8EdEEv20rocsparse_direction_iiPKiS3_PT2_S3_PiS3_S6_21rocsparse_index_base_
; %bb.0:
	s_load_b256 s[4:11], s[0:1], 0x28
	s_bfe_u32 s2, ttmp6, 0x4000c
	s_and_b32 s3, ttmp6, 15
	s_add_co_i32 s2, s2, 1
	s_getreg_b32 s12, hwreg(HW_REG_IB_STS2, 6, 4)
	s_mul_i32 s2, ttmp9, s2
	v_and_b32_e32 v8, 0x3ff, v0
	s_add_co_i32 s3, s3, s2
	s_cmp_eq_u32 s12, 0
	v_bfe_u32 v9, v0, 10, 10
	s_cselect_b32 s2, ttmp9, s3
	s_wait_kmcnt 0x0
	s_load_b32 s16, s[8:9], s2 offset:0x0 scale_offset
	s_wait_kmcnt 0x0
	s_ashr_i32 s17, s16, 31
	s_delay_alu instid0(SALU_CYCLE_1) | instskip(NEXT) | instid1(SALU_CYCLE_1)
	s_lshl_b64 s[8:9], s[16:17], 2
	s_add_nc_u64 s[12:13], s[4:5], s[8:9]
	s_load_b32 s17, s[12:13], 0x0
	s_load_b32 s3, s[0:1], 0x48
	s_wait_kmcnt 0x0
	s_cmp_lg_u32 s17, -1
	s_cbranch_scc0 .LBB32_85
; %bb.1:
	s_clause 0x1
	s_load_b128 s[12:15], s[0:1], 0x10
	s_load_b64 s[18:19], s[0:1], 0x20
	v_lshlrev_b32_e32 v10, 3, v9
	s_mov_b32 s2, exec_lo
	s_delay_alu instid0(VALU_DEP_1)
	v_add_nc_u32_e32 v1, v10, v8
	s_wait_kmcnt 0x0
	s_add_nc_u64 s[20:21], s[12:13], s[8:9]
	s_load_b32 s20, s[20:21], 0x0
	s_wait_kmcnt 0x0
	s_sub_co_i32 s28, s20, s3
	s_delay_alu instid0(SALU_CYCLE_1) | instskip(NEXT) | instid1(VALU_DEP_1)
	v_add_nc_u32_e32 v0, s28, v1
	v_cmpx_ge_i32_e64 s17, v0
	s_cbranch_execz .LBB32_13
; %bb.2:
	v_add_nc_u32_e32 v1, s20, v1
	s_add_co_i32 s21, s17, 1
	v_not_b32_e32 v2, v8
	s_mov_b32 s22, -1
	s_delay_alu instid0(VALU_DEP_2) | instskip(NEXT) | instid1(VALU_DEP_1)
	v_subrev_nc_u32_e32 v1, s3, v1
	v_add_max_i32_e64 v1, v1, 64, s21
	s_mov_b32 s21, exec_lo
	s_delay_alu instid0(VALU_DEP_1) | instskip(SKIP_1) | instid1(VALU_DEP_1)
	v_add3_u32 v1, s3, v1, v2
	v_add_nc_u32_e32 v2, s20, v10
	v_sub_nc_u32_e32 v1, v1, v2
	s_delay_alu instid0(VALU_DEP_1)
	v_cmpx_lt_u32_e32 63, v1
	s_cbranch_execz .LBB32_10
; %bb.3:
	v_dual_lshrrev_b32 v4, 6, v1 :: v_dual_add_nc_u32 v1, 64, v0
	s_delay_alu instid0(VALU_DEP_1) | instskip(NEXT) | instid1(VALU_DEP_1)
	v_add_nc_u32_e32 v2, -1, v4
	v_lshrrev_b32_e32 v3, 1, v2
	s_delay_alu instid0(VALU_DEP_1)
	v_add_nc_u32_e32 v5, 1, v3
	v_cmp_lt_u32_e32 vcc_lo, 13, v2
	v_mov_b64_e32 v[2:3], v[0:1]
	s_and_saveexec_b32 s22, vcc_lo
	s_cbranch_execz .LBB32_7
; %bb.4:
	v_mov_b64_e32 v[2:3], v[0:1]
	v_and_b32_e32 v6, -8, v5
	s_mov_b32 s23, 0
.LBB32_5:                               ; =>This Inner Loop Header: Depth=1
	s_clause 0x1
	global_load_b32 v1, v2, s[14:15] scale_offset
	global_load_b32 v7, v3, s[14:15] scale_offset
	v_add_nc_u32_e32 v17, 0x200, v3
	v_add_nc_u32_e32 v15, 0x180, v3
	;; [unrolled: 1-line block ×14, first 2 shown]
	s_clause 0xd
	global_load_b32 v25, v17, s[14:15] scale_offset
	global_load_b32 v26, v15, s[14:15] scale_offset
	;; [unrolled: 1-line block ×14, first 2 shown]
	v_subrev_nc_u32_e32 v39, s28, v2
	v_subrev_nc_u32_e32 v40, s28, v3
	v_add_nc_u32_e32 v6, -8, v6
	s_wait_xcnt 0xa
	v_subrev_nc_u32_e32 v11, s28, v11
	s_wait_xcnt 0x9
	v_subrev_nc_u32_e32 v12, s28, v12
	v_dual_lshlrev_b32 v39, 2, v39 :: v_dual_lshlrev_b32 v40, 2, v40
	s_wait_xcnt 0x8
	v_subrev_nc_u32_e32 v14, s28, v14
	v_subrev_nc_u32_e32 v13, s28, v13
	v_cmp_eq_u32_e32 vcc_lo, 0, v6
	s_wait_xcnt 0x7
	v_subrev_nc_u32_e32 v16, s28, v16
	v_add_nc_u32_e32 v3, 0x400, v3
	v_subrev_nc_u32_e32 v15, s28, v15
	v_subrev_nc_u32_e32 v17, s28, v17
	s_wait_xcnt 0x6
	v_subrev_nc_u32_e32 v18, s28, v18
	s_wait_xcnt 0x3
	;; [unrolled: 2-line block ×3, first 2 shown]
	v_subrev_nc_u32_e32 v20, s28, v20
	v_subrev_nc_u32_e32 v21, s28, v21
	s_wait_xcnt 0x1
	v_subrev_nc_u32_e32 v22, s28, v22
	v_subrev_nc_u32_e32 v23, s28, v23
	s_wait_xcnt 0x0
	v_subrev_nc_u32_e32 v24, s28, v24
	v_add_nc_u32_e32 v2, 0x400, v2
	v_dual_lshlrev_b32 v12, 2, v12 :: v_dual_lshlrev_b32 v14, 2, v14
	v_dual_lshlrev_b32 v11, 2, v11 :: v_dual_lshlrev_b32 v13, 2, v13
	v_lshlrev_b32_e32 v16, 2, v16
	s_or_b32 s23, vcc_lo, s23
	v_dual_lshlrev_b32 v15, 2, v15 :: v_dual_lshlrev_b32 v18, 2, v18
	v_dual_lshlrev_b32 v17, 2, v17 :: v_dual_lshlrev_b32 v20, 2, v20
	v_dual_lshlrev_b32 v19, 2, v19 :: v_dual_lshlrev_b32 v22, 2, v22
	v_dual_lshlrev_b32 v21, 2, v21 :: v_dual_lshlrev_b32 v24, 2, v24
	v_lshlrev_b32_e32 v23, 2, v23
	s_wait_loadcnt 0xf
	v_subrev_nc_u32_e32 v1, s3, v1
	s_wait_loadcnt 0xe
	v_subrev_nc_u32_e32 v7, s3, v7
	ds_store_b32 v39, v1 offset:2816
	ds_store_b32 v40, v7 offset:2816
	s_wait_loadcnt 0xa
	v_subrev_nc_u32_e32 v1, s3, v28
	s_wait_loadcnt 0x9
	v_subrev_nc_u32_e32 v7, s3, v29
	;; [unrolled: 2-line block ×3, first 2 shown]
	v_subrev_nc_u32_e32 v27, s3, v27
	s_wait_loadcnt 0x7
	v_subrev_nc_u32_e32 v29, s3, v31
	v_subrev_nc_u32_e32 v26, s3, v26
	;; [unrolled: 1-line block ×3, first 2 shown]
	s_wait_loadcnt 0x6
	v_subrev_nc_u32_e32 v30, s3, v32
	s_wait_loadcnt 0x3
	v_subrev_nc_u32_e32 v31, s3, v35
	;; [unrolled: 2-line block ×3, first 2 shown]
	v_subrev_nc_u32_e32 v34, s3, v34
	s_wait_loadcnt 0x1
	v_subrev_nc_u32_e32 v35, s3, v37
	v_subrev_nc_u32_e32 v33, s3, v33
	s_wait_loadcnt 0x0
	v_subrev_nc_u32_e32 v36, s3, v38
	ds_store_b32 v12, v7 offset:2816
	ds_store_b32 v11, v1 offset:2816
	ds_store_b32 v14, v28 offset:2816
	ds_store_b32 v13, v27 offset:2816
	ds_store_b32 v16, v29 offset:2816
	ds_store_b32 v15, v26 offset:2816
	ds_store_b32 v18, v30 offset:2816
	ds_store_b32 v17, v25 offset:2816
	ds_store_b32 v20, v32 offset:2816
	ds_store_b32 v19, v31 offset:2816
	ds_store_b32 v22, v35 offset:2816
	ds_store_b32 v21, v34 offset:2816
	ds_store_b32 v24, v36 offset:2816
	ds_store_b32 v23, v33 offset:2816
	s_and_not1_b32 exec_lo, exec_lo, s23
	s_cbranch_execnz .LBB32_5
; %bb.6:
	s_or_b32 exec_lo, exec_lo, s23
.LBB32_7:
	s_delay_alu instid0(SALU_CYCLE_1) | instskip(SKIP_3) | instid1(VALU_DEP_1)
	s_or_b32 exec_lo, exec_lo, s22
	v_and_b32_e32 v1, 7, v5
	s_mov_b32 s23, 0
	s_mov_b32 s22, exec_lo
	v_cmpx_ne_u32_e32 0, v1
	s_cbranch_execz .LBB32_9
.LBB32_8:                               ; =>This Inner Loop Header: Depth=1
	s_clause 0x1
	global_load_b32 v5, v2, s[14:15] scale_offset
	global_load_b32 v6, v3, s[14:15] scale_offset
	v_subrev_nc_u32_e32 v7, s28, v2
	v_add_nc_u32_e32 v1, -1, v1
	v_subrev_nc_u32_e32 v11, s28, v3
	s_wait_xcnt 0x0
	v_add_nc_u32_e32 v3, 0x80, v3
	v_add_nc_u32_e32 v2, 0x80, v2
	v_lshlrev_b32_e32 v7, 2, v7
	v_cmp_eq_u32_e32 vcc_lo, 0, v1
	v_lshlrev_b32_e32 v11, 2, v11
	s_or_b32 s23, vcc_lo, s23
	s_wait_loadcnt 0x1
	v_subrev_nc_u32_e32 v5, s3, v5
	s_wait_loadcnt 0x0
	v_subrev_nc_u32_e32 v6, s3, v6
	ds_store_b32 v7, v5 offset:2816
	ds_store_b32 v11, v6 offset:2816
	s_and_not1_b32 exec_lo, exec_lo, s23
	s_cbranch_execnz .LBB32_8
.LBB32_9:
	s_or_b32 exec_lo, exec_lo, s22
	v_add_nc_u32_e32 v1, 1, v4
	s_delay_alu instid0(VALU_DEP_1) | instskip(NEXT) | instid1(VALU_DEP_1)
	v_and_b32_e32 v2, 0x7fffffe, v1
	v_cmp_ne_u32_e32 vcc_lo, v1, v2
	v_lshl_add_u32 v0, v2, 6, v0
	s_or_not1_b32 s22, vcc_lo, exec_lo
.LBB32_10:
	s_or_b32 exec_lo, exec_lo, s21
	s_delay_alu instid0(SALU_CYCLE_1)
	s_and_b32 exec_lo, exec_lo, s22
	s_cbranch_execz .LBB32_13
; %bb.11:
	v_add_nc_u32_e32 v1, s3, v0
	s_delay_alu instid0(VALU_DEP_1) | instskip(SKIP_2) | instid1(VALU_DEP_2)
	v_subrev_nc_u32_e32 v2, s20, v1
	v_ashrrev_i32_e32 v1, 31, v0
	s_mov_b32 s20, 0
	v_lshl_add_u32 v4, v2, 2, 0xb00
	s_delay_alu instid0(VALU_DEP_2)
	v_lshl_add_u64 v[2:3], v[0:1], 2, s[14:15]
.LBB32_12:                              ; =>This Inner Loop Header: Depth=1
	global_load_b32 v1, v[2:3], off
	v_add_nc_u32_e32 v0, 64, v0
	s_wait_xcnt 0x0
	v_add_nc_u64_e32 v[2:3], 0x100, v[2:3]
	s_delay_alu instid0(VALU_DEP_2)
	v_cmp_lt_i32_e32 vcc_lo, s17, v0
	s_or_b32 s20, vcc_lo, s20
	s_wait_loadcnt 0x0
	v_subrev_nc_u32_e32 v1, s3, v1
	ds_store_b32 v4, v1
	v_add_nc_u32_e32 v4, 0x100, v4
	s_and_not1_b32 exec_lo, exec_lo, s20
	s_cbranch_execnz .LBB32_12
.LBB32_13:
	s_or_b32 exec_lo, exec_lo, s2
	s_clause 0x1
	s_load_b32 s30, s[0:1], 0x0
	s_load_b32 s29, s[0:1], 0x8
	s_wait_xcnt 0x0
	s_movk_i32 s0, 0x48
	v_mov_b64_e32 v[0:1], 0
	v_mad_u32_u24 v12, v9, s0, 0x6c0
	s_cmp_ge_i32 s28, s17
	s_delay_alu instid0(VALU_DEP_1)
	v_lshl_add_u32 v11, v8, 3, v12
	ds_store_b64 v11, v[0:1]
	s_wait_dscnt 0x0
	s_cbranch_scc1 .LBB32_66
; %bb.14:
	s_movk_i32 s20, 0x480
	s_movk_i32 s2, 0x240
	s_wait_kmcnt 0x0
	s_cmp_lg_u32 s30, 0
	v_mul_lo_u32 v17, s29, v8
	v_mul_lo_u32 v18, s29, v9
	v_cmp_gt_i32_e64 s0, s29, v8
	v_cmp_gt_i32_e64 s1, s29, v9
	v_mad_u32_u24 v13, 0x48, v9, s20
	v_dual_lshlrev_b32 v2, 3, v8 :: v_dual_bitop2_b32 v3, v8, v9 bitop3:0x54
	v_mad_u32_u24 v16, 0x48, v9, s2
	s_cselect_b32 s31, -1, 0
	s_cmp_eq_u32 s30, 0
	s_delay_alu instid0(VALU_DEP_2)
	v_add_nc_u32_e32 v14, v13, v2
	s_cselect_b32 vcc_lo, -1, 0
	s_and_b32 s33, s0, s1
	v_mad_u32_u24 v15, 0x48, v9, v2
	v_add_nc_u32_e32 v19, v16, v2
	v_cmp_ne_u32_e64 s2, 0, v3
	v_mad_u32_u24 v20, 0x48, v8, s20
	v_dual_cndmask_b32 v21, v9, v8 :: v_dual_cndmask_b32 v22, v8, v9
	v_mov_b32_e32 v23, 0
	s_cmp_gt_i32 s29, 0
	s_mul_i32 s35, s29, s29
	s_cselect_b32 s34, -1, 0
	s_mov_b32 s20, s28
	s_branch .LBB32_17
.LBB32_15:                              ;   in Loop: Header=BB32_17 Depth=1
	s_wait_xcnt 0x0
	s_or_b32 exec_lo, exec_lo, s21
	s_add_co_i32 s20, s20, 1
	global_wb scope:SCOPE_DEV
	s_wait_storecnt 0x0
	global_inv scope:SCOPE_DEV
	s_cmp_ge_i32 s20, s17
	s_cselect_b32 s26, -1, 0
.LBB32_16:                              ;   in Loop: Header=BB32_17 Depth=1
	s_delay_alu instid0(SALU_CYCLE_1)
	s_and_b32 vcc_lo, exec_lo, s26
	s_cbranch_vccnz .LBB32_66
.LBB32_17:                              ; =>This Loop Header: Depth=1
                                        ;     Child Loop BB32_22 Depth 2
                                        ;     Child Loop BB32_33 Depth 2
	;; [unrolled: 1-line block ×4, first 2 shown]
                                        ;       Child Loop BB32_63 Depth 3
	s_ashr_i32 s21, s20, 31
	s_delay_alu instid0(SALU_CYCLE_1) | instskip(NEXT) | instid1(SALU_CYCLE_1)
	s_lshl_b64 s[22:23], s[20:21], 2
	s_add_nc_u64 s[22:23], s[14:15], s[22:23]
	s_load_b32 s21, s[22:23], 0x0
	s_wait_kmcnt 0x0
	s_sub_co_i32 s24, s21, s3
	s_delay_alu instid0(SALU_CYCLE_1) | instskip(SKIP_2) | instid1(SALU_CYCLE_1)
	s_ashr_i32 s25, s24, 31
	s_wait_xcnt 0x0
	s_lshl_b64 s[22:23], s[24:25], 2
	s_add_nc_u64 s[26:27], s[4:5], s[22:23]
	s_load_b32 s25, s[26:27], 0x0
	s_wait_xcnt 0x0
	s_mov_b32 s26, -1
	s_wait_kmcnt 0x0
	s_cmp_eq_u32 s25, -1
	s_cbranch_scc1 .LBB32_16
; %bb.18:                               ;   in Loop: Header=BB32_17 Depth=1
	v_mad_u32 v2, s20, s29, v22
	s_delay_alu instid0(VALU_DEP_1)
	v_mad_u32 v24, v2, s29, v21
	v_mov_b64_e32 v[2:3], 0
	s_and_saveexec_b32 s26, s33
	s_cbranch_execz .LBB32_20
; %bb.19:                               ;   in Loop: Header=BB32_17 Depth=1
	global_load_b64 v[2:3], v24, s[18:19] scale_offset
.LBB32_20:                              ;   in Loop: Header=BB32_17 Depth=1
	s_wait_xcnt 0x0
	s_or_b32 exec_lo, exec_lo, s26
	s_add_nc_u64 s[26:27], s[12:13], s[22:23]
	ds_load_b32 v4, v23 offset:2816
	s_load_b32 s26, s[26:27], 0x0
	s_wait_loadcnt 0x0
	ds_store_b64 v14, v[2:3]
	s_wait_dscnt 0x1
	v_cmp_ge_i32_e32 vcc_lo, s24, v4
	s_wait_kmcnt 0x0
	s_sub_co_i32 s26, s26, s3
	s_delay_alu instid0(SALU_CYCLE_1) | instskip(SKIP_1) | instid1(SALU_CYCLE_1)
	s_cmp_le_i32 s26, s25
	s_cselect_b32 s27, -1, 0
	s_and_b32 s27, s27, vcc_lo
	s_delay_alu instid0(SALU_CYCLE_1)
	s_and_not1_b32 vcc_lo, exec_lo, s27
	s_mov_b32 s27, 0
	s_cbranch_vccnz .LBB32_32
; %bb.21:                               ;   in Loop: Header=BB32_17 Depth=1
	s_mov_b32 s36, 0
	s_mov_b32 s37, 0
.LBB32_22:                              ;   Parent Loop BB32_17 Depth=1
                                        ; =>  This Inner Loop Header: Depth=2
	s_ashr_i32 s27, s26, 31
	s_lshl_b32 s40, s37, 2
	s_lshl_b64 s[38:39], s[26:27], 2
	v_mov_b32_e32 v2, s40
	s_add_nc_u64 s[38:39], s[14:15], s[38:39]
	s_mov_b32 s41, -1
	s_load_b32 s27, s[38:39], 0x0
                                        ; implicit-def: $sgpr40
                                        ; implicit-def: $sgpr39
	ds_load_b32 v2, v2 offset:2816
	s_wait_kmcnt 0x0
	s_sub_co_i32 s42, s27, s3
                                        ; implicit-def: $sgpr27
	s_wait_dscnt 0x0
	v_readfirstlane_b32 s38, v2
	v_cmp_ge_i32_e32 vcc_lo, s42, v2
	s_cbranch_vccz .LBB32_28
; %bb.23:                               ;   in Loop: Header=BB32_22 Depth=2
	s_cmp_le_i32 s42, s38
                                        ; implicit-def: $sgpr27
                                        ; implicit-def: $sgpr40
                                        ; implicit-def: $sgpr39
	s_cbranch_scc0 .LBB32_25
; %bb.24:                               ;   in Loop: Header=BB32_22 Depth=2
	s_add_co_i32 s27, s37, s28
	s_lshl_b32 s39, s36, 2
	s_mul_i32 s27, s27, s35
	s_delay_alu instid0(SALU_CYCLE_1)
	v_dual_mov_b32 v2, s39 :: v_dual_mov_b32 v3, s27
	s_mul_i32 s39, s26, s35
	s_add_co_i32 s40, s26, 1
	v_mov_b32_e32 v4, s39
	s_add_co_i32 s39, s37, 1
	s_add_co_i32 s27, s36, 1
	s_mov_b32 s41, 0
	ds_store_2addr_stride64_b32 v2, v4, v3 offset0:9 offset1:10
.LBB32_25:                              ;   in Loop: Header=BB32_22 Depth=2
	s_and_not1_b32 vcc_lo, exec_lo, s41
	s_cbranch_vccnz .LBB32_27
; %bb.26:                               ;   in Loop: Header=BB32_22 Depth=2
	s_add_co_i32 s39, s37, 1
	s_mov_b32 s27, s36
	s_mov_b32 s40, s26
.LBB32_27:                              ;   in Loop: Header=BB32_22 Depth=2
	s_mov_b32 s41, 0
.LBB32_28:                              ;   in Loop: Header=BB32_22 Depth=2
	s_delay_alu instid0(SALU_CYCLE_1)
	s_and_not1_b32 vcc_lo, exec_lo, s41
	s_cbranch_vccnz .LBB32_30
; %bb.29:                               ;   in Loop: Header=BB32_22 Depth=2
	s_add_co_i32 s40, s26, 1
	s_mov_b32 s39, s37
	s_mov_b32 s27, s36
.LBB32_30:                              ;   in Loop: Header=BB32_22 Depth=2
	s_cmp_le_i32 s40, s25
	s_cselect_b32 s26, -1, 0
	s_cmp_le_i32 s38, s24
	s_cselect_b32 s36, -1, 0
	s_delay_alu instid0(SALU_CYCLE_1) | instskip(NEXT) | instid1(SALU_CYCLE_1)
	s_and_b32 s26, s26, s36
	s_and_b32 vcc_lo, exec_lo, s26
	s_cbranch_vccz .LBB32_32
; %bb.31:                               ;   in Loop: Header=BB32_22 Depth=2
	s_mov_b32 s36, s27
	s_mov_b32 s26, s40
	;; [unrolled: 1-line block ×3, first 2 shown]
	s_branch .LBB32_22
.LBB32_32:                              ;   in Loop: Header=BB32_17 Depth=1
	s_add_nc_u64 s[22:23], s[6:7], s[22:23]
	s_wait_dscnt 0x0
.LBB32_33:                              ;   Parent Loop BB32_17 Depth=1
                                        ; =>  This Inner Loop Header: Depth=2
	global_load_b32 v2, v23, s[22:23] scope:SCOPE_DEV
	s_wait_loadcnt 0x0
	v_cmp_eq_u32_e32 vcc_lo, 0, v2
	s_cbranch_vccnz .LBB32_33
; %bb.34:                               ;   in Loop: Header=BB32_17 Depth=1
	v_mov_b64_e32 v[4:5], 0
	v_mov_b64_e32 v[2:3], 0
	global_inv scope:SCOPE_DEV
	s_and_saveexec_b32 s22, s33
	s_cbranch_execz .LBB32_36
; %bb.35:                               ;   in Loop: Header=BB32_17 Depth=1
	v_mad_u32 v2, s25, s29, v22
	s_delay_alu instid0(VALU_DEP_1)
	v_mad_u32 v2, v2, s29, v21
	global_load_b64 v[2:3], v2, s[18:19] scale_offset
.LBB32_36:                              ;   in Loop: Header=BB32_17 Depth=1
	s_wait_xcnt 0x0
	s_or_b32 exec_lo, exec_lo, s22
	s_cmp_lt_i32 s27, 2
	s_wait_loadcnt 0x0
	ds_store_b64 v15, v[2:3]
	s_wait_dscnt 0x0
	s_cbranch_scc1 .LBB32_55
; %bb.37:                               ;   in Loop: Header=BB32_17 Depth=1
	v_mov_b64_e32 v[2:3], 0
	s_add_co_i32 s22, s27, -2
	s_mov_b32 s23, 0
	s_and_not1_b32 vcc_lo, exec_lo, s34
	s_cbranch_vccz .LBB32_40
	s_branch .LBB32_39
.LBB32_38:                              ;   in Loop: Header=BB32_17 Depth=1
	s_delay_alu instid0(VALU_DEP_1)
	v_mov_b64_e32 v[2:3], v[4:5]
	s_mov_b32 s23, s24
	s_and_not1_b32 vcc_lo, exec_lo, s34
	s_cbranch_vccz .LBB32_40
.LBB32_39:                              ;   in Loop: Header=BB32_17 Depth=1
	s_delay_alu instid0(VALU_DEP_1)
	v_mov_b64_e32 v[4:5], v[2:3]
	s_branch .LBB32_54
.LBB32_40:                              ;   in Loop: Header=BB32_17 Depth=1
	s_lshl_b32 s24, s23, 2
	s_delay_alu instid0(SALU_CYCLE_1)
	v_mov_b32_e32 v4, s24
	s_mov_b32 s24, 0
	ds_load_2addr_stride64_b32 v[4:5], v4 offset0:9 offset1:10
	s_wait_dscnt 0x0
	v_dual_add_nc_u32 v25, v4, v17 :: v_dual_add_nc_u32 v26, v5, v18
	v_dual_add_nc_u32 v27, v9, v5 :: v_dual_add_nc_u32 v28, v8, v4
	s_and_b32 vcc_lo, exec_lo, s31
	s_mov_b32 s25, -1
                                        ; implicit-def: $vgpr4_vgpr5
	s_cbranch_vccz .LBB32_47
	s_branch .LBB32_42
.LBB32_41:                              ;   in Loop: Header=BB32_47 Depth=2
	s_delay_alu instid0(VALU_DEP_2)
	v_mov_b64_e32 v[2:3], v[4:5]
	s_and_b32 vcc_lo, exec_lo, s31
	s_mov_b32 s25, -1
                                        ; implicit-def: $vgpr4_vgpr5
	s_cbranch_vccz .LBB32_47
.LBB32_42:                              ;   in Loop: Header=BB32_17 Depth=1
	v_mov_b64_e32 v[4:5], 0
	v_mov_b64_e32 v[6:7], 0
	s_and_saveexec_b32 s25, s0
	s_cbranch_execz .LBB32_44
; %bb.43:                               ;   in Loop: Header=BB32_17 Depth=1
	global_load_b64 v[6:7], v28, s[18:19] scale_offset
.LBB32_44:                              ;   in Loop: Header=BB32_17 Depth=1
	s_wait_xcnt 0x0
	s_or_b32 exec_lo, exec_lo, s25
	s_and_saveexec_b32 s25, s1
	s_cbranch_execz .LBB32_46
; %bb.45:                               ;   in Loop: Header=BB32_17 Depth=1
	global_load_b64 v[4:5], v27, s[18:19] scale_offset
.LBB32_46:                              ;   in Loop: Header=BB32_17 Depth=1
	s_wait_xcnt 0x0
	s_or_b32 exec_lo, exec_lo, s25
	s_wait_loadcnt 0x0
	v_fma_f64 v[4:5], v[6:7], v[4:5], v[2:3]
	s_mov_b32 s25, 0
.LBB32_47:                              ;   Parent Loop BB32_17 Depth=1
                                        ; =>  This Inner Loop Header: Depth=2
	s_delay_alu instid0(SALU_CYCLE_1)
	s_and_b32 vcc_lo, exec_lo, s25
	s_cbranch_vccz .LBB32_53
; %bb.48:                               ;   in Loop: Header=BB32_47 Depth=2
	v_mov_b64_e32 v[4:5], 0
	v_mov_b64_e32 v[6:7], 0
	s_and_saveexec_b32 s25, s0
	s_cbranch_execz .LBB32_50
; %bb.49:                               ;   in Loop: Header=BB32_47 Depth=2
	v_add_nc_u32_e32 v6, s24, v25
	global_load_b64 v[6:7], v6, s[18:19] scale_offset
.LBB32_50:                              ;   in Loop: Header=BB32_47 Depth=2
	s_wait_xcnt 0x0
	s_or_b32 exec_lo, exec_lo, s25
	s_and_saveexec_b32 s25, s1
	s_cbranch_execz .LBB32_52
; %bb.51:                               ;   in Loop: Header=BB32_47 Depth=2
	v_add_nc_u32_e32 v4, s24, v26
	global_load_b64 v[4:5], v4, s[18:19] scale_offset
.LBB32_52:                              ;   in Loop: Header=BB32_47 Depth=2
	s_wait_xcnt 0x0
	s_or_b32 exec_lo, exec_lo, s25
	s_wait_loadcnt 0x0
	v_fmac_f64_e32 v[2:3], v[6:7], v[4:5]
	s_delay_alu instid0(VALU_DEP_1)
	v_mov_b64_e32 v[4:5], v[2:3]
.LBB32_53:                              ;   in Loop: Header=BB32_47 Depth=2
	v_dual_add_nc_u32 v27, s29, v27 :: v_dual_add_nc_u32 v28, s29, v28
	s_add_co_i32 s24, s24, 1
	s_delay_alu instid0(SALU_CYCLE_1)
	s_cmp_eq_u32 s29, s24
	s_cbranch_scc0 .LBB32_41
.LBB32_54:                              ;   in Loop: Header=BB32_17 Depth=1
	s_add_co_i32 s24, s23, 1
	s_cmp_eq_u32 s23, s22
	s_cbranch_scc0 .LBB32_38
.LBB32_55:                              ;   in Loop: Header=BB32_17 Depth=1
	s_and_not1_b32 vcc_lo, exec_lo, s34
	ds_store_b64 v19, v[4:5]
	s_wait_dscnt 0x0
	s_cbranch_vccnz .LBB32_64
; %bb.56:                               ;   in Loop: Header=BB32_17 Depth=1
	s_mov_b32 s22, 0
	s_mov_b32 s23, 0
	s_branch .LBB32_58
.LBB32_57:                              ;   in Loop: Header=BB32_58 Depth=2
	s_wait_dscnt 0x0
	s_delay_alu instid0(VALU_DEP_1) | instskip(SKIP_1) | instid1(VALU_DEP_1)
	v_add_f64_e64 v[2:3], v[2:3], -v[6:7]
	s_addk_co_i32 s22, 0x48
	v_div_scale_f64 v[6:7], null, v[4:5], v[4:5], v[2:3]
	v_div_scale_f64 v[30:31], vcc_lo, v[2:3], v[4:5], v[2:3]
	s_delay_alu instid0(VALU_DEP_2) | instskip(SKIP_1) | instid1(TRANS32_DEP_1)
	v_rcp_f64_e32 v[26:27], v[6:7]
	v_nop
	v_fma_f64 v[28:29], -v[6:7], v[26:27], 1.0
	s_delay_alu instid0(VALU_DEP_1) | instskip(NEXT) | instid1(VALU_DEP_1)
	v_fmac_f64_e32 v[26:27], v[26:27], v[28:29]
	v_fma_f64 v[28:29], -v[6:7], v[26:27], 1.0
	s_delay_alu instid0(VALU_DEP_1) | instskip(NEXT) | instid1(VALU_DEP_1)
	v_fmac_f64_e32 v[26:27], v[26:27], v[28:29]
	v_mul_f64_e32 v[28:29], v[30:31], v[26:27]
	s_delay_alu instid0(VALU_DEP_1) | instskip(NEXT) | instid1(VALU_DEP_1)
	v_fma_f64 v[6:7], -v[6:7], v[28:29], v[30:31]
	v_div_fmas_f64 v[6:7], v[6:7], v[26:27], v[28:29]
	s_delay_alu instid0(VALU_DEP_1) | instskip(SKIP_2) | instid1(SALU_CYCLE_1)
	v_div_fixup_f64 v[2:3], v[6:7], v[4:5], v[2:3]
	v_lshl_add_u32 v4, s23, 3, v20
	s_add_co_i32 s23, s23, 1
	s_cmp_eq_u32 s23, s29
	ds_store_b64 v25, v[2:3]
	s_wait_storecnt_dscnt 0x0
	ds_load_b64 v[4:5], v4
	ds_load_b64 v[6:7], v11
	s_wait_dscnt 0x0
	v_fmac_f64_e32 v[6:7], v[2:3], v[4:5]
	ds_store_b64 v11, v[6:7]
	s_wait_dscnt 0x0
	s_cbranch_scc1 .LBB32_64
.LBB32_58:                              ;   Parent Loop BB32_17 Depth=1
                                        ; =>  This Loop Header: Depth=2
                                        ;       Child Loop BB32_63 Depth 3
	s_lshl_b32 s24, s23, 3
	s_mul_i32 s25, s23, 0x48
	v_add_nc_u32_e32 v25, s24, v13
	s_add_co_i32 s25, s25, s24
	s_delay_alu instid0(SALU_CYCLE_1)
	v_mov_b32_e32 v2, s25
	ds_load_b64 v[4:5], v2
	ds_load_b64 v[2:3], v25
	s_wait_dscnt 0x1
	v_cmp_neq_f64_e32 vcc_lo, 0, v[4:5]
	v_cndmask_b32_e32 v5, 0x3ff00000, v5, vcc_lo
	v_cndmask_b32_e32 v4, 0, v4, vcc_lo
	s_nor_b32 s25, vcc_lo, s2
	s_delay_alu instid0(SALU_CYCLE_1)
	s_and_saveexec_b32 s24, s25
	s_cbranch_execz .LBB32_62
; %bb.59:                               ;   in Loop: Header=BB32_58 Depth=2
	v_mbcnt_lo_u32_b32 v4, exec_lo, 0
	s_mov_b32 s25, exec_lo
	s_delay_alu instid0(VALU_DEP_1)
	v_cmpx_eq_u32_e32 0, v4
	s_cbranch_execz .LBB32_61
; %bb.60:                               ;   in Loop: Header=BB32_58 Depth=2
	v_mov_b32_e32 v4, s21
	global_atomic_min_i32 v23, v4, s[10:11] scope:SCOPE_DEV
.LBB32_61:                              ;   in Loop: Header=BB32_58 Depth=2
	s_wait_xcnt 0x0
	s_or_b32 exec_lo, exec_lo, s25
	v_mov_b64_e32 v[4:5], 1.0
.LBB32_62:                              ;   in Loop: Header=BB32_58 Depth=2
	s_or_b32 exec_lo, exec_lo, s24
	v_lshl_add_u32 v6, s23, 3, v16
	v_mov_b32_e32 v26, v13
	s_cmp_eq_u32 s23, 0
	s_mov_b32 s24, s22
	s_mov_b32 s25, s23
	ds_load_b64 v[6:7], v6
	s_cbranch_scc1 .LBB32_57
.LBB32_63:                              ;   Parent Loop BB32_17 Depth=1
                                        ;     Parent Loop BB32_58 Depth=2
                                        ; =>    This Inner Loop Header: Depth=3
	v_mov_b32_e32 v27, s24
	s_add_co_i32 s25, s25, -1
	s_add_co_i32 s24, s24, 8
	s_cmp_eq_u32 s25, 0
	ds_load_b64 v[28:29], v26
	ds_load_b64 v[30:31], v27
	v_add_nc_u32_e32 v26, 8, v26
	s_wait_dscnt 0x0
	v_fmac_f64_e32 v[6:7], v[30:31], v[28:29]
	s_cbranch_scc0 .LBB32_63
	s_branch .LBB32_57
.LBB32_64:                              ;   in Loop: Header=BB32_17 Depth=1
	s_and_saveexec_b32 s21, s33
	s_cbranch_execz .LBB32_15
; %bb.65:                               ;   in Loop: Header=BB32_17 Depth=1
	ds_load_b64 v[2:3], v14
	s_wait_dscnt 0x0
	global_store_b64 v24, v[2:3], s[18:19] scale_offset
	s_branch .LBB32_15
.LBB32_66:
	s_wait_kmcnt 0x0
	s_cmp_eq_u32 s30, 0
	v_max_i32_e32 v4, v8, v9
	s_cselect_b32 vcc_lo, -1, 0
	v_dual_cndmask_b32 v2, v9, v8 :: v_dual_cndmask_b32 v3, v8, v9
	s_delay_alu instid0(VALU_DEP_2) | instskip(NEXT) | instid1(VALU_DEP_2)
	v_cmp_gt_i32_e64 s0, s29, v4
	v_mad_u32 v3, s17, s29, v3
	s_and_saveexec_b32 s1, s0
	s_cbranch_execz .LBB32_68
; %bb.67:
	s_delay_alu instid0(VALU_DEP_1)
	v_mad_u32 v0, v3, s29, v2
	global_load_b64 v[0:1], v0, s[18:19] scale_offset
.LBB32_68:
	s_wait_xcnt 0x0
	s_or_b32 exec_lo, exec_lo, s1
	s_movk_i32 s1, 0x48
	s_movk_i32 s2, 0x480
	v_mad_u32_u24 v5, v9, s1, 0x480
	s_cmp_lt_i32 s29, 1
	s_delay_alu instid0(VALU_DEP_1)
	v_lshl_add_u32 v4, v8, 3, v5
	s_wait_loadcnt 0x0
	ds_store_b64 v4, v[0:1]
	s_wait_dscnt 0x0
	s_cbranch_scc1 .LBB32_79
; %bb.69:
	v_dual_add_nc_u32 v6, v5, v10 :: v_dual_bitop2_b32 v0, v8, v9 bitop3:0x54
	v_dual_mov_b32 v12, 0 :: v_dual_add_nc_u32 v7, v12, v10
	v_mad_u32_u24 v10, v8, s1, 0x480
	s_delay_alu instid0(VALU_DEP_3)
	v_cmp_ne_u32_e64 s1, 0, v0
	s_mov_b32 s4, 0
	s_add_co_i32 s5, s16, s3
	s_branch .LBB32_71
.LBB32_70:                              ;   in Loop: Header=BB32_71 Depth=1
	s_or_b32 exec_lo, exec_lo, s12
	v_dual_add_nc_u32 v5, 8, v5 :: v_dual_add_nc_u32 v10, 8, v10
	s_add_co_i32 s4, s4, 1
	s_addk_co_i32 s2, 0x50
	s_cmp_eq_u32 s29, s4
	s_wait_storecnt_dscnt 0x0
	s_cbranch_scc1 .LBB32_79
.LBB32_71:                              ; =>This Inner Loop Header: Depth=1
	s_mov_b32 s12, exec_lo
	v_cmpx_eq_u32_e64 s4, v9
	s_cbranch_execz .LBB32_73
; %bb.72:                               ;   in Loop: Header=BB32_71 Depth=1
	ds_load_b64 v[0:1], v6
	ds_load_b64 v[14:15], v7
	s_wait_dscnt 0x0
	v_add_f64_e64 v[0:1], v[0:1], -v[14:15]
	s_delay_alu instid0(VALU_DEP_1) | instskip(SKIP_1) | instid1(VALU_DEP_1)
	v_cmp_gt_f64_e32 vcc_lo, 0, v[0:1]
	v_xor_b32_e32 v13, 0x80000000, v1
	v_cndmask_b32_e32 v1, v1, v13, vcc_lo
	s_delay_alu instid0(VALU_DEP_1) | instskip(SKIP_1) | instid1(VALU_DEP_1)
	v_cmp_gt_f64_e32 vcc_lo, 0x10000000, v[0:1]
	v_cndmask_b32_e64 v13, 0, 0x100, vcc_lo
	v_ldexp_f64 v[0:1], v[0:1], v13
	v_cndmask_b32_e64 v13, 0, 0xffffff80, vcc_lo
	s_delay_alu instid0(VALU_DEP_2) | instskip(SKIP_1) | instid1(TRANS32_DEP_1)
	v_rsq_f64_e32 v[14:15], v[0:1]
	v_cmp_class_f64_e64 vcc_lo, v[0:1], 0x260
	v_mul_f64_e32 v[16:17], v[0:1], v[14:15]
	v_mul_f64_e32 v[14:15], 0.5, v[14:15]
	s_delay_alu instid0(VALU_DEP_1) | instskip(NEXT) | instid1(VALU_DEP_1)
	v_fma_f64 v[18:19], -v[14:15], v[16:17], 0.5
	v_fmac_f64_e32 v[16:17], v[16:17], v[18:19]
	v_fmac_f64_e32 v[14:15], v[14:15], v[18:19]
	s_delay_alu instid0(VALU_DEP_2) | instskip(NEXT) | instid1(VALU_DEP_1)
	v_fma_f64 v[18:19], -v[16:17], v[16:17], v[0:1]
	v_fmac_f64_e32 v[16:17], v[18:19], v[14:15]
	s_delay_alu instid0(VALU_DEP_1) | instskip(NEXT) | instid1(VALU_DEP_1)
	v_fma_f64 v[18:19], -v[16:17], v[16:17], v[0:1]
	v_fmac_f64_e32 v[16:17], v[18:19], v[14:15]
	s_delay_alu instid0(VALU_DEP_1) | instskip(NEXT) | instid1(VALU_DEP_1)
	v_ldexp_f64 v[14:15], v[16:17], v13
	v_dual_cndmask_b32 v1, v15, v1 :: v_dual_cndmask_b32 v0, v14, v0
	ds_store_b64 v6, v[0:1]
.LBB32_73:                              ;   in Loop: Header=BB32_71 Depth=1
	s_or_b32 exec_lo, exec_lo, s12
	v_mov_b32_e32 v0, s2
	s_wait_dscnt 0x0
	ds_load_b64 v[0:1], v0
	s_wait_dscnt 0x0
	v_cmp_neq_f64_e32 vcc_lo, 0, v[0:1]
	v_cndmask_b32_e32 v1, 0x3ff00000, v1, vcc_lo
	v_cndmask_b32_e32 v0, 0, v0, vcc_lo
	s_nor_b32 s13, vcc_lo, s1
	s_delay_alu instid0(SALU_CYCLE_1)
	s_and_saveexec_b32 s12, s13
	s_cbranch_execz .LBB32_77
; %bb.74:                               ;   in Loop: Header=BB32_71 Depth=1
	v_mbcnt_lo_u32_b32 v0, exec_lo, 0
	s_mov_b32 s13, exec_lo
	s_delay_alu instid0(VALU_DEP_1)
	v_cmpx_eq_u32_e32 0, v0
	s_cbranch_execz .LBB32_76
; %bb.75:                               ;   in Loop: Header=BB32_71 Depth=1
	v_mov_b32_e32 v0, s5
	global_atomic_min_i32 v12, v0, s[10:11] scope:SCOPE_DEV
.LBB32_76:                              ;   in Loop: Header=BB32_71 Depth=1
	s_wait_xcnt 0x0
	s_or_b32 exec_lo, exec_lo, s13
	v_mov_b64_e32 v[0:1], 1.0
.LBB32_77:                              ;   in Loop: Header=BB32_71 Depth=1
	s_or_b32 exec_lo, exec_lo, s12
	s_delay_alu instid0(SALU_CYCLE_1)
	s_mov_b32 s12, exec_lo
	v_cmpx_lt_u32_e64 s4, v9
	s_cbranch_execz .LBB32_70
; %bb.78:                               ;   in Loop: Header=BB32_71 Depth=1
	ds_load_2addr_b64 v[14:17], v5 offset1:72
	s_wait_dscnt 0x0
	v_add_f64_e64 v[14:15], v[14:15], -v[16:17]
	s_delay_alu instid0(VALU_DEP_1) | instskip(SKIP_1) | instid1(VALU_DEP_2)
	v_div_scale_f64 v[16:17], null, v[0:1], v[0:1], v[14:15]
	v_div_scale_f64 v[22:23], vcc_lo, v[14:15], v[0:1], v[14:15]
	v_rcp_f64_e32 v[18:19], v[16:17]
	v_nop
	s_delay_alu instid0(TRANS32_DEP_1) | instskip(NEXT) | instid1(VALU_DEP_1)
	v_fma_f64 v[20:21], -v[16:17], v[18:19], 1.0
	v_fmac_f64_e32 v[18:19], v[18:19], v[20:21]
	s_delay_alu instid0(VALU_DEP_1) | instskip(NEXT) | instid1(VALU_DEP_1)
	v_fma_f64 v[20:21], -v[16:17], v[18:19], 1.0
	v_fmac_f64_e32 v[18:19], v[18:19], v[20:21]
	s_delay_alu instid0(VALU_DEP_1) | instskip(NEXT) | instid1(VALU_DEP_1)
	v_mul_f64_e32 v[20:21], v[22:23], v[18:19]
	v_fma_f64 v[16:17], -v[16:17], v[20:21], v[22:23]
	s_delay_alu instid0(VALU_DEP_1) | instskip(NEXT) | instid1(VALU_DEP_1)
	v_div_fmas_f64 v[16:17], v[16:17], v[18:19], v[20:21]
	v_div_fixup_f64 v[0:1], v[16:17], v[0:1], v[14:15]
	ds_store_b64 v5, v[0:1]
	s_wait_storecnt_dscnt 0x0
	ds_load_b64 v[14:15], v10
	ds_load_b64 v[16:17], v11
	s_wait_dscnt 0x0
	v_fmac_f64_e32 v[16:17], v[0:1], v[14:15]
	ds_store_b64 v11, v[16:17]
	s_branch .LBB32_70
.LBB32_79:
	s_and_saveexec_b32 s1, s0
	s_cbranch_execz .LBB32_81
; %bb.80:
	ds_load_b64 v[0:1], v4
	v_mad_u32 v2, v3, s29, v2
	s_wait_dscnt 0x0
	global_store_b64 v2, v[0:1], s[18:19] scale_offset
.LBB32_81:
	s_wait_xcnt 0x0
	s_or_b32 exec_lo, exec_lo, s1
	v_or_b32_e32 v0, v8, v9
	s_mov_b32 s0, 0
	s_mov_b32 s1, exec_lo
	s_delay_alu instid0(VALU_DEP_1)
	v_cmpx_eq_u32_e32 0, v0
	s_cbranch_execz .LBB32_83
; %bb.82:
	v_dual_mov_b32 v0, 0 :: v_dual_mov_b32 v1, 1
	s_add_nc_u64 s[4:5], s[6:7], s[8:9]
	global_wb scope:SCOPE_DEV
	s_wait_storecnt 0x0
	global_store_b32 v0, v1, s[4:5] scope:SCOPE_DEV
.LBB32_83:
	s_wait_xcnt 0x0
	s_or_b32 exec_lo, exec_lo, s1
	s_delay_alu instid0(SALU_CYCLE_1)
	s_and_b32 vcc_lo, exec_lo, s0
	s_cbranch_vccnz .LBB32_86
.LBB32_84:
	s_endpgm
.LBB32_85:
	s_cbranch_execz .LBB32_84
.LBB32_86:
	v_or_b32_e32 v0, v8, v9
	s_mov_b32 s0, exec_lo
	s_delay_alu instid0(VALU_DEP_1)
	v_cmpx_eq_u32_e32 0, v0
	s_cbranch_execz .LBB32_84
; %bb.87:
	v_mbcnt_lo_u32_b32 v0, exec_lo, 0
	s_mov_b32 s0, exec_lo
	s_delay_alu instid0(VALU_DEP_1)
	v_cmpx_eq_u32_e32 0, v0
	s_cbranch_execz .LBB32_89
; %bb.88:
	s_add_co_i32 s1, s16, s3
	s_delay_alu instid0(SALU_CYCLE_1)
	v_dual_mov_b32 v0, 0 :: v_dual_mov_b32 v1, s1
	global_atomic_min_i32 v0, v1, s[10:11] scope:SCOPE_DEV
.LBB32_89:
	s_wait_xcnt 0x0
	s_or_b32 exec_lo, exec_lo, s0
	v_dual_mov_b32 v0, 0 :: v_dual_mov_b32 v1, 1
	s_add_nc_u64 s[0:1], s[6:7], s[8:9]
	global_wb scope:SCOPE_DEV
	s_wait_storecnt 0x0
	global_store_b32 v0, v1, s[0:1] scope:SCOPE_DEV
	s_endpgm
	.section	.rodata,"a",@progbits
	.p2align	6, 0x0
	.amdhsa_kernel _ZN9rocsparseL17bsric0_2_8_kernelILi64ELi64ELi8EdEEv20rocsparse_direction_iiPKiS3_PT2_S3_PiS3_S6_21rocsparse_index_base_
		.amdhsa_group_segment_fixed_size 3072
		.amdhsa_private_segment_fixed_size 0
		.amdhsa_kernarg_size 76
		.amdhsa_user_sgpr_count 2
		.amdhsa_user_sgpr_dispatch_ptr 0
		.amdhsa_user_sgpr_queue_ptr 0
		.amdhsa_user_sgpr_kernarg_segment_ptr 1
		.amdhsa_user_sgpr_dispatch_id 0
		.amdhsa_user_sgpr_kernarg_preload_length 0
		.amdhsa_user_sgpr_kernarg_preload_offset 0
		.amdhsa_user_sgpr_private_segment_size 0
		.amdhsa_wavefront_size32 1
		.amdhsa_uses_dynamic_stack 0
		.amdhsa_enable_private_segment 0
		.amdhsa_system_sgpr_workgroup_id_x 1
		.amdhsa_system_sgpr_workgroup_id_y 0
		.amdhsa_system_sgpr_workgroup_id_z 0
		.amdhsa_system_sgpr_workgroup_info 0
		.amdhsa_system_vgpr_workitem_id 1
		.amdhsa_next_free_vgpr 41
		.amdhsa_next_free_sgpr 43
		.amdhsa_named_barrier_count 0
		.amdhsa_reserve_vcc 1
		.amdhsa_float_round_mode_32 0
		.amdhsa_float_round_mode_16_64 0
		.amdhsa_float_denorm_mode_32 3
		.amdhsa_float_denorm_mode_16_64 3
		.amdhsa_fp16_overflow 0
		.amdhsa_memory_ordered 1
		.amdhsa_forward_progress 1
		.amdhsa_inst_pref_size 33
		.amdhsa_round_robin_scheduling 0
		.amdhsa_exception_fp_ieee_invalid_op 0
		.amdhsa_exception_fp_denorm_src 0
		.amdhsa_exception_fp_ieee_div_zero 0
		.amdhsa_exception_fp_ieee_overflow 0
		.amdhsa_exception_fp_ieee_underflow 0
		.amdhsa_exception_fp_ieee_inexact 0
		.amdhsa_exception_int_div_zero 0
	.end_amdhsa_kernel
	.section	.text._ZN9rocsparseL17bsric0_2_8_kernelILi64ELi64ELi8EdEEv20rocsparse_direction_iiPKiS3_PT2_S3_PiS3_S6_21rocsparse_index_base_,"axG",@progbits,_ZN9rocsparseL17bsric0_2_8_kernelILi64ELi64ELi8EdEEv20rocsparse_direction_iiPKiS3_PT2_S3_PiS3_S6_21rocsparse_index_base_,comdat
.Lfunc_end32:
	.size	_ZN9rocsparseL17bsric0_2_8_kernelILi64ELi64ELi8EdEEv20rocsparse_direction_iiPKiS3_PT2_S3_PiS3_S6_21rocsparse_index_base_, .Lfunc_end32-_ZN9rocsparseL17bsric0_2_8_kernelILi64ELi64ELi8EdEEv20rocsparse_direction_iiPKiS3_PT2_S3_PiS3_S6_21rocsparse_index_base_
                                        ; -- End function
	.set _ZN9rocsparseL17bsric0_2_8_kernelILi64ELi64ELi8EdEEv20rocsparse_direction_iiPKiS3_PT2_S3_PiS3_S6_21rocsparse_index_base_.num_vgpr, 41
	.set _ZN9rocsparseL17bsric0_2_8_kernelILi64ELi64ELi8EdEEv20rocsparse_direction_iiPKiS3_PT2_S3_PiS3_S6_21rocsparse_index_base_.num_agpr, 0
	.set _ZN9rocsparseL17bsric0_2_8_kernelILi64ELi64ELi8EdEEv20rocsparse_direction_iiPKiS3_PT2_S3_PiS3_S6_21rocsparse_index_base_.numbered_sgpr, 43
	.set _ZN9rocsparseL17bsric0_2_8_kernelILi64ELi64ELi8EdEEv20rocsparse_direction_iiPKiS3_PT2_S3_PiS3_S6_21rocsparse_index_base_.num_named_barrier, 0
	.set _ZN9rocsparseL17bsric0_2_8_kernelILi64ELi64ELi8EdEEv20rocsparse_direction_iiPKiS3_PT2_S3_PiS3_S6_21rocsparse_index_base_.private_seg_size, 0
	.set _ZN9rocsparseL17bsric0_2_8_kernelILi64ELi64ELi8EdEEv20rocsparse_direction_iiPKiS3_PT2_S3_PiS3_S6_21rocsparse_index_base_.uses_vcc, 1
	.set _ZN9rocsparseL17bsric0_2_8_kernelILi64ELi64ELi8EdEEv20rocsparse_direction_iiPKiS3_PT2_S3_PiS3_S6_21rocsparse_index_base_.uses_flat_scratch, 0
	.set _ZN9rocsparseL17bsric0_2_8_kernelILi64ELi64ELi8EdEEv20rocsparse_direction_iiPKiS3_PT2_S3_PiS3_S6_21rocsparse_index_base_.has_dyn_sized_stack, 0
	.set _ZN9rocsparseL17bsric0_2_8_kernelILi64ELi64ELi8EdEEv20rocsparse_direction_iiPKiS3_PT2_S3_PiS3_S6_21rocsparse_index_base_.has_recursion, 0
	.set _ZN9rocsparseL17bsric0_2_8_kernelILi64ELi64ELi8EdEEv20rocsparse_direction_iiPKiS3_PT2_S3_PiS3_S6_21rocsparse_index_base_.has_indirect_call, 0
	.section	.AMDGPU.csdata,"",@progbits
; Kernel info:
; codeLenInByte = 4152
; TotalNumSgprs: 45
; NumVgprs: 41
; ScratchSize: 0
; MemoryBound: 0
; FloatMode: 240
; IeeeMode: 1
; LDSByteSize: 3072 bytes/workgroup (compile time only)
; SGPRBlocks: 0
; VGPRBlocks: 2
; NumSGPRsForWavesPerEU: 45
; NumVGPRsForWavesPerEU: 41
; NamedBarCnt: 0
; Occupancy: 16
; WaveLimiterHint : 1
; COMPUTE_PGM_RSRC2:SCRATCH_EN: 0
; COMPUTE_PGM_RSRC2:USER_SGPR: 2
; COMPUTE_PGM_RSRC2:TRAP_HANDLER: 0
; COMPUTE_PGM_RSRC2:TGID_X_EN: 1
; COMPUTE_PGM_RSRC2:TGID_Y_EN: 0
; COMPUTE_PGM_RSRC2:TGID_Z_EN: 0
; COMPUTE_PGM_RSRC2:TIDIG_COMP_CNT: 1
	.section	.text._ZN9rocsparseL18bsric0_9_16_kernelILi64ELi64ELi16EdEEv20rocsparse_direction_iiPKiS3_PT2_S3_PiS3_S6_21rocsparse_index_base_,"axG",@progbits,_ZN9rocsparseL18bsric0_9_16_kernelILi64ELi64ELi16EdEEv20rocsparse_direction_iiPKiS3_PT2_S3_PiS3_S6_21rocsparse_index_base_,comdat
	.globl	_ZN9rocsparseL18bsric0_9_16_kernelILi64ELi64ELi16EdEEv20rocsparse_direction_iiPKiS3_PT2_S3_PiS3_S6_21rocsparse_index_base_ ; -- Begin function _ZN9rocsparseL18bsric0_9_16_kernelILi64ELi64ELi16EdEEv20rocsparse_direction_iiPKiS3_PT2_S3_PiS3_S6_21rocsparse_index_base_
	.p2align	8
	.type	_ZN9rocsparseL18bsric0_9_16_kernelILi64ELi64ELi16EdEEv20rocsparse_direction_iiPKiS3_PT2_S3_PiS3_S6_21rocsparse_index_base_,@function
_ZN9rocsparseL18bsric0_9_16_kernelILi64ELi64ELi16EdEEv20rocsparse_direction_iiPKiS3_PT2_S3_PiS3_S6_21rocsparse_index_base_: ; @_ZN9rocsparseL18bsric0_9_16_kernelILi64ELi64ELi16EdEEv20rocsparse_direction_iiPKiS3_PT2_S3_PiS3_S6_21rocsparse_index_base_
; %bb.0:
	s_load_b256 s[4:11], s[0:1], 0x28
	s_bfe_u32 s2, ttmp6, 0x4000c
	s_and_b32 s3, ttmp6, 15
	s_add_co_i32 s2, s2, 1
	s_getreg_b32 s12, hwreg(HW_REG_IB_STS2, 6, 4)
	s_mul_i32 s2, ttmp9, s2
	v_and_b32_e32 v8, 0x3ff, v0
	s_add_co_i32 s3, s3, s2
	s_cmp_eq_u32 s12, 0
	v_bfe_u32 v9, v0, 10, 10
	s_cselect_b32 s2, ttmp9, s3
	s_wait_kmcnt 0x0
	s_load_b32 s16, s[8:9], s2 offset:0x0 scale_offset
	s_wait_kmcnt 0x0
	s_ashr_i32 s17, s16, 31
	s_delay_alu instid0(SALU_CYCLE_1) | instskip(NEXT) | instid1(SALU_CYCLE_1)
	s_lshl_b64 s[8:9], s[16:17], 2
	s_add_nc_u64 s[12:13], s[4:5], s[8:9]
	s_load_b32 s17, s[12:13], 0x0
	s_load_b32 s3, s[0:1], 0x48
	s_wait_kmcnt 0x0
	s_cmp_lg_u32 s17, -1
	s_cbranch_scc0 .LBB33_128
; %bb.1:
	s_clause 0x1
	s_load_b128 s[12:15], s[0:1], 0x10
	s_load_b64 s[18:19], s[0:1], 0x20
	v_lshlrev_b32_e32 v0, 2, v9
	s_wait_kmcnt 0x0
	s_add_nc_u64 s[20:21], s[12:13], s[8:9]
	s_load_b32 s2, s[20:21], 0x0
	s_wait_kmcnt 0x0
	s_sub_co_i32 s30, s2, s3
	s_mov_b32 s2, exec_lo
	v_add3_u32 v0, v0, v8, s30
	s_delay_alu instid0(VALU_DEP_1)
	v_cmpx_ge_i32_e64 s17, v0
	s_cbranch_execz .LBB33_4
; %bb.2:
	v_dual_lshlrev_b32 v1, 4, v9 :: v_dual_lshlrev_b32 v2, 2, v8
	s_mov_b32 s20, 0
	s_delay_alu instid0(VALU_DEP_1)
	v_add3_u32 v1, v1, v2, 0x2400
.LBB33_3:                               ; =>This Inner Loop Header: Depth=1
	global_load_b32 v2, v0, s[14:15] scale_offset
	s_wait_xcnt 0x0
	v_add_nc_u32_e32 v0, 64, v0
	s_delay_alu instid0(VALU_DEP_1)
	v_cmp_lt_i32_e32 vcc_lo, s17, v0
	s_or_b32 s20, vcc_lo, s20
	s_wait_loadcnt 0x0
	v_subrev_nc_u32_e32 v2, s3, v2
	ds_store_b32 v1, v2
	v_add_nc_u32_e32 v1, 0x100, v1
	s_and_not1_b32 exec_lo, exec_lo, s20
	s_cbranch_execnz .LBB33_3
.LBB33_4:
	s_or_b32 exec_lo, exec_lo, s2
	v_mul_u32_u24_e32 v10, 0x88, v9
	v_lshlrev_b32_e32 v11, 3, v8
	s_mov_b32 s2, exec_lo
	v_cmpx_gt_u32_e32 16, v8
	s_cbranch_execz .LBB33_7
; %bb.5:
	v_mov_b64_e32 v[0:1], 0
	v_add_nc_u32_e32 v2, -4, v8
	v_add3_u32 v3, v10, v11, 0x1980
	s_mov_b32 s20, 0
.LBB33_6:                               ; =>This Inner Loop Header: Depth=1
	s_delay_alu instid0(VALU_DEP_2) | instskip(SKIP_4) | instid1(SALU_CYCLE_1)
	v_add_nc_u32_e32 v2, 4, v2
	ds_store_b64 v3, v[0:1]
	v_add_nc_u32_e32 v3, 32, v3
	v_cmp_lt_u32_e32 vcc_lo, 11, v2
	s_or_b32 s20, vcc_lo, s20
	s_and_not1_b32 exec_lo, exec_lo, s20
	s_cbranch_execnz .LBB33_6
.LBB33_7:
	s_or_b32 exec_lo, exec_lo, s2
	s_clause 0x1
	s_load_b32 s28, s[0:1], 0x8
	s_load_b32 s29, s[0:1], 0x0
	s_cmp_ge_i32 s30, s17
	s_wait_dscnt 0x0
	s_wait_kmcnt 0x0
	v_cmp_gt_i32_e64 s0, s28, v8
	s_cbranch_scc1 .LBB33_89
; %bb.8:
	v_mad_u32 v0, s28, s30, v9
	v_dual_mov_b32 v22, 0 :: v_dual_bitop2_b32 v1, v8, v9 bitop3:0x54
	v_mul_lo_u32 v15, s28, v9
	v_mul_lo_u32 v17, v8, s28
	v_mad_u32_u24 v13, 0x88, v9, v11
	s_movk_i32 s2, 0x880
	s_movk_i32 s20, 0x88
	v_mad_u32_u24 v14, 0x88, v9, s2
	v_cmp_ne_u32_e64 s2, 0, v1
	s_cmp_lg_u32 s29, 0
	v_mul_lo_u32 v20, s28, v0
	v_mov_b64_e32 v[0:1], 0
	v_cmp_gt_i32_e64 s1, s28, v9
	v_mad_u32_u24 v12, v9, s20, 0x1100
	v_add_nc_u32_e32 v16, 0x880, v13
	v_add_nc_u32_e32 v18, 0x1980, v13
	v_mad_u32_u24 v19, v8, s20, 0x1100
	v_add_nc_u32_e32 v21, 0x1100, v13
	s_cselect_b32 s31, -1, 0
	s_cmp_gt_i32 s28, 0
	s_mul_i32 s34, s28, s28
	s_cselect_b32 s33, -1, 0
	s_lshl_b32 s35, s28, 2
	s_mov_b32 s20, s30
	s_branch .LBB33_10
.LBB33_9:                               ;   in Loop: Header=BB33_10 Depth=1
	s_or_b32 exec_lo, exec_lo, s22
	s_add_co_i32 s20, s20, 1
	v_add_nc_u32_e32 v20, s34, v20
	s_cmp_ge_i32 s20, s17
	global_wb scope:SCOPE_DEV
	s_wait_storecnt 0x0
	global_inv scope:SCOPE_DEV
	s_cselect_b32 s21, -1, 0
	s_delay_alu instid0(SALU_CYCLE_1)
	s_and_b32 vcc_lo, exec_lo, s21
	s_cbranch_vccnz .LBB33_89
.LBB33_10:                              ; =>This Loop Header: Depth=1
                                        ;     Child Loop BB33_14 Depth 2
                                        ;     Child Loop BB33_26 Depth 2
	;; [unrolled: 1-line block ×5, first 2 shown]
                                        ;       Child Loop BB33_56 Depth 3
                                        ;     Child Loop BB33_70 Depth 2
                                        ;       Child Loop BB33_75 Depth 3
                                        ;       Child Loop BB33_78 Depth 3
                                        ;     Child Loop BB33_84 Depth 2
	s_ashr_i32 s21, s20, 31
	s_delay_alu instid0(SALU_CYCLE_1) | instskip(NEXT) | instid1(SALU_CYCLE_1)
	s_lshl_b64 s[22:23], s[20:21], 2
	s_add_nc_u64 s[22:23], s[14:15], s[22:23]
	s_load_b32 s36, s[22:23], 0x0
	s_wait_kmcnt 0x0
	s_sub_co_i32 s24, s36, s3
	s_delay_alu instid0(SALU_CYCLE_1) | instskip(SKIP_2) | instid1(SALU_CYCLE_1)
	s_ashr_i32 s25, s24, 31
	s_wait_xcnt 0x0
	s_lshl_b64 s[22:23], s[24:25], 2
	s_add_nc_u64 s[26:27], s[4:5], s[22:23]
	s_load_b32 s25, s[26:27], 0x0
	s_wait_kmcnt 0x0
	s_cmp_eq_u32 s25, -1
	s_cbranch_scc1 .LBB33_88
; %bb.11:                               ;   in Loop: Header=BB33_10 Depth=1
	s_wait_xcnt 0x0
	s_add_nc_u64 s[26:27], s[12:13], s[22:23]
	s_mul_i32 s21, s20, s28
	s_load_b32 s26, s[26:27], 0x0
	s_wait_xcnt 0x0
	s_and_saveexec_b32 s27, s0
	s_cbranch_execz .LBB33_24
; %bb.12:                               ;   in Loop: Header=BB33_10 Depth=1
	v_dual_mov_b32 v4, v16 :: v_dual_mov_b32 v5, v8
	s_mov_b32 s37, 0
	s_branch .LBB33_14
.LBB33_13:                              ;   in Loop: Header=BB33_14 Depth=2
	s_wait_xcnt 0x0
	s_or_b32 exec_lo, exec_lo, s39
	v_add_nc_u32_e32 v5, 4, v5
	s_wait_loadcnt 0x0
	ds_store_b64 v4, v[2:3] offset:2176
	ds_store_b64 v4, v[0:1]
	v_add_nc_u32_e32 v4, 32, v4
	v_cmp_le_i32_e32 vcc_lo, s28, v5
	s_or_b32 s37, vcc_lo, s37
	s_delay_alu instid0(SALU_CYCLE_1)
	s_and_not1_b32 exec_lo, exec_lo, s37
	s_cbranch_execz .LBB33_24
.LBB33_14:                              ;   Parent Loop BB33_10 Depth=1
                                        ; =>  This Inner Loop Header: Depth=2
	s_and_b32 vcc_lo, exec_lo, s31
	s_cbranch_vccz .LBB33_21
; %bb.15:                               ;   in Loop: Header=BB33_14 Depth=2
	s_mov_b32 s39, 0
	s_mov_b32 s38, 0
                                        ; implicit-def: $vgpr6
	s_and_saveexec_b32 s40, s1
	s_delay_alu instid0(SALU_CYCLE_1)
	s_xor_b32 s40, exec_lo, s40
; %bb.16:                               ;   in Loop: Header=BB33_14 Depth=2
	v_add_nc_u32_e32 v2, s21, v5
	s_mov_b32 s38, exec_lo
	s_delay_alu instid0(VALU_DEP_1)
	v_mad_u32 v6, v2, s28, v9
; %bb.17:                               ;   in Loop: Header=BB33_14 Depth=2
	s_or_b32 exec_lo, exec_lo, s40
	s_delay_alu instid0(SALU_CYCLE_1)
	s_and_b32 vcc_lo, exec_lo, s39
	s_cbranch_vccz .LBB33_22
.LBB33_18:                              ;   in Loop: Header=BB33_14 Depth=2
                                        ; implicit-def: $vgpr6
	s_and_saveexec_b32 s39, s1
; %bb.19:                               ;   in Loop: Header=BB33_14 Depth=2
	v_add_nc_u32_e32 v6, v20, v5
	s_or_b32 s38, s38, exec_lo
; %bb.20:                               ;   in Loop: Header=BB33_14 Depth=2
	s_or_b32 exec_lo, exec_lo, s39
	v_mov_b64_e32 v[2:3], 0
	s_and_saveexec_b32 s39, s38
	s_cbranch_execz .LBB33_13
	s_branch .LBB33_23
.LBB33_21:                              ;   in Loop: Header=BB33_14 Depth=2
	s_mov_b32 s38, 0
                                        ; implicit-def: $vgpr6
	s_cbranch_execnz .LBB33_18
.LBB33_22:                              ;   in Loop: Header=BB33_14 Depth=2
	v_mov_b64_e32 v[2:3], 0
	s_and_saveexec_b32 s39, s38
	s_cbranch_execz .LBB33_13
.LBB33_23:                              ;   in Loop: Header=BB33_14 Depth=2
	global_load_b64 v[2:3], v6, s[18:19] scale_offset
	s_branch .LBB33_13
.LBB33_24:                              ;   in Loop: Header=BB33_10 Depth=1
	s_or_b32 exec_lo, exec_lo, s27
	ds_load_b32 v2, v22 offset:9216
	s_wait_kmcnt 0x0
	s_sub_co_i32 s26, s26, s3
	s_delay_alu instid0(SALU_CYCLE_1) | instskip(SKIP_4) | instid1(SALU_CYCLE_1)
	s_cmp_le_i32 s26, s25
	s_cselect_b32 s27, -1, 0
	s_wait_dscnt 0x0
	v_cmp_ge_i32_e32 vcc_lo, s24, v2
	s_and_b32 s27, s27, vcc_lo
	s_and_not1_b32 vcc_lo, exec_lo, s27
	s_mov_b32 s27, 0
	s_cbranch_vccnz .LBB33_36
; %bb.25:                               ;   in Loop: Header=BB33_10 Depth=1
	s_mov_b32 s37, 0
	s_mov_b32 s38, 0
.LBB33_26:                              ;   Parent Loop BB33_10 Depth=1
                                        ; =>  This Inner Loop Header: Depth=2
	s_ashr_i32 s27, s26, 31
	s_lshl_b32 s39, s38, 2
	s_wait_xcnt 0x0
	s_lshl_b64 s[40:41], s[26:27], 2
	v_mov_b32_e32 v2, s39
	s_add_nc_u64 s[40:41], s[14:15], s[40:41]
	s_mov_b32 s42, -1
	s_load_b32 s27, s[40:41], 0x0
                                        ; implicit-def: $sgpr41
                                        ; implicit-def: $sgpr40
	ds_load_b32 v2, v2 offset:9216
	s_wait_kmcnt 0x0
	s_sub_co_i32 s43, s27, s3
                                        ; implicit-def: $sgpr27
	s_wait_dscnt 0x0
	v_readfirstlane_b32 s39, v2
	v_cmp_ge_i32_e32 vcc_lo, s43, v2
	s_cbranch_vccz .LBB33_32
; %bb.27:                               ;   in Loop: Header=BB33_26 Depth=2
	s_cmp_le_i32 s43, s39
                                        ; implicit-def: $sgpr27
                                        ; implicit-def: $sgpr41
                                        ; implicit-def: $sgpr40
	s_cbranch_scc0 .LBB33_29
; %bb.28:                               ;   in Loop: Header=BB33_26 Depth=2
	s_add_co_i32 s27, s38, s30
	s_wait_xcnt 0x0
	s_lshl_b32 s40, s37, 2
	s_mul_i32 s27, s27, s34
	s_delay_alu instid0(SALU_CYCLE_1)
	v_dual_mov_b32 v2, s40 :: v_dual_mov_b32 v3, s27
	s_mul_i32 s40, s26, s34
	s_add_co_i32 s41, s26, 1
	v_mov_b32_e32 v4, s40
	s_add_co_i32 s40, s38, 1
	s_add_co_i32 s27, s37, 1
	s_mov_b32 s42, 0
	ds_store_2addr_stride64_b32 v2, v4, v3 offset0:34 offset1:35
.LBB33_29:                              ;   in Loop: Header=BB33_26 Depth=2
	s_and_not1_b32 vcc_lo, exec_lo, s42
	s_cbranch_vccnz .LBB33_31
; %bb.30:                               ;   in Loop: Header=BB33_26 Depth=2
	s_wait_xcnt 0x0
	s_add_co_i32 s40, s38, 1
	s_mov_b32 s27, s37
	s_mov_b32 s41, s26
.LBB33_31:                              ;   in Loop: Header=BB33_26 Depth=2
	s_mov_b32 s42, 0
.LBB33_32:                              ;   in Loop: Header=BB33_26 Depth=2
	s_delay_alu instid0(SALU_CYCLE_1)
	s_and_not1_b32 vcc_lo, exec_lo, s42
	s_cbranch_vccnz .LBB33_34
; %bb.33:                               ;   in Loop: Header=BB33_26 Depth=2
	s_wait_xcnt 0x0
	s_add_co_i32 s41, s26, 1
	s_mov_b32 s40, s38
	s_mov_b32 s27, s37
.LBB33_34:                              ;   in Loop: Header=BB33_26 Depth=2
	s_cmp_le_i32 s41, s25
	s_cselect_b32 s26, -1, 0
	s_cmp_le_i32 s39, s24
	s_cselect_b32 s37, -1, 0
	s_delay_alu instid0(SALU_CYCLE_1) | instskip(NEXT) | instid1(SALU_CYCLE_1)
	s_and_b32 s26, s26, s37
	s_and_b32 vcc_lo, exec_lo, s26
	s_cbranch_vccz .LBB33_36
; %bb.35:                               ;   in Loop: Header=BB33_26 Depth=2
	s_mov_b32 s37, s27
	s_mov_b32 s26, s41
	;; [unrolled: 1-line block ×3, first 2 shown]
	s_branch .LBB33_26
.LBB33_36:                              ;   in Loop: Header=BB33_10 Depth=1
	s_add_nc_u64 s[22:23], s[6:7], s[22:23]
	s_wait_dscnt 0x0
.LBB33_37:                              ;   Parent Loop BB33_10 Depth=1
                                        ; =>  This Inner Loop Header: Depth=2
	global_load_b32 v2, v22, s[22:23] scope:SCOPE_DEV
	s_wait_loadcnt 0x0
	v_cmp_eq_u32_e32 vcc_lo, 0, v2
	s_cbranch_vccnz .LBB33_37
; %bb.38:                               ;   in Loop: Header=BB33_10 Depth=1
	global_inv scope:SCOPE_DEV
	s_wait_xcnt 0x0
	s_and_saveexec_b32 s22, s0
	s_cbranch_execz .LBB33_51
; %bb.39:                               ;   in Loop: Header=BB33_10 Depth=1
	s_mul_i32 s25, s25, s28
	s_delay_alu instid0(SALU_CYCLE_1) | instskip(SKIP_2) | instid1(VALU_DEP_2)
	v_dual_mov_b32 v6, v8 :: v_dual_add_nc_u32 v2, s25, v9
	v_mov_b32_e32 v5, v13
	s_mov_b32 s23, 0
	v_mul_lo_u32 v4, v2, s28
	s_branch .LBB33_41
.LBB33_40:                              ;   in Loop: Header=BB33_41 Depth=2
	s_wait_xcnt 0x0
	s_or_b32 exec_lo, exec_lo, s26
	v_add_nc_u32_e32 v6, 4, v6
	s_wait_loadcnt 0x0
	ds_store_b64 v5, v[2:3]
	v_add_nc_u32_e32 v5, 32, v5
	v_cmp_le_i32_e32 vcc_lo, s28, v6
	s_or_b32 s23, vcc_lo, s23
	s_delay_alu instid0(SALU_CYCLE_1)
	s_and_not1_b32 exec_lo, exec_lo, s23
	s_cbranch_execz .LBB33_51
.LBB33_41:                              ;   Parent Loop BB33_10 Depth=1
                                        ; =>  This Inner Loop Header: Depth=2
	s_and_b32 vcc_lo, exec_lo, s31
	s_cbranch_vccz .LBB33_48
; %bb.42:                               ;   in Loop: Header=BB33_41 Depth=2
	s_mov_b32 s26, 0
	s_mov_b32 s24, 0
                                        ; implicit-def: $vgpr7
	s_and_saveexec_b32 s37, s1
	s_delay_alu instid0(SALU_CYCLE_1)
	s_xor_b32 s37, exec_lo, s37
; %bb.43:                               ;   in Loop: Header=BB33_41 Depth=2
	v_add_nc_u32_e32 v2, s25, v6
	s_mov_b32 s24, exec_lo
	s_delay_alu instid0(VALU_DEP_1)
	v_mad_u32 v7, v2, s28, v9
; %bb.44:                               ;   in Loop: Header=BB33_41 Depth=2
	s_or_b32 exec_lo, exec_lo, s37
	s_delay_alu instid0(SALU_CYCLE_1)
	s_and_b32 vcc_lo, exec_lo, s26
	s_cbranch_vccz .LBB33_49
.LBB33_45:                              ;   in Loop: Header=BB33_41 Depth=2
                                        ; implicit-def: $vgpr7
	s_and_saveexec_b32 s26, s1
; %bb.46:                               ;   in Loop: Header=BB33_41 Depth=2
	s_delay_alu instid0(VALU_DEP_1)
	v_add_nc_u32_e32 v7, v4, v6
	s_or_b32 s24, s24, exec_lo
; %bb.47:                               ;   in Loop: Header=BB33_41 Depth=2
	s_or_b32 exec_lo, exec_lo, s26
	v_mov_b64_e32 v[2:3], 0
	s_and_saveexec_b32 s26, s24
	s_cbranch_execz .LBB33_40
	s_branch .LBB33_50
.LBB33_48:                              ;   in Loop: Header=BB33_41 Depth=2
	s_mov_b32 s24, 0
                                        ; implicit-def: $vgpr7
	s_cbranch_execnz .LBB33_45
.LBB33_49:                              ;   in Loop: Header=BB33_41 Depth=2
	v_mov_b64_e32 v[2:3], 0
	s_and_saveexec_b32 s26, s24
	s_cbranch_execz .LBB33_40
.LBB33_50:                              ;   in Loop: Header=BB33_41 Depth=2
	global_load_b64 v[2:3], v7, s[18:19] scale_offset
	s_branch .LBB33_40
.LBB33_51:                              ;   in Loop: Header=BB33_10 Depth=1
	s_or_b32 exec_lo, exec_lo, s22
	s_cmp_lt_i32 s27, 2
	s_cbranch_scc1 .LBB33_67
; %bb.52:                               ;   in Loop: Header=BB33_10 Depth=1
	s_add_co_i32 s22, s27, -2
	s_mov_b32 s23, 0
	s_branch .LBB33_54
.LBB33_53:                              ;   in Loop: Header=BB33_54 Depth=2
	s_or_b32 exec_lo, exec_lo, s24
	s_add_co_i32 s24, s23, 1
	s_cmp_eq_u32 s23, s22
	s_mov_b32 s23, s24
	s_cbranch_scc1 .LBB33_67
.LBB33_54:                              ;   Parent Loop BB33_10 Depth=1
                                        ; =>  This Loop Header: Depth=2
                                        ;       Child Loop BB33_56 Depth 3
	s_and_saveexec_b32 s24, s0
	s_cbranch_execz .LBB33_53
; %bb.55:                               ;   in Loop: Header=BB33_54 Depth=2
	s_lshl_b32 s25, s23, 2
	s_delay_alu instid0(SALU_CYCLE_1)
	v_dual_mov_b32 v27, v8 :: v_dual_mov_b32 v2, s25
	s_mov_b32 s25, 0
	ds_load_2addr_stride64_b32 v[2:3], v2 offset0:34 offset1:35
	s_wait_dscnt 0x0
	v_add_nc_u32_e32 v23, v3, v15
	v_dual_add_nc_u32 v24, v9, v3 :: v_dual_add_nc_u32 v25, v8, v2
	v_add_nc_u32_e32 v26, v17, v2
.LBB33_56:                              ;   Parent Loop BB33_10 Depth=1
                                        ;     Parent Loop BB33_54 Depth=2
                                        ; =>    This Inner Loop Header: Depth=3
	v_mov_b64_e32 v[2:3], 0
	s_delay_alu instid0(VALU_DEP_3)
	v_dual_mov_b32 v28, v25 :: v_dual_mov_b32 v29, v24
	s_mov_b32 s26, 0
	s_and_b32 vcc_lo, exec_lo, s31
	s_cbranch_vccnz .LBB33_59
	s_branch .LBB33_58
.LBB33_57:                              ;   in Loop: Header=BB33_56 Depth=3
	s_delay_alu instid0(VALU_DEP_2)
	v_mov_b64_e32 v[2:3], v[4:5]
	s_and_b32 vcc_lo, exec_lo, s31
	s_cbranch_vccnz .LBB33_59
.LBB33_58:                              ;   in Loop: Header=BB33_56 Depth=3
                                        ; implicit-def: $vgpr4_vgpr5
	s_cbranch_execz .LBB33_65
	s_branch .LBB33_62
.LBB33_59:                              ;   in Loop: Header=BB33_56 Depth=3
	global_load_b64 v[4:5], v28, s[18:19] scale_offset
	v_mov_b64_e32 v[6:7], 0
	s_wait_xcnt 0x0
	s_and_saveexec_b32 s27, s1
	s_cbranch_execz .LBB33_61
; %bb.60:                               ;   in Loop: Header=BB33_56 Depth=3
	global_load_b64 v[6:7], v29, s[18:19] scale_offset
.LBB33_61:                              ;   in Loop: Header=BB33_56 Depth=3
	s_wait_xcnt 0x0
	s_or_b32 exec_lo, exec_lo, s27
	s_wait_loadcnt 0x0
	v_fma_f64 v[4:5], v[4:5], v[6:7], v[2:3]
	s_branch .LBB33_65
.LBB33_62:                              ;   in Loop: Header=BB33_56 Depth=3
	v_add_nc_u32_e32 v4, s26, v26
	v_mov_b64_e32 v[6:7], 0
	global_load_b64 v[4:5], v4, s[18:19] scale_offset
	s_wait_xcnt 0x0
	s_and_saveexec_b32 s27, s1
	s_cbranch_execz .LBB33_64
; %bb.63:                               ;   in Loop: Header=BB33_56 Depth=3
	v_add_nc_u32_e32 v6, s26, v23
	global_load_b64 v[6:7], v6, s[18:19] scale_offset
.LBB33_64:                              ;   in Loop: Header=BB33_56 Depth=3
	s_wait_xcnt 0x0
	s_or_b32 exec_lo, exec_lo, s27
	s_wait_loadcnt 0x0
	v_fmac_f64_e32 v[2:3], v[4:5], v[6:7]
	s_delay_alu instid0(VALU_DEP_1)
	v_mov_b64_e32 v[4:5], v[2:3]
.LBB33_65:                              ;   in Loop: Header=BB33_56 Depth=3
	v_dual_add_nc_u32 v29, s28, v29 :: v_dual_add_nc_u32 v28, s28, v28
	s_add_co_i32 s26, s26, 1
	s_delay_alu instid0(SALU_CYCLE_1)
	s_cmp_eq_u32 s28, s26
	s_cbranch_scc0 .LBB33_57
; %bb.66:                               ;   in Loop: Header=BB33_56 Depth=3
	v_lshl_add_u32 v6, v27, 3, v14
	v_dual_add_nc_u32 v27, 4, v27 :: v_dual_add_nc_u32 v26, s35, v26
	v_add_nc_u32_e32 v25, 4, v25
	ds_load_b64 v[2:3], v6
	v_cmp_le_i32_e32 vcc_lo, s28, v27
	s_or_b32 s25, vcc_lo, s25
	s_wait_dscnt 0x0
	v_add_f64_e32 v[2:3], v[4:5], v[2:3]
	ds_store_b64 v6, v[2:3]
	s_and_not1_b32 exec_lo, exec_lo, s25
	s_cbranch_execnz .LBB33_56
	s_branch .LBB33_53
.LBB33_67:                              ;   in Loop: Header=BB33_10 Depth=1
	s_and_not1_b32 vcc_lo, exec_lo, s33
	s_wait_loadcnt_dscnt 0x0
	s_cbranch_vccnz .LBB33_79
; %bb.68:                               ;   in Loop: Header=BB33_10 Depth=1
	v_mov_b32_e32 v23, v19
	s_mov_b32 s22, 0
	s_mov_b32 s23, 0
	s_branch .LBB33_70
.LBB33_69:                              ;   in Loop: Header=BB33_70 Depth=2
	s_or_b32 exec_lo, exec_lo, s24
	v_add_nc_u32_e32 v23, 8, v23
	s_add_co_i32 s23, s23, 1
	s_addk_co_i32 s22, 0x88
	s_cmp_eq_u32 s23, s28
	s_wait_dscnt 0x0
	s_cbranch_scc1 .LBB33_79
.LBB33_70:                              ;   Parent Loop BB33_10 Depth=1
                                        ; =>  This Loop Header: Depth=2
                                        ;       Child Loop BB33_75 Depth 3
                                        ;       Child Loop BB33_78 Depth 3
	s_lshl_b32 s24, s23, 3
	s_mul_i32 s25, s23, 0x88
	v_add_nc_u32_e32 v24, s24, v12
	s_add_co_i32 s25, s25, s24
	s_delay_alu instid0(SALU_CYCLE_1)
	v_mov_b32_e32 v2, s25
	ds_load_b64 v[4:5], v2
	ds_load_b64 v[2:3], v24
	s_wait_dscnt 0x1
	v_cmp_neq_f64_e32 vcc_lo, 0, v[4:5]
	v_cndmask_b32_e32 v5, 0x3ff00000, v5, vcc_lo
	v_cndmask_b32_e32 v4, 0, v4, vcc_lo
	s_nor_b32 s25, vcc_lo, s2
	s_delay_alu instid0(SALU_CYCLE_1)
	s_and_saveexec_b32 s24, s25
	s_cbranch_execz .LBB33_74
; %bb.71:                               ;   in Loop: Header=BB33_70 Depth=2
	v_mbcnt_lo_u32_b32 v4, exec_lo, 0
	s_mov_b32 s25, exec_lo
	s_delay_alu instid0(VALU_DEP_1)
	v_cmpx_eq_u32_e32 0, v4
	s_cbranch_execz .LBB33_73
; %bb.72:                               ;   in Loop: Header=BB33_70 Depth=2
	v_mov_b32_e32 v4, s36
	global_atomic_min_i32 v22, v4, s[10:11] scope:SCOPE_DEV
.LBB33_73:                              ;   in Loop: Header=BB33_70 Depth=2
	s_wait_xcnt 0x0
	s_or_b32 exec_lo, exec_lo, s25
	v_mov_b64_e32 v[4:5], 1.0
.LBB33_74:                              ;   in Loop: Header=BB33_70 Depth=2
	s_or_b32 exec_lo, exec_lo, s24
	v_lshl_add_u32 v6, s23, 3, v14
	v_mov_b32_e32 v25, v12
	s_cmp_eq_u32 s23, 0
	s_mov_b32 s24, s22
	s_mov_b32 s25, s23
	ds_load_b64 v[6:7], v6
	s_cbranch_scc1 .LBB33_76
.LBB33_75:                              ;   Parent Loop BB33_10 Depth=1
                                        ;     Parent Loop BB33_70 Depth=2
                                        ; =>    This Inner Loop Header: Depth=3
	v_mov_b32_e32 v28, s24
	s_add_co_i32 s25, s25, -1
	s_add_co_i32 s24, s24, 8
	s_cmp_eq_u32 s25, 0
	ds_load_b64 v[26:27], v25
	ds_load_b64 v[28:29], v28
	v_add_nc_u32_e32 v25, 8, v25
	s_wait_dscnt 0x0
	v_fmac_f64_e32 v[6:7], v[28:29], v[26:27]
	s_cbranch_scc0 .LBB33_75
.LBB33_76:                              ;   in Loop: Header=BB33_70 Depth=2
	s_wait_dscnt 0x0
	s_delay_alu instid0(VALU_DEP_1) | instskip(NEXT) | instid1(VALU_DEP_1)
	v_add_f64_e64 v[2:3], v[2:3], -v[6:7]
	v_div_scale_f64 v[6:7], null, v[4:5], v[4:5], v[2:3]
	v_div_scale_f64 v[30:31], vcc_lo, v[2:3], v[4:5], v[2:3]
	s_delay_alu instid0(VALU_DEP_2) | instskip(SKIP_1) | instid1(TRANS32_DEP_1)
	v_rcp_f64_e32 v[26:27], v[6:7]
	v_nop
	v_fma_f64 v[28:29], -v[6:7], v[26:27], 1.0
	s_delay_alu instid0(VALU_DEP_1) | instskip(NEXT) | instid1(VALU_DEP_1)
	v_fmac_f64_e32 v[26:27], v[26:27], v[28:29]
	v_fma_f64 v[28:29], -v[6:7], v[26:27], 1.0
	s_delay_alu instid0(VALU_DEP_1) | instskip(NEXT) | instid1(VALU_DEP_1)
	v_fmac_f64_e32 v[26:27], v[26:27], v[28:29]
	v_mul_f64_e32 v[28:29], v[30:31], v[26:27]
	s_delay_alu instid0(VALU_DEP_1) | instskip(NEXT) | instid1(VALU_DEP_1)
	v_fma_f64 v[6:7], -v[6:7], v[28:29], v[30:31]
	v_div_fmas_f64 v[6:7], v[6:7], v[26:27], v[28:29]
	s_delay_alu instid0(VALU_DEP_1)
	v_div_fixup_f64 v[2:3], v[6:7], v[4:5], v[2:3]
	ds_store_b64 v24, v[2:3]
	s_wait_storecnt_dscnt 0x0
	s_and_saveexec_b32 s24, s0
	s_cbranch_execz .LBB33_69
; %bb.77:                               ;   in Loop: Header=BB33_70 Depth=2
	v_dual_mov_b32 v4, v23 :: v_dual_mov_b32 v5, v18
	v_mov_b32_e32 v6, v8
	s_mov_b32 s25, 0
.LBB33_78:                              ;   Parent Loop BB33_10 Depth=1
                                        ;     Parent Loop BB33_70 Depth=2
                                        ; =>    This Inner Loop Header: Depth=3
	ds_load_b64 v[24:25], v4
	ds_load_b64 v[26:27], v5
	v_add_nc_u32_e32 v6, 4, v6
	v_add_nc_u32_e32 v4, 0x220, v4
	s_wait_dscnt 0x0
	v_fmac_f64_e32 v[26:27], v[2:3], v[24:25]
	ds_store_b64 v5, v[26:27]
	v_add_nc_u32_e32 v5, 32, v5
	v_cmp_le_i32_e32 vcc_lo, s28, v6
	s_or_b32 s25, vcc_lo, s25
	s_delay_alu instid0(SALU_CYCLE_1)
	s_and_not1_b32 exec_lo, exec_lo, s25
	s_cbranch_execnz .LBB33_78
	s_branch .LBB33_69
.LBB33_79:                              ;   in Loop: Header=BB33_10 Depth=1
	s_and_saveexec_b32 s22, s0
	s_cbranch_execz .LBB33_9
; %bb.80:                               ;   in Loop: Header=BB33_10 Depth=1
	v_dual_mov_b32 v4, v21 :: v_dual_mov_b32 v5, v8
	s_mov_b32 s23, 0
	s_branch .LBB33_84
.LBB33_81:                              ;   in Loop: Header=BB33_84 Depth=2
	v_add_nc_u32_e32 v6, v20, v5
.LBB33_82:                              ;   in Loop: Header=BB33_84 Depth=2
	s_wait_dscnt 0x0
	global_store_b64 v6, v[2:3], s[18:19] scale_offset
.LBB33_83:                              ;   in Loop: Header=BB33_84 Depth=2
	s_wait_xcnt 0x0
	s_or_b32 exec_lo, exec_lo, s24
	v_dual_add_nc_u32 v5, 4, v5 :: v_dual_add_nc_u32 v4, 32, v4
	s_delay_alu instid0(VALU_DEP_1) | instskip(SKIP_1) | instid1(SALU_CYCLE_1)
	v_cmp_le_i32_e32 vcc_lo, s28, v5
	s_or_b32 s23, vcc_lo, s23
	s_and_not1_b32 exec_lo, exec_lo, s23
	s_cbranch_execz .LBB33_9
.LBB33_84:                              ;   Parent Loop BB33_10 Depth=1
                                        ; =>  This Inner Loop Header: Depth=2
	s_and_saveexec_b32 s24, s1
	s_cbranch_execz .LBB33_83
; %bb.85:                               ;   in Loop: Header=BB33_84 Depth=2
	ds_load_b64 v[2:3], v4
	s_and_b32 vcc_lo, exec_lo, s31
	s_cbranch_vccz .LBB33_87
; %bb.86:                               ;   in Loop: Header=BB33_84 Depth=2
	v_add_nc_u32_e32 v6, s21, v5
	s_delay_alu instid0(VALU_DEP_1)
	v_mad_u32 v6, v6, s28, v9
	s_cbranch_execnz .LBB33_82
	s_branch .LBB33_81
.LBB33_87:                              ;   in Loop: Header=BB33_84 Depth=2
                                        ; implicit-def: $vgpr6
	s_branch .LBB33_81
.LBB33_88:                              ;   in Loop: Header=BB33_10 Depth=1
                                        ; implicit-def: $sgpr20
                                        ; implicit-def: $vgpr20
	s_cbranch_execz .LBB33_10
.LBB33_89:
	v_cmp_gt_i32_e64 s0, s28, v8
	s_and_saveexec_b32 s2, s0
	s_cbranch_execz .LBB33_102
; %bb.90:
	s_mul_i32 s4, s17, s28
	v_cmp_gt_i32_e64 s1, s28, v9
	v_dual_add_nc_u32 v0, s4, v9 :: v_dual_mov_b32 v4, v8
	v_add3_u32 v3, v10, v11, 0x1100
	s_cmp_lg_u32 s29, 0
	s_mov_b32 s5, 0
	s_delay_alu instid0(VALU_DEP_2)
	v_mul_lo_u32 v2, v0, s28
	s_cselect_b32 s12, -1, 0
	s_branch .LBB33_92
.LBB33_91:                              ;   in Loop: Header=BB33_92 Depth=1
	s_wait_xcnt 0x0
	s_or_b32 exec_lo, exec_lo, s14
	v_add_nc_u32_e32 v4, 4, v4
	s_wait_loadcnt 0x0
	ds_store_b64 v3, v[0:1]
	v_add_nc_u32_e32 v3, 32, v3
	v_cmp_le_i32_e32 vcc_lo, s28, v4
	s_or_b32 s5, vcc_lo, s5
	s_delay_alu instid0(SALU_CYCLE_1)
	s_and_not1_b32 exec_lo, exec_lo, s5
	s_cbranch_execz .LBB33_102
.LBB33_92:                              ; =>This Inner Loop Header: Depth=1
	s_and_b32 vcc_lo, exec_lo, s12
	s_cbranch_vccz .LBB33_99
; %bb.93:                               ;   in Loop: Header=BB33_92 Depth=1
	s_mov_b32 s14, 0
	s_mov_b32 s13, 0
                                        ; implicit-def: $vgpr5
	s_and_saveexec_b32 s15, s1
	s_delay_alu instid0(SALU_CYCLE_1)
	s_xor_b32 s15, exec_lo, s15
; %bb.94:                               ;   in Loop: Header=BB33_92 Depth=1
	v_add_nc_u32_e32 v0, s4, v4
	s_mov_b32 s13, exec_lo
	s_delay_alu instid0(VALU_DEP_1)
	v_mad_u32 v5, v0, s28, v9
; %bb.95:                               ;   in Loop: Header=BB33_92 Depth=1
	s_or_b32 exec_lo, exec_lo, s15
	s_delay_alu instid0(SALU_CYCLE_1)
	s_and_b32 vcc_lo, exec_lo, s14
	s_cbranch_vccz .LBB33_100
.LBB33_96:                              ;   in Loop: Header=BB33_92 Depth=1
                                        ; implicit-def: $vgpr5
	s_and_saveexec_b32 s14, s1
; %bb.97:                               ;   in Loop: Header=BB33_92 Depth=1
	s_delay_alu instid0(VALU_DEP_1)
	v_add_nc_u32_e32 v5, v2, v4
	s_or_b32 s13, s13, exec_lo
; %bb.98:                               ;   in Loop: Header=BB33_92 Depth=1
	s_or_b32 exec_lo, exec_lo, s14
	v_mov_b64_e32 v[0:1], 0
	s_and_saveexec_b32 s14, s13
	s_cbranch_execz .LBB33_91
	s_branch .LBB33_101
.LBB33_99:                              ;   in Loop: Header=BB33_92 Depth=1
	s_mov_b32 s13, 0
                                        ; implicit-def: $vgpr5
	s_cbranch_execnz .LBB33_96
.LBB33_100:                             ;   in Loop: Header=BB33_92 Depth=1
	v_mov_b64_e32 v[0:1], 0
	s_and_saveexec_b32 s14, s13
	s_cbranch_execz .LBB33_91
.LBB33_101:                             ;   in Loop: Header=BB33_92 Depth=1
	global_load_b64 v[0:1], v5, s[18:19] scale_offset
	s_branch .LBB33_91
.LBB33_102:
	s_or_b32 exec_lo, exec_lo, s2
	s_cmp_lt_i32 s28, 1
	s_wait_loadcnt_dscnt 0x0
	s_cbranch_scc1 .LBB33_115
; %bb.103:
	s_movk_i32 s2, 0x88
	s_movk_i32 s1, 0x1980
	v_dual_lshlrev_b32 v1, 3, v9 :: v_dual_bitop2_b32 v0, v8, v9 bitop3:0x54
	v_mad_u32_u24 v4, v9, s2, 0x1100
	v_mad_u32_u24 v5, 0x88, v9, s1
	v_add3_u32 v12, v10, v11, 0x1980
	s_delay_alu instid0(VALU_DEP_4) | instskip(SKIP_1) | instid1(VALU_DEP_4)
	v_cmp_ne_u32_e64 s1, 0, v0
	v_mad_u32_u24 v13, v8, s2, 0x1100
	v_dual_add_nc_u32 v6, v4, v1 :: v_dual_add_nc_u32 v7, v5, v1
	v_mov_b32_e32 v14, 0
	s_mov_b32 s2, 0
	s_add_co_i32 s4, s16, s3
	s_branch .LBB33_105
.LBB33_104:                             ;   in Loop: Header=BB33_105 Depth=1
	s_or_b32 exec_lo, exec_lo, s5
	v_add_nc_u32_e32 v13, 8, v13
	s_add_co_i32 s2, s2, 1
	s_wait_storecnt_dscnt 0x0
	s_cmp_eq_u32 s2, s28
	s_cbranch_scc1 .LBB33_115
.LBB33_105:                             ; =>This Loop Header: Depth=1
                                        ;     Child Loop BB33_114 Depth 2
	s_mov_b32 s5, exec_lo
	v_cmpx_eq_u32_e64 s2, v9
	s_cbranch_execz .LBB33_107
; %bb.106:                              ;   in Loop: Header=BB33_105 Depth=1
	ds_load_b64 v[0:1], v6
	ds_load_b64 v[2:3], v7
	s_wait_dscnt 0x0
	v_add_f64_e64 v[0:1], v[0:1], -v[2:3]
	s_delay_alu instid0(VALU_DEP_1) | instskip(SKIP_1) | instid1(VALU_DEP_1)
	v_cmp_gt_f64_e32 vcc_lo, 0, v[0:1]
	v_xor_b32_e32 v2, 0x80000000, v1
	v_cndmask_b32_e32 v1, v1, v2, vcc_lo
	s_delay_alu instid0(VALU_DEP_1) | instskip(SKIP_1) | instid1(VALU_DEP_1)
	v_cmp_gt_f64_e32 vcc_lo, 0x10000000, v[0:1]
	v_cndmask_b32_e64 v2, 0, 0x100, vcc_lo
	v_ldexp_f64 v[0:1], v[0:1], v2
	s_delay_alu instid0(VALU_DEP_1) | instskip(SKIP_1) | instid1(TRANS32_DEP_1)
	v_rsq_f64_e32 v[2:3], v[0:1]
	v_nop
	v_mul_f64_e32 v[16:17], v[0:1], v[2:3]
	v_mul_f64_e32 v[2:3], 0.5, v[2:3]
	s_delay_alu instid0(VALU_DEP_1) | instskip(NEXT) | instid1(VALU_DEP_1)
	v_fma_f64 v[18:19], -v[2:3], v[16:17], 0.5
	v_fmac_f64_e32 v[16:17], v[16:17], v[18:19]
	v_fmac_f64_e32 v[2:3], v[2:3], v[18:19]
	s_delay_alu instid0(VALU_DEP_2) | instskip(NEXT) | instid1(VALU_DEP_1)
	v_fma_f64 v[18:19], -v[16:17], v[16:17], v[0:1]
	v_fmac_f64_e32 v[16:17], v[18:19], v[2:3]
	s_delay_alu instid0(VALU_DEP_1) | instskip(NEXT) | instid1(VALU_DEP_1)
	v_fma_f64 v[18:19], -v[16:17], v[16:17], v[0:1]
	v_fmac_f64_e32 v[16:17], v[18:19], v[2:3]
	v_cndmask_b32_e64 v2, 0, 0xffffff80, vcc_lo
	v_cmp_class_f64_e64 vcc_lo, v[0:1], 0x260
	s_delay_alu instid0(VALU_DEP_2) | instskip(NEXT) | instid1(VALU_DEP_1)
	v_ldexp_f64 v[2:3], v[16:17], v2
	v_dual_cndmask_b32 v1, v3, v1 :: v_dual_cndmask_b32 v0, v2, v0
	ds_store_b64 v6, v[0:1]
.LBB33_107:                             ;   in Loop: Header=BB33_105 Depth=1
	s_or_b32 exec_lo, exec_lo, s5
	s_lshl_b32 s5, s2, 3
	s_mul_i32 s12, s2, 0x88
	s_wait_dscnt 0x0
	s_add_co_i32 s12, s12, s5
	s_delay_alu instid0(SALU_CYCLE_1)
	v_dual_mov_b32 v0, s12 :: v_dual_add_nc_u32 v15, s5, v4
	ds_load_b64 v[2:3], v0 offset:4352
	ds_load_b64 v[0:1], v15
	s_wait_dscnt 0x1
	v_cmp_neq_f64_e32 vcc_lo, 0, v[2:3]
	v_cndmask_b32_e32 v3, 0x3ff00000, v3, vcc_lo
	v_cndmask_b32_e32 v2, 0, v2, vcc_lo
	s_nor_b32 s12, vcc_lo, s1
	s_delay_alu instid0(SALU_CYCLE_1)
	s_and_saveexec_b32 s5, s12
	s_cbranch_execz .LBB33_111
; %bb.108:                              ;   in Loop: Header=BB33_105 Depth=1
	v_mbcnt_lo_u32_b32 v2, exec_lo, 0
	s_mov_b32 s12, exec_lo
	s_delay_alu instid0(VALU_DEP_1)
	v_cmpx_eq_u32_e32 0, v2
	s_cbranch_execz .LBB33_110
; %bb.109:                              ;   in Loop: Header=BB33_105 Depth=1
	v_mov_b32_e32 v2, s4
	global_atomic_min_i32 v14, v2, s[10:11] scope:SCOPE_DEV
.LBB33_110:                             ;   in Loop: Header=BB33_105 Depth=1
	s_wait_xcnt 0x0
	s_or_b32 exec_lo, exec_lo, s12
	v_mov_b64_e32 v[2:3], 1.0
.LBB33_111:                             ;   in Loop: Header=BB33_105 Depth=1
	s_or_b32 exec_lo, exec_lo, s5
	s_delay_alu instid0(SALU_CYCLE_1)
	s_mov_b32 s5, exec_lo
	v_cmpx_lt_u32_e64 s2, v9
	s_cbranch_execz .LBB33_104
; %bb.112:                              ;   in Loop: Header=BB33_105 Depth=1
	v_lshl_add_u32 v16, s2, 3, v5
	ds_load_b64 v[16:17], v16
	s_wait_dscnt 0x0
	v_add_f64_e64 v[0:1], v[0:1], -v[16:17]
	s_delay_alu instid0(VALU_DEP_1) | instskip(SKIP_1) | instid1(VALU_DEP_2)
	v_div_scale_f64 v[16:17], null, v[2:3], v[2:3], v[0:1]
	v_div_scale_f64 v[22:23], vcc_lo, v[0:1], v[2:3], v[0:1]
	v_rcp_f64_e32 v[18:19], v[16:17]
	v_nop
	s_delay_alu instid0(TRANS32_DEP_1) | instskip(NEXT) | instid1(VALU_DEP_1)
	v_fma_f64 v[20:21], -v[16:17], v[18:19], 1.0
	v_fmac_f64_e32 v[18:19], v[18:19], v[20:21]
	s_delay_alu instid0(VALU_DEP_1) | instskip(NEXT) | instid1(VALU_DEP_1)
	v_fma_f64 v[20:21], -v[16:17], v[18:19], 1.0
	v_fmac_f64_e32 v[18:19], v[18:19], v[20:21]
	s_delay_alu instid0(VALU_DEP_1) | instskip(NEXT) | instid1(VALU_DEP_1)
	v_mul_f64_e32 v[20:21], v[22:23], v[18:19]
	v_fma_f64 v[16:17], -v[16:17], v[20:21], v[22:23]
	s_delay_alu instid0(VALU_DEP_1) | instskip(NEXT) | instid1(VALU_DEP_1)
	v_div_fmas_f64 v[16:17], v[16:17], v[18:19], v[20:21]
	v_div_fixup_f64 v[0:1], v[16:17], v[2:3], v[0:1]
	ds_store_b64 v15, v[0:1]
	s_wait_storecnt_dscnt 0x0
	s_and_b32 exec_lo, exec_lo, s0
	s_cbranch_execz .LBB33_104
; %bb.113:                              ;   in Loop: Header=BB33_105 Depth=1
	v_dual_mov_b32 v2, v13 :: v_dual_mov_b32 v3, v12
	v_mov_b32_e32 v15, v8
	s_mov_b32 s12, 0
.LBB33_114:                             ;   Parent Loop BB33_105 Depth=1
                                        ; =>  This Inner Loop Header: Depth=2
	ds_load_b64 v[16:17], v2
	ds_load_b64 v[18:19], v3
	v_add_nc_u32_e32 v15, 4, v15
	v_add_nc_u32_e32 v2, 0x220, v2
	s_delay_alu instid0(VALU_DEP_2)
	v_cmp_le_i32_e32 vcc_lo, s28, v15
	s_or_b32 s12, vcc_lo, s12
	s_wait_dscnt 0x0
	v_fmac_f64_e32 v[18:19], v[0:1], v[16:17]
	ds_store_b64 v3, v[18:19]
	v_add_nc_u32_e32 v3, 32, v3
	s_and_not1_b32 exec_lo, exec_lo, s12
	s_cbranch_execnz .LBB33_114
	s_branch .LBB33_104
.LBB33_115:
	s_and_saveexec_b32 s1, s0
	s_cbranch_execz .LBB33_124
; %bb.116:
	s_mul_i32 s17, s17, s28
	v_cmp_gt_i32_e64 s0, s28, v9
	v_dual_add_nc_u32 v0, s17, v9 :: v_dual_mov_b32 v4, v8
	v_add3_u32 v3, v10, v11, 0x1100
	s_cmp_lg_u32 s29, 0
	s_mov_b32 s2, 0
	s_delay_alu instid0(VALU_DEP_2)
	v_mul_lo_u32 v2, v0, s28
	s_cselect_b32 s4, -1, 0
	s_branch .LBB33_120
.LBB33_117:                             ;   in Loop: Header=BB33_120 Depth=1
	v_add_nc_u32_e32 v5, v2, v4
.LBB33_118:                             ;   in Loop: Header=BB33_120 Depth=1
	s_wait_dscnt 0x0
	global_store_b64 v5, v[0:1], s[18:19] scale_offset
.LBB33_119:                             ;   in Loop: Header=BB33_120 Depth=1
	s_wait_xcnt 0x0
	s_or_b32 exec_lo, exec_lo, s5
	v_dual_add_nc_u32 v4, 4, v4 :: v_dual_add_nc_u32 v3, 32, v3
	s_delay_alu instid0(VALU_DEP_1) | instskip(SKIP_1) | instid1(SALU_CYCLE_1)
	v_cmp_le_i32_e32 vcc_lo, s28, v4
	s_or_b32 s2, vcc_lo, s2
	s_and_not1_b32 exec_lo, exec_lo, s2
	s_cbranch_execz .LBB33_124
.LBB33_120:                             ; =>This Inner Loop Header: Depth=1
	s_and_saveexec_b32 s5, s0
	s_cbranch_execz .LBB33_119
; %bb.121:                              ;   in Loop: Header=BB33_120 Depth=1
	ds_load_b64 v[0:1], v3
	s_and_b32 vcc_lo, exec_lo, s4
	s_cbranch_vccz .LBB33_123
; %bb.122:                              ;   in Loop: Header=BB33_120 Depth=1
	v_add_nc_u32_e32 v5, s17, v4
	s_delay_alu instid0(VALU_DEP_1)
	v_mad_u32 v5, v5, s28, v9
	s_cbranch_execnz .LBB33_118
	s_branch .LBB33_117
.LBB33_123:                             ;   in Loop: Header=BB33_120 Depth=1
                                        ; implicit-def: $vgpr5
	s_branch .LBB33_117
.LBB33_124:
	s_or_b32 exec_lo, exec_lo, s1
	v_or_b32_e32 v0, v8, v9
	s_mov_b32 s0, 0
	s_mov_b32 s1, exec_lo
	s_delay_alu instid0(VALU_DEP_1)
	v_cmpx_eq_u32_e32 0, v0
	s_cbranch_execz .LBB33_126
; %bb.125:
	v_dual_mov_b32 v0, 0 :: v_dual_mov_b32 v1, 1
	s_add_nc_u64 s[4:5], s[6:7], s[8:9]
	global_wb scope:SCOPE_DEV
	s_wait_storecnt 0x0
	global_store_b32 v0, v1, s[4:5] scope:SCOPE_DEV
.LBB33_126:
	s_wait_xcnt 0x0
	s_or_b32 exec_lo, exec_lo, s1
	s_delay_alu instid0(SALU_CYCLE_1)
	s_and_b32 vcc_lo, exec_lo, s0
	s_cbranch_vccnz .LBB33_129
.LBB33_127:
	s_endpgm
.LBB33_128:
	s_cbranch_execz .LBB33_127
.LBB33_129:
	v_or_b32_e32 v0, v8, v9
	s_mov_b32 s0, exec_lo
	s_delay_alu instid0(VALU_DEP_1)
	v_cmpx_eq_u32_e32 0, v0
	s_cbranch_execz .LBB33_127
; %bb.130:
	v_mbcnt_lo_u32_b32 v0, exec_lo, 0
	s_mov_b32 s0, exec_lo
	s_delay_alu instid0(VALU_DEP_1)
	v_cmpx_eq_u32_e32 0, v0
	s_cbranch_execz .LBB33_132
; %bb.131:
	s_add_co_i32 s1, s16, s3
	s_delay_alu instid0(SALU_CYCLE_1)
	v_dual_mov_b32 v0, 0 :: v_dual_mov_b32 v1, s1
	global_atomic_min_i32 v0, v1, s[10:11] scope:SCOPE_DEV
.LBB33_132:
	s_wait_xcnt 0x0
	s_or_b32 exec_lo, exec_lo, s0
	v_dual_mov_b32 v0, 0 :: v_dual_mov_b32 v1, 1
	s_add_nc_u64 s[0:1], s[6:7], s[8:9]
	global_wb scope:SCOPE_DEV
	s_wait_storecnt 0x0
	global_store_b32 v0, v1, s[0:1] scope:SCOPE_DEV
	s_endpgm
	.section	.rodata,"a",@progbits
	.p2align	6, 0x0
	.amdhsa_kernel _ZN9rocsparseL18bsric0_9_16_kernelILi64ELi64ELi16EdEEv20rocsparse_direction_iiPKiS3_PT2_S3_PiS3_S6_21rocsparse_index_base_
		.amdhsa_group_segment_fixed_size 9472
		.amdhsa_private_segment_fixed_size 0
		.amdhsa_kernarg_size 76
		.amdhsa_user_sgpr_count 2
		.amdhsa_user_sgpr_dispatch_ptr 0
		.amdhsa_user_sgpr_queue_ptr 0
		.amdhsa_user_sgpr_kernarg_segment_ptr 1
		.amdhsa_user_sgpr_dispatch_id 0
		.amdhsa_user_sgpr_kernarg_preload_length 0
		.amdhsa_user_sgpr_kernarg_preload_offset 0
		.amdhsa_user_sgpr_private_segment_size 0
		.amdhsa_wavefront_size32 1
		.amdhsa_uses_dynamic_stack 0
		.amdhsa_enable_private_segment 0
		.amdhsa_system_sgpr_workgroup_id_x 1
		.amdhsa_system_sgpr_workgroup_id_y 0
		.amdhsa_system_sgpr_workgroup_id_z 0
		.amdhsa_system_sgpr_workgroup_info 0
		.amdhsa_system_vgpr_workitem_id 1
		.amdhsa_next_free_vgpr 97
		.amdhsa_next_free_sgpr 44
		.amdhsa_named_barrier_count 0
		.amdhsa_reserve_vcc 1
		.amdhsa_float_round_mode_32 0
		.amdhsa_float_round_mode_16_64 0
		.amdhsa_float_denorm_mode_32 3
		.amdhsa_float_denorm_mode_16_64 3
		.amdhsa_fp16_overflow 0
		.amdhsa_memory_ordered 1
		.amdhsa_forward_progress 1
		.amdhsa_inst_pref_size 32
		.amdhsa_round_robin_scheduling 0
		.amdhsa_exception_fp_ieee_invalid_op 0
		.amdhsa_exception_fp_denorm_src 0
		.amdhsa_exception_fp_ieee_div_zero 0
		.amdhsa_exception_fp_ieee_overflow 0
		.amdhsa_exception_fp_ieee_underflow 0
		.amdhsa_exception_fp_ieee_inexact 0
		.amdhsa_exception_int_div_zero 0
	.end_amdhsa_kernel
	.section	.text._ZN9rocsparseL18bsric0_9_16_kernelILi64ELi64ELi16EdEEv20rocsparse_direction_iiPKiS3_PT2_S3_PiS3_S6_21rocsparse_index_base_,"axG",@progbits,_ZN9rocsparseL18bsric0_9_16_kernelILi64ELi64ELi16EdEEv20rocsparse_direction_iiPKiS3_PT2_S3_PiS3_S6_21rocsparse_index_base_,comdat
.Lfunc_end33:
	.size	_ZN9rocsparseL18bsric0_9_16_kernelILi64ELi64ELi16EdEEv20rocsparse_direction_iiPKiS3_PT2_S3_PiS3_S6_21rocsparse_index_base_, .Lfunc_end33-_ZN9rocsparseL18bsric0_9_16_kernelILi64ELi64ELi16EdEEv20rocsparse_direction_iiPKiS3_PT2_S3_PiS3_S6_21rocsparse_index_base_
                                        ; -- End function
	.set _ZN9rocsparseL18bsric0_9_16_kernelILi64ELi64ELi16EdEEv20rocsparse_direction_iiPKiS3_PT2_S3_PiS3_S6_21rocsparse_index_base_.num_vgpr, 32
	.set _ZN9rocsparseL18bsric0_9_16_kernelILi64ELi64ELi16EdEEv20rocsparse_direction_iiPKiS3_PT2_S3_PiS3_S6_21rocsparse_index_base_.num_agpr, 0
	.set _ZN9rocsparseL18bsric0_9_16_kernelILi64ELi64ELi16EdEEv20rocsparse_direction_iiPKiS3_PT2_S3_PiS3_S6_21rocsparse_index_base_.numbered_sgpr, 44
	.set _ZN9rocsparseL18bsric0_9_16_kernelILi64ELi64ELi16EdEEv20rocsparse_direction_iiPKiS3_PT2_S3_PiS3_S6_21rocsparse_index_base_.num_named_barrier, 0
	.set _ZN9rocsparseL18bsric0_9_16_kernelILi64ELi64ELi16EdEEv20rocsparse_direction_iiPKiS3_PT2_S3_PiS3_S6_21rocsparse_index_base_.private_seg_size, 0
	.set _ZN9rocsparseL18bsric0_9_16_kernelILi64ELi64ELi16EdEEv20rocsparse_direction_iiPKiS3_PT2_S3_PiS3_S6_21rocsparse_index_base_.uses_vcc, 1
	.set _ZN9rocsparseL18bsric0_9_16_kernelILi64ELi64ELi16EdEEv20rocsparse_direction_iiPKiS3_PT2_S3_PiS3_S6_21rocsparse_index_base_.uses_flat_scratch, 0
	.set _ZN9rocsparseL18bsric0_9_16_kernelILi64ELi64ELi16EdEEv20rocsparse_direction_iiPKiS3_PT2_S3_PiS3_S6_21rocsparse_index_base_.has_dyn_sized_stack, 0
	.set _ZN9rocsparseL18bsric0_9_16_kernelILi64ELi64ELi16EdEEv20rocsparse_direction_iiPKiS3_PT2_S3_PiS3_S6_21rocsparse_index_base_.has_recursion, 0
	.set _ZN9rocsparseL18bsric0_9_16_kernelILi64ELi64ELi16EdEEv20rocsparse_direction_iiPKiS3_PT2_S3_PiS3_S6_21rocsparse_index_base_.has_indirect_call, 0
	.section	.AMDGPU.csdata,"",@progbits
; Kernel info:
; codeLenInByte = 4016
; TotalNumSgprs: 46
; NumVgprs: 32
; ScratchSize: 0
; MemoryBound: 0
; FloatMode: 240
; IeeeMode: 1
; LDSByteSize: 9472 bytes/workgroup (compile time only)
; SGPRBlocks: 0
; VGPRBlocks: 6
; NumSGPRsForWavesPerEU: 46
; NumVGPRsForWavesPerEU: 97
; NamedBarCnt: 0
; Occupancy: 9
; WaveLimiterHint : 1
; COMPUTE_PGM_RSRC2:SCRATCH_EN: 0
; COMPUTE_PGM_RSRC2:USER_SGPR: 2
; COMPUTE_PGM_RSRC2:TRAP_HANDLER: 0
; COMPUTE_PGM_RSRC2:TGID_X_EN: 1
; COMPUTE_PGM_RSRC2:TGID_Y_EN: 0
; COMPUTE_PGM_RSRC2:TGID_Z_EN: 0
; COMPUTE_PGM_RSRC2:TIDIG_COMP_CNT: 1
	.section	.text._ZN9rocsparseL19bsric0_17_32_kernelILi64ELi64ELi32EdEEv20rocsparse_direction_iiPKiS3_PT2_S3_PiS3_S6_21rocsparse_index_base_,"axG",@progbits,_ZN9rocsparseL19bsric0_17_32_kernelILi64ELi64ELi32EdEEv20rocsparse_direction_iiPKiS3_PT2_S3_PiS3_S6_21rocsparse_index_base_,comdat
	.globl	_ZN9rocsparseL19bsric0_17_32_kernelILi64ELi64ELi32EdEEv20rocsparse_direction_iiPKiS3_PT2_S3_PiS3_S6_21rocsparse_index_base_ ; -- Begin function _ZN9rocsparseL19bsric0_17_32_kernelILi64ELi64ELi32EdEEv20rocsparse_direction_iiPKiS3_PT2_S3_PiS3_S6_21rocsparse_index_base_
	.p2align	8
	.type	_ZN9rocsparseL19bsric0_17_32_kernelILi64ELi64ELi32EdEEv20rocsparse_direction_iiPKiS3_PT2_S3_PiS3_S6_21rocsparse_index_base_,@function
_ZN9rocsparseL19bsric0_17_32_kernelILi64ELi64ELi32EdEEv20rocsparse_direction_iiPKiS3_PT2_S3_PiS3_S6_21rocsparse_index_base_: ; @_ZN9rocsparseL19bsric0_17_32_kernelILi64ELi64ELi32EdEEv20rocsparse_direction_iiPKiS3_PT2_S3_PiS3_S6_21rocsparse_index_base_
; %bb.0:
	s_load_b256 s[4:11], s[0:1], 0x28
	s_bfe_u32 s2, ttmp6, 0x4000c
	s_and_b32 s3, ttmp6, 15
	s_add_co_i32 s2, s2, 1
	s_getreg_b32 s12, hwreg(HW_REG_IB_STS2, 6, 4)
	s_mul_i32 s2, ttmp9, s2
	v_and_b32_e32 v8, 0x3ff, v0
	s_add_co_i32 s3, s3, s2
	s_cmp_eq_u32 s12, 0
	v_bfe_u32 v9, v0, 10, 10
	s_cselect_b32 s2, ttmp9, s3
	s_wait_kmcnt 0x0
	s_load_b32 s16, s[8:9], s2 offset:0x0 scale_offset
	s_wait_kmcnt 0x0
	s_ashr_i32 s17, s16, 31
	s_delay_alu instid0(SALU_CYCLE_1) | instskip(NEXT) | instid1(SALU_CYCLE_1)
	s_lshl_b64 s[8:9], s[16:17], 2
	s_add_nc_u64 s[12:13], s[4:5], s[8:9]
	s_load_b32 s17, s[12:13], 0x0
	s_load_b32 s3, s[0:1], 0x48
	s_wait_kmcnt 0x0
	s_cmp_lg_u32 s17, -1
	s_cbranch_scc0 .LBB34_118
; %bb.1:
	s_clause 0x1
	s_load_b128 s[12:15], s[0:1], 0x10
	s_load_b64 s[18:19], s[0:1], 0x20
	v_dual_lshlrev_b32 v0, 1, v9 :: v_dual_lshlrev_b32 v12, 3, v9
	s_wait_kmcnt 0x0
	s_add_nc_u64 s[20:21], s[12:13], s[8:9]
	s_load_b32 s2, s[20:21], 0x0
	s_wait_kmcnt 0x0
	s_sub_co_i32 s30, s2, s3
	s_mov_b32 s2, exec_lo
	v_add3_u32 v0, v0, v8, s30
	s_delay_alu instid0(VALU_DEP_1)
	v_cmpx_ge_i32_e64 s17, v0
	s_cbranch_execz .LBB34_4
; %bb.2:
	v_lshlrev_b32_e32 v1, 2, v8
	s_mov_b32 s20, 0
	s_delay_alu instid0(VALU_DEP_1)
	v_add3_u32 v1, v12, v1, 0x6500
.LBB34_3:                               ; =>This Inner Loop Header: Depth=1
	global_load_b32 v2, v0, s[14:15] scale_offset
	s_wait_xcnt 0x0
	v_add_nc_u32_e32 v0, 64, v0
	s_delay_alu instid0(VALU_DEP_1)
	v_cmp_lt_i32_e32 vcc_lo, s17, v0
	s_or_b32 s20, vcc_lo, s20
	s_wait_loadcnt 0x0
	v_subrev_nc_u32_e32 v2, s3, v2
	ds_store_b32 v1, v2
	v_add_nc_u32_e32 v1, 0x100, v1
	s_and_not1_b32 exec_lo, exec_lo, s20
	s_cbranch_execnz .LBB34_3
.LBB34_4:
	s_or_b32 exec_lo, exec_lo, s2
	v_mul_u32_u24_e32 v10, 0x108, v9
	v_lshlrev_b32_e32 v11, 3, v8
	s_mov_b32 s2, exec_lo
	v_cmpx_gt_u32_e32 32, v8
	s_cbranch_execz .LBB34_7
; %bb.5:
	v_mov_b64_e32 v[0:1], 0
	v_add_nc_u32_e32 v2, -2, v8
	v_add3_u32 v3, v10, v11, 0x4200
	s_mov_b32 s20, 0
.LBB34_6:                               ; =>This Inner Loop Header: Depth=1
	s_delay_alu instid0(VALU_DEP_2) | instskip(SKIP_4) | instid1(SALU_CYCLE_1)
	v_add_nc_u32_e32 v2, 2, v2
	ds_store_b64 v3, v[0:1]
	v_add_nc_u32_e32 v3, 16, v3
	v_cmp_lt_u32_e32 vcc_lo, 29, v2
	s_or_b32 s20, vcc_lo, s20
	s_and_not1_b32 exec_lo, exec_lo, s20
	s_cbranch_execnz .LBB34_6
.LBB34_7:
	s_or_b32 exec_lo, exec_lo, s2
	s_clause 0x1
	s_load_b32 s28, s[0:1], 0x8
	s_load_b32 s29, s[0:1], 0x0
	s_cmp_ge_i32 s30, s17
	s_wait_dscnt 0x0
	s_wait_kmcnt 0x0
	v_cmp_gt_i32_e64 s0, s28, v8
	s_cbranch_scc1 .LBB34_79
; %bb.8:
	v_mad_u32 v0, s28, s30, v9
	v_dual_mov_b32 v21, 0 :: v_dual_bitop2_b32 v1, v8, v9 bitop3:0x54
	v_mul_lo_u32 v14, s28, v9
	v_mul_lo_u32 v16, v8, s28
	v_mad_u32_u24 v15, 0x108, v9, v11
	s_cmp_eq_u32 s29, 0
	s_movk_i32 s20, 0x2100
	v_cmp_ne_u32_e64 s2, 0, v1
	s_cselect_b32 s31, -1, 0
	s_cmp_lg_u32 s29, 0
	v_mul_lo_u32 v19, s28, v0
	v_mov_b64_e32 v[0:1], 0
	v_cmp_gt_i32_e64 s1, s28, v9
	v_mad_u32_u24 v13, 0x108, v9, s20
	v_add_nc_u32_e32 v17, 0x4200, v15
	v_mad_u32_u24 v18, 0x108, v8, s20
	v_add_nc_u32_e32 v20, 0x2100, v15
	s_cselect_b32 s33, -1, 0
	s_cmp_gt_i32 s28, 0
	s_mul_i32 s35, s28, s28
	s_cselect_b32 s34, -1, 0
	s_lshl_b32 s36, s28, 1
	s_mov_b32 s20, s30
	s_branch .LBB34_10
.LBB34_9:                               ;   in Loop: Header=BB34_10 Depth=1
	s_or_b32 exec_lo, exec_lo, s22
	s_add_co_i32 s20, s20, 1
	v_add_nc_u32_e32 v19, s35, v19
	s_cmp_ge_i32 s20, s17
	global_wb scope:SCOPE_DEV
	s_wait_storecnt 0x0
	global_inv scope:SCOPE_DEV
	s_cselect_b32 s21, -1, 0
	s_delay_alu instid0(SALU_CYCLE_1)
	s_and_b32 vcc_lo, exec_lo, s21
	s_cbranch_vccnz .LBB34_79
.LBB34_10:                              ; =>This Loop Header: Depth=1
                                        ;     Child Loop BB34_14 Depth 2
                                        ;     Child Loop BB34_26 Depth 2
	;; [unrolled: 1-line block ×4, first 2 shown]
                                        ;       Child Loop BB34_43 Depth 3
                                        ;         Child Loop BB34_48 Depth 4
                                        ;     Child Loop BB34_57 Depth 2
                                        ;       Child Loop BB34_64 Depth 3
                                        ;       Child Loop BB34_68 Depth 3
                                        ;     Child Loop BB34_73 Depth 2
	s_ashr_i32 s21, s20, 31
	s_delay_alu instid0(SALU_CYCLE_1) | instskip(NEXT) | instid1(SALU_CYCLE_1)
	s_lshl_b64 s[22:23], s[20:21], 2
	s_add_nc_u64 s[22:23], s[14:15], s[22:23]
	s_load_b32 s37, s[22:23], 0x0
	s_wait_kmcnt 0x0
	s_sub_co_i32 s24, s37, s3
	s_delay_alu instid0(SALU_CYCLE_1) | instskip(SKIP_2) | instid1(SALU_CYCLE_1)
	s_ashr_i32 s25, s24, 31
	s_wait_xcnt 0x0
	s_lshl_b64 s[22:23], s[24:25], 2
	s_add_nc_u64 s[26:27], s[4:5], s[22:23]
	s_load_b32 s25, s[26:27], 0x0
	s_wait_kmcnt 0x0
	s_cmp_eq_u32 s25, -1
	s_cbranch_scc1 .LBB34_78
; %bb.11:                               ;   in Loop: Header=BB34_10 Depth=1
	s_wait_xcnt 0x0
	s_add_nc_u64 s[26:27], s[12:13], s[22:23]
	s_mul_i32 s21, s20, s28
	s_load_b32 s26, s[26:27], 0x0
	s_wait_xcnt 0x0
	s_and_saveexec_b32 s27, s0
	s_cbranch_execz .LBB34_24
; %bb.12:                               ;   in Loop: Header=BB34_10 Depth=1
	v_dual_mov_b32 v4, v15 :: v_dual_mov_b32 v5, v8
	s_mov_b32 s38, 0
	s_branch .LBB34_14
.LBB34_13:                              ;   in Loop: Header=BB34_14 Depth=2
	s_wait_xcnt 0x0
	s_or_b32 exec_lo, exec_lo, s40
	v_add_nc_u32_e32 v5, 2, v5
	s_wait_loadcnt 0x0
	ds_store_b64 v4, v[2:3] offset:8448
	ds_store_b64 v4, v[0:1]
	v_add_nc_u32_e32 v4, 16, v4
	v_cmp_le_i32_e32 vcc_lo, s28, v5
	s_or_b32 s38, vcc_lo, s38
	s_delay_alu instid0(SALU_CYCLE_1)
	s_and_not1_b32 exec_lo, exec_lo, s38
	s_cbranch_execz .LBB34_24
.LBB34_14:                              ;   Parent Loop BB34_10 Depth=1
                                        ; =>  This Inner Loop Header: Depth=2
	s_mov_b32 s40, -1
	s_and_b32 vcc_lo, exec_lo, s33
	s_mov_b32 s39, 0
                                        ; implicit-def: $vgpr6
	s_cbranch_vccz .LBB34_19
; %bb.15:                               ;   in Loop: Header=BB34_14 Depth=2
	s_mov_b32 s40, 0
                                        ; implicit-def: $vgpr6
	s_and_saveexec_b32 s41, s1
	s_delay_alu instid0(SALU_CYCLE_1)
	s_xor_b32 s41, exec_lo, s41
; %bb.16:                               ;   in Loop: Header=BB34_14 Depth=2
	v_add_nc_u32_e32 v2, s21, v5
	s_mov_b32 s39, exec_lo
	s_delay_alu instid0(VALU_DEP_1)
	v_mad_u32 v6, v2, s28, v9
; %bb.17:                               ;   in Loop: Header=BB34_14 Depth=2
	s_or_b32 exec_lo, exec_lo, s41
	s_delay_alu instid0(SALU_CYCLE_1)
	s_and_b32 vcc_lo, exec_lo, s40
	s_cbranch_vccnz .LBB34_20
.LBB34_18:                              ;   in Loop: Header=BB34_14 Depth=2
	v_mov_b64_e32 v[2:3], 0
	s_and_saveexec_b32 s40, s39
	s_cbranch_execz .LBB34_13
	s_branch .LBB34_23
.LBB34_19:                              ;   in Loop: Header=BB34_14 Depth=2
	s_and_b32 vcc_lo, exec_lo, s40
	s_cbranch_vccz .LBB34_18
.LBB34_20:                              ;   in Loop: Header=BB34_14 Depth=2
                                        ; implicit-def: $vgpr6
	s_and_saveexec_b32 s40, s1
; %bb.21:                               ;   in Loop: Header=BB34_14 Depth=2
	v_add_nc_u32_e32 v6, v19, v5
	s_or_b32 s39, s39, exec_lo
; %bb.22:                               ;   in Loop: Header=BB34_14 Depth=2
	s_or_b32 exec_lo, exec_lo, s40
	v_mov_b64_e32 v[2:3], 0
	s_and_saveexec_b32 s40, s39
	s_cbranch_execz .LBB34_13
.LBB34_23:                              ;   in Loop: Header=BB34_14 Depth=2
	global_load_b64 v[2:3], v6, s[18:19] scale_offset
	s_branch .LBB34_13
.LBB34_24:                              ;   in Loop: Header=BB34_10 Depth=1
	s_or_b32 exec_lo, exec_lo, s27
	ds_load_b32 v2, v21 offset:25856
	s_wait_kmcnt 0x0
	s_sub_co_i32 s26, s26, s3
	s_delay_alu instid0(SALU_CYCLE_1) | instskip(SKIP_4) | instid1(SALU_CYCLE_1)
	s_cmp_le_i32 s26, s25
	s_cselect_b32 s27, -1, 0
	s_wait_dscnt 0x0
	v_cmp_ge_i32_e32 vcc_lo, s24, v2
	s_and_b32 s27, s27, vcc_lo
	s_and_not1_b32 vcc_lo, exec_lo, s27
	s_mov_b32 s27, 0
	s_cbranch_vccnz .LBB34_36
; %bb.25:                               ;   in Loop: Header=BB34_10 Depth=1
	s_mov_b32 s38, 0
	s_mov_b32 s39, 0
.LBB34_26:                              ;   Parent Loop BB34_10 Depth=1
                                        ; =>  This Inner Loop Header: Depth=2
	s_ashr_i32 s27, s26, 31
	s_lshl_b32 s42, s39, 2
	s_lshl_b64 s[40:41], s[26:27], 2
	v_mov_b32_e32 v2, s42
	s_add_nc_u64 s[40:41], s[14:15], s[40:41]
	s_mov_b32 s43, -1
	s_load_b32 s27, s[40:41], 0x0
                                        ; implicit-def: $sgpr42
                                        ; implicit-def: $sgpr41
	ds_load_b32 v2, v2 offset:25856
	s_wait_kmcnt 0x0
	s_sub_co_i32 s44, s27, s3
                                        ; implicit-def: $sgpr27
	s_wait_dscnt 0x0
	s_wait_xcnt 0x0
	v_readfirstlane_b32 s40, v2
	v_cmp_ge_i32_e32 vcc_lo, s44, v2
	s_cbranch_vccz .LBB34_32
; %bb.27:                               ;   in Loop: Header=BB34_26 Depth=2
	s_cmp_le_i32 s44, s40
                                        ; implicit-def: $sgpr27
                                        ; implicit-def: $sgpr42
                                        ; implicit-def: $sgpr41
	s_cbranch_scc0 .LBB34_29
; %bb.28:                               ;   in Loop: Header=BB34_26 Depth=2
	s_add_co_i32 s27, s39, s30
	s_lshl_b32 s41, s38, 2
	s_mul_i32 s27, s27, s35
	s_delay_alu instid0(SALU_CYCLE_1)
	v_dual_mov_b32 v2, s41 :: v_dual_mov_b32 v3, s27
	s_mul_i32 s41, s26, s35
	s_add_co_i32 s42, s26, 1
	v_mov_b32_e32 v4, s41
	s_add_co_i32 s41, s39, 1
	s_add_co_i32 s27, s38, 1
	s_mov_b32 s43, 0
	ds_store_2addr_stride64_b32 v2, v4, v3 offset0:99 offset1:100
.LBB34_29:                              ;   in Loop: Header=BB34_26 Depth=2
	s_and_not1_b32 vcc_lo, exec_lo, s43
	s_cbranch_vccnz .LBB34_31
; %bb.30:                               ;   in Loop: Header=BB34_26 Depth=2
	s_add_co_i32 s41, s39, 1
	s_mov_b32 s27, s38
	s_mov_b32 s42, s26
.LBB34_31:                              ;   in Loop: Header=BB34_26 Depth=2
	s_mov_b32 s43, 0
.LBB34_32:                              ;   in Loop: Header=BB34_26 Depth=2
	s_delay_alu instid0(SALU_CYCLE_1)
	s_and_not1_b32 vcc_lo, exec_lo, s43
	s_cbranch_vccnz .LBB34_34
; %bb.33:                               ;   in Loop: Header=BB34_26 Depth=2
	s_add_co_i32 s42, s26, 1
	s_mov_b32 s41, s39
	s_mov_b32 s27, s38
.LBB34_34:                              ;   in Loop: Header=BB34_26 Depth=2
	s_cmp_le_i32 s42, s25
	s_cselect_b32 s26, -1, 0
	s_cmp_le_i32 s40, s24
	s_cselect_b32 s38, -1, 0
	s_delay_alu instid0(SALU_CYCLE_1) | instskip(NEXT) | instid1(SALU_CYCLE_1)
	s_and_b32 s26, s26, s38
	s_and_b32 vcc_lo, exec_lo, s26
	s_cbranch_vccz .LBB34_36
; %bb.35:                               ;   in Loop: Header=BB34_26 Depth=2
	s_mov_b32 s38, s27
	s_mov_b32 s26, s42
	;; [unrolled: 1-line block ×3, first 2 shown]
	s_branch .LBB34_26
.LBB34_36:                              ;   in Loop: Header=BB34_10 Depth=1
	s_add_nc_u64 s[22:23], s[6:7], s[22:23]
	s_wait_dscnt 0x0
.LBB34_37:                              ;   Parent Loop BB34_10 Depth=1
                                        ; =>  This Inner Loop Header: Depth=2
	global_load_b32 v2, v21, s[22:23] scope:SCOPE_DEV
	s_wait_loadcnt 0x0
	v_cmp_eq_u32_e32 vcc_lo, 0, v2
	s_cbranch_vccnz .LBB34_37
; %bb.38:                               ;   in Loop: Header=BB34_10 Depth=1
	s_cmp_lt_i32 s27, 2
	global_inv scope:SCOPE_DEV
	s_cbranch_scc1 .LBB34_54
; %bb.39:                               ;   in Loop: Header=BB34_10 Depth=1
	s_wait_xcnt 0x0
	s_add_co_i32 s22, s27, -2
	s_mov_b32 s23, 0
	s_branch .LBB34_41
.LBB34_40:                              ;   in Loop: Header=BB34_41 Depth=2
	s_or_b32 exec_lo, exec_lo, s24
	s_add_co_i32 s24, s23, 1
	s_cmp_eq_u32 s23, s22
	s_mov_b32 s23, s24
	s_cbranch_scc1 .LBB34_54
.LBB34_41:                              ;   Parent Loop BB34_10 Depth=1
                                        ; =>  This Loop Header: Depth=2
                                        ;       Child Loop BB34_43 Depth 3
                                        ;         Child Loop BB34_48 Depth 4
	s_and_saveexec_b32 s24, s0
	s_cbranch_execz .LBB34_40
; %bb.42:                               ;   in Loop: Header=BB34_41 Depth=2
	s_lshl_b32 s26, s23, 2
	s_delay_alu instid0(SALU_CYCLE_1)
	v_dual_mov_b32 v26, v8 :: v_dual_mov_b32 v2, s26
	s_mov_b32 s26, 0
	ds_load_2addr_stride64_b32 v[2:3], v2 offset0:99 offset1:100
	s_wait_dscnt 0x0
	v_dual_add_nc_u32 v22, v3, v14 :: v_dual_add_nc_u32 v23, v9, v3
	v_add_nc_u32_e32 v24, v8, v2
	v_add_nc_u32_e32 v25, v16, v2
.LBB34_43:                              ;   Parent Loop BB34_10 Depth=1
                                        ;     Parent Loop BB34_41 Depth=2
                                        ; =>    This Loop Header: Depth=3
                                        ;         Child Loop BB34_48 Depth 4
	v_mov_b64_e32 v[2:3], 0
	s_delay_alu instid0(VALU_DEP_3)
	v_dual_mov_b32 v27, v24 :: v_dual_mov_b32 v28, v23
	s_mov_b32 s27, 0
	s_and_b32 vcc_lo, exec_lo, s33
	s_mov_b32 s38, -1
                                        ; implicit-def: $vgpr4_vgpr5
	s_cbranch_vccz .LBB34_48
	s_branch .LBB34_45
.LBB34_44:                              ;   in Loop: Header=BB34_48 Depth=4
	s_delay_alu instid0(VALU_DEP_2)
	v_mov_b64_e32 v[2:3], v[4:5]
	s_and_b32 vcc_lo, exec_lo, s33
	s_mov_b32 s38, -1
                                        ; implicit-def: $vgpr4_vgpr5
	s_cbranch_vccz .LBB34_48
.LBB34_45:                              ;   in Loop: Header=BB34_43 Depth=3
	global_load_b64 v[4:5], v27, s[18:19] scale_offset
	v_mov_b64_e32 v[6:7], 0
	s_wait_xcnt 0x0
	s_and_saveexec_b32 s38, s1
	s_cbranch_execz .LBB34_47
; %bb.46:                               ;   in Loop: Header=BB34_43 Depth=3
	global_load_b64 v[6:7], v28, s[18:19] scale_offset
.LBB34_47:                              ;   in Loop: Header=BB34_43 Depth=3
	s_wait_xcnt 0x0
	s_or_b32 exec_lo, exec_lo, s38
	s_wait_loadcnt 0x0
	v_fma_f64 v[4:5], v[4:5], v[6:7], v[2:3]
	s_mov_b32 s38, 0
.LBB34_48:                              ;   Parent Loop BB34_10 Depth=1
                                        ;     Parent Loop BB34_41 Depth=2
                                        ;       Parent Loop BB34_43 Depth=3
                                        ; =>      This Inner Loop Header: Depth=4
	s_delay_alu instid0(SALU_CYCLE_1)
	s_and_b32 vcc_lo, exec_lo, s38
	s_cbranch_vccz .LBB34_52
; %bb.49:                               ;   in Loop: Header=BB34_48 Depth=4
	v_add_nc_u32_e32 v4, s27, v25
	v_mov_b64_e32 v[6:7], 0
	global_load_b64 v[4:5], v4, s[18:19] scale_offset
	s_wait_xcnt 0x0
	s_and_saveexec_b32 s38, s1
	s_cbranch_execz .LBB34_51
; %bb.50:                               ;   in Loop: Header=BB34_48 Depth=4
	v_add_nc_u32_e32 v6, s27, v22
	global_load_b64 v[6:7], v6, s[18:19] scale_offset
.LBB34_51:                              ;   in Loop: Header=BB34_48 Depth=4
	s_wait_xcnt 0x0
	s_or_b32 exec_lo, exec_lo, s38
	s_wait_loadcnt 0x0
	v_fmac_f64_e32 v[2:3], v[4:5], v[6:7]
	s_delay_alu instid0(VALU_DEP_1)
	v_mov_b64_e32 v[4:5], v[2:3]
.LBB34_52:                              ;   in Loop: Header=BB34_48 Depth=4
	v_dual_add_nc_u32 v28, s28, v28 :: v_dual_add_nc_u32 v27, s28, v27
	s_add_co_i32 s27, s27, 1
	s_delay_alu instid0(SALU_CYCLE_1)
	s_cmp_eq_u32 s28, s27
	s_cbranch_scc0 .LBB34_44
; %bb.53:                               ;   in Loop: Header=BB34_43 Depth=3
	v_lshl_add_u32 v6, v26, 3, v10
	v_dual_add_nc_u32 v26, 2, v26 :: v_dual_add_nc_u32 v25, s36, v25
	v_add_nc_u32_e32 v24, 2, v24
	ds_load_b64 v[2:3], v6
	v_cmp_le_i32_e32 vcc_lo, s28, v26
	s_or_b32 s26, vcc_lo, s26
	s_wait_dscnt 0x0
	v_add_f64_e32 v[2:3], v[4:5], v[2:3]
	ds_store_b64 v6, v[2:3]
	s_and_not1_b32 exec_lo, exec_lo, s26
	s_cbranch_execnz .LBB34_43
	s_branch .LBB34_40
.LBB34_54:                              ;   in Loop: Header=BB34_10 Depth=1
	s_and_not1_b32 vcc_lo, exec_lo, s34
	s_wait_loadcnt_dscnt 0x0
	s_cbranch_vccnz .LBB34_69
; %bb.55:                               ;   in Loop: Header=BB34_10 Depth=1
	v_mov_b32_e32 v22, v18
	s_wait_xcnt 0x0
	s_mul_i32 s22, s35, s25
	s_mov_b32 s23, 0
	s_mov_b32 s24, s22
	s_branch .LBB34_57
.LBB34_56:                              ;   in Loop: Header=BB34_57 Depth=2
	s_or_b32 exec_lo, exec_lo, s25
	v_add_nc_u32_e32 v22, 8, v22
	s_add_co_i32 s23, s23, 1
	s_add_co_i32 s24, s24, 1
	s_cmp_eq_u32 s23, s28
	s_wait_dscnt 0x0
	s_cbranch_scc1 .LBB34_69
.LBB34_57:                              ;   Parent Loop BB34_10 Depth=1
                                        ; =>  This Loop Header: Depth=2
                                        ;       Child Loop BB34_64 Depth 3
                                        ;       Child Loop BB34_68 Depth 3
	s_mul_i32 s25, s23, s28
	v_lshl_add_u32 v23, s23, 3, v13
	s_add_co_i32 s25, s25, s22
	s_delay_alu instid0(SALU_CYCLE_1) | instskip(NEXT) | instid1(SALU_CYCLE_1)
	s_add_co_i32 s26, s25, s23
	v_mov_b32_e32 v2, s26
	global_load_b64 v[4:5], v2, s[18:19] scale_offset
	s_wait_xcnt 0x0
	ds_load_b64 v[2:3], v23
	s_wait_loadcnt 0x0
	v_cmp_neq_f64_e32 vcc_lo, 0, v[4:5]
	v_cndmask_b32_e32 v5, 0x3ff00000, v5, vcc_lo
	v_cndmask_b32_e32 v4, 0, v4, vcc_lo
	s_nor_b32 s27, vcc_lo, s2
	s_delay_alu instid0(SALU_CYCLE_1)
	s_and_saveexec_b32 s26, s27
	s_cbranch_execz .LBB34_61
; %bb.58:                               ;   in Loop: Header=BB34_57 Depth=2
	v_mbcnt_lo_u32_b32 v4, exec_lo, 0
	s_mov_b32 s27, exec_lo
	s_delay_alu instid0(VALU_DEP_1)
	v_cmpx_eq_u32_e32 0, v4
	s_cbranch_execz .LBB34_60
; %bb.59:                               ;   in Loop: Header=BB34_57 Depth=2
	v_mov_b32_e32 v4, s37
	global_atomic_min_i32 v21, v4, s[10:11] scope:SCOPE_DEV
.LBB34_60:                              ;   in Loop: Header=BB34_57 Depth=2
	s_wait_xcnt 0x0
	s_or_b32 exec_lo, exec_lo, s27
	v_mov_b64_e32 v[4:5], 1.0
.LBB34_61:                              ;   in Loop: Header=BB34_57 Depth=2
	s_or_b32 exec_lo, exec_lo, s26
	v_lshl_add_u32 v6, s23, 3, v10
	s_cmp_eq_u32 s23, 0
	ds_load_b64 v[6:7], v6
	s_cbranch_scc1 .LBB34_66
; %bb.62:                               ;   in Loop: Header=BB34_57 Depth=2
	v_mov_b32_e32 v24, v13
	s_mov_b32 s26, 0
	s_mov_b32 s27, s23
	;; [unrolled: 1-line block ×3, first 2 shown]
	s_branch .LBB34_64
.LBB34_63:                              ;   in Loop: Header=BB34_64 Depth=3
	s_wait_xcnt 0x0
	v_mov_b32_e32 v25, s39
	ds_load_b64 v[28:29], v24
	v_add_nc_u32_e32 v24, 8, v24
	s_add_co_i32 s27, s27, -1
	s_add_co_i32 s26, s26, 1
	global_load_b64 v[26:27], v25, s[18:19] scale_offset
	s_add_co_i32 s38, s38, s28
	s_cmp_eq_u32 s27, 0
	s_wait_loadcnt_dscnt 0x0
	v_fmac_f64_e32 v[6:7], v[26:27], v[28:29]
	s_cbranch_scc1 .LBB34_66
.LBB34_64:                              ;   Parent Loop BB34_10 Depth=1
                                        ;     Parent Loop BB34_57 Depth=2
                                        ; =>    This Inner Loop Header: Depth=3
	s_and_not1_b32 vcc_lo, exec_lo, s31
	s_mov_b32 s39, s38
	s_cbranch_vccnz .LBB34_63
; %bb.65:                               ;   in Loop: Header=BB34_64 Depth=3
	s_add_co_i32 s39, s26, s25
	s_branch .LBB34_63
.LBB34_66:                              ;   in Loop: Header=BB34_57 Depth=2
	s_wait_dscnt 0x0
	s_delay_alu instid0(VALU_DEP_1) | instskip(NEXT) | instid1(VALU_DEP_1)
	v_add_f64_e64 v[2:3], v[2:3], -v[6:7]
	v_div_scale_f64 v[6:7], null, v[4:5], v[4:5], v[2:3]
	v_div_scale_f64 v[28:29], vcc_lo, v[2:3], v[4:5], v[2:3]
	s_wait_xcnt 0x0
	s_delay_alu instid0(VALU_DEP_2) | instskip(SKIP_1) | instid1(TRANS32_DEP_1)
	v_rcp_f64_e32 v[24:25], v[6:7]
	v_nop
	v_fma_f64 v[26:27], -v[6:7], v[24:25], 1.0
	s_delay_alu instid0(VALU_DEP_1) | instskip(NEXT) | instid1(VALU_DEP_1)
	v_fmac_f64_e32 v[24:25], v[24:25], v[26:27]
	v_fma_f64 v[26:27], -v[6:7], v[24:25], 1.0
	s_delay_alu instid0(VALU_DEP_1) | instskip(NEXT) | instid1(VALU_DEP_1)
	v_fmac_f64_e32 v[24:25], v[24:25], v[26:27]
	v_mul_f64_e32 v[26:27], v[28:29], v[24:25]
	s_delay_alu instid0(VALU_DEP_1) | instskip(NEXT) | instid1(VALU_DEP_1)
	v_fma_f64 v[6:7], -v[6:7], v[26:27], v[28:29]
	v_div_fmas_f64 v[6:7], v[6:7], v[24:25], v[26:27]
	s_delay_alu instid0(VALU_DEP_1)
	v_div_fixup_f64 v[2:3], v[6:7], v[4:5], v[2:3]
	ds_store_b64 v23, v[2:3]
	s_wait_storecnt_dscnt 0x0
	s_and_saveexec_b32 s25, s0
	s_cbranch_execz .LBB34_56
; %bb.67:                               ;   in Loop: Header=BB34_57 Depth=2
	v_dual_mov_b32 v4, v22 :: v_dual_mov_b32 v5, v17
	v_mov_b32_e32 v6, v8
	s_mov_b32 s26, 0
.LBB34_68:                              ;   Parent Loop BB34_10 Depth=1
                                        ;     Parent Loop BB34_57 Depth=2
                                        ; =>    This Inner Loop Header: Depth=3
	ds_load_b64 v[24:25], v4
	ds_load_b64 v[26:27], v5
	v_add_nc_u32_e32 v6, 2, v6
	v_add_nc_u32_e32 v4, 0x210, v4
	s_wait_dscnt 0x0
	v_fmac_f64_e32 v[26:27], v[2:3], v[24:25]
	ds_store_b64 v5, v[26:27]
	v_add_nc_u32_e32 v5, 16, v5
	v_cmp_le_i32_e32 vcc_lo, s28, v6
	s_or_b32 s26, vcc_lo, s26
	s_delay_alu instid0(SALU_CYCLE_1)
	s_and_not1_b32 exec_lo, exec_lo, s26
	s_cbranch_execnz .LBB34_68
	s_branch .LBB34_56
.LBB34_69:                              ;   in Loop: Header=BB34_10 Depth=1
	s_wait_xcnt 0x0
	s_and_saveexec_b32 s22, s0
	s_cbranch_execz .LBB34_9
; %bb.70:                               ;   in Loop: Header=BB34_10 Depth=1
	v_dual_mov_b32 v4, v20 :: v_dual_mov_b32 v5, v8
	s_mov_b32 s23, 0
	s_branch .LBB34_73
.LBB34_71:                              ;   in Loop: Header=BB34_73 Depth=2
	s_wait_dscnt 0x0
	global_store_b64 v6, v[2:3], s[18:19] scale_offset
.LBB34_72:                              ;   in Loop: Header=BB34_73 Depth=2
	s_wait_xcnt 0x0
	s_or_b32 exec_lo, exec_lo, s24
	v_dual_add_nc_u32 v5, 2, v5 :: v_dual_add_nc_u32 v4, 16, v4
	s_delay_alu instid0(VALU_DEP_1) | instskip(SKIP_1) | instid1(SALU_CYCLE_1)
	v_cmp_le_i32_e32 vcc_lo, s28, v5
	s_or_b32 s23, vcc_lo, s23
	s_and_not1_b32 exec_lo, exec_lo, s23
	s_cbranch_execz .LBB34_9
.LBB34_73:                              ;   Parent Loop BB34_10 Depth=1
                                        ; =>  This Inner Loop Header: Depth=2
	s_and_saveexec_b32 s24, s1
	s_cbranch_execz .LBB34_72
; %bb.74:                               ;   in Loop: Header=BB34_73 Depth=2
	ds_load_b64 v[2:3], v4
	s_and_b32 vcc_lo, exec_lo, s33
	s_mov_b32 s25, -1
                                        ; implicit-def: $vgpr6
	s_cbranch_vccz .LBB34_76
; %bb.75:                               ;   in Loop: Header=BB34_73 Depth=2
	v_add_nc_u32_e32 v6, s21, v5
	s_mov_b32 s25, 0
	s_delay_alu instid0(VALU_DEP_1)
	v_mad_u32 v6, v6, s28, v9
.LBB34_76:                              ;   in Loop: Header=BB34_73 Depth=2
	s_and_not1_b32 vcc_lo, exec_lo, s25
	s_cbranch_vccnz .LBB34_71
; %bb.77:                               ;   in Loop: Header=BB34_73 Depth=2
	v_add_nc_u32_e32 v6, v19, v5
	s_branch .LBB34_71
.LBB34_78:                              ;   in Loop: Header=BB34_10 Depth=1
                                        ; implicit-def: $sgpr20
                                        ; implicit-def: $vgpr19
	s_cbranch_execz .LBB34_10
.LBB34_79:
	v_cmp_gt_i32_e64 s0, s28, v8
	s_and_saveexec_b32 s2, s0
	s_cbranch_execz .LBB34_92
; %bb.80:
	s_mul_i32 s4, s17, s28
	v_cmp_gt_i32_e64 s1, s28, v9
	v_dual_add_nc_u32 v0, s4, v9 :: v_dual_mov_b32 v4, v8
	v_add3_u32 v3, v10, v11, 0x2100
	s_cmp_lg_u32 s29, 0
	s_mov_b32 s5, 0
	s_delay_alu instid0(VALU_DEP_2)
	v_mul_lo_u32 v2, v0, s28
	s_cselect_b32 s12, -1, 0
	s_branch .LBB34_82
.LBB34_81:                              ;   in Loop: Header=BB34_82 Depth=1
	s_wait_xcnt 0x0
	s_or_b32 exec_lo, exec_lo, s14
	v_add_nc_u32_e32 v4, 2, v4
	s_wait_loadcnt 0x0
	ds_store_b64 v3, v[0:1]
	v_add_nc_u32_e32 v3, 16, v3
	v_cmp_le_i32_e32 vcc_lo, s28, v4
	s_or_b32 s5, vcc_lo, s5
	s_delay_alu instid0(SALU_CYCLE_1)
	s_and_not1_b32 exec_lo, exec_lo, s5
	s_cbranch_execz .LBB34_92
.LBB34_82:                              ; =>This Inner Loop Header: Depth=1
	s_and_b32 vcc_lo, exec_lo, s12
	s_cbranch_vccz .LBB34_89
; %bb.83:                               ;   in Loop: Header=BB34_82 Depth=1
	s_mov_b32 s14, 0
	s_mov_b32 s13, 0
                                        ; implicit-def: $vgpr5
	s_and_saveexec_b32 s15, s1
	s_delay_alu instid0(SALU_CYCLE_1)
	s_xor_b32 s15, exec_lo, s15
; %bb.84:                               ;   in Loop: Header=BB34_82 Depth=1
	v_add_nc_u32_e32 v0, s4, v4
	s_mov_b32 s13, exec_lo
	s_delay_alu instid0(VALU_DEP_1)
	v_mad_u32 v5, v0, s28, v9
; %bb.85:                               ;   in Loop: Header=BB34_82 Depth=1
	s_or_b32 exec_lo, exec_lo, s15
	s_delay_alu instid0(SALU_CYCLE_1)
	s_and_b32 vcc_lo, exec_lo, s14
	s_cbranch_vccz .LBB34_90
.LBB34_86:                              ;   in Loop: Header=BB34_82 Depth=1
                                        ; implicit-def: $vgpr5
	s_and_saveexec_b32 s14, s1
; %bb.87:                               ;   in Loop: Header=BB34_82 Depth=1
	s_delay_alu instid0(VALU_DEP_1)
	v_add_nc_u32_e32 v5, v2, v4
	s_or_b32 s13, s13, exec_lo
; %bb.88:                               ;   in Loop: Header=BB34_82 Depth=1
	s_or_b32 exec_lo, exec_lo, s14
	v_mov_b64_e32 v[0:1], 0
	s_and_saveexec_b32 s14, s13
	s_cbranch_execz .LBB34_81
	s_branch .LBB34_91
.LBB34_89:                              ;   in Loop: Header=BB34_82 Depth=1
	s_mov_b32 s13, 0
                                        ; implicit-def: $vgpr5
	s_cbranch_execnz .LBB34_86
.LBB34_90:                              ;   in Loop: Header=BB34_82 Depth=1
	v_mov_b64_e32 v[0:1], 0
	s_and_saveexec_b32 s14, s13
	s_cbranch_execz .LBB34_81
.LBB34_91:                              ;   in Loop: Header=BB34_82 Depth=1
	global_load_b64 v[0:1], v5, s[18:19] scale_offset
	s_branch .LBB34_81
.LBB34_92:
	s_or_b32 exec_lo, exec_lo, s2
	s_cmp_lt_i32 s28, 1
	s_wait_loadcnt_dscnt 0x0
	s_cbranch_scc1 .LBB34_105
; %bb.93:
	s_movk_i32 s2, 0x108
	s_movk_i32 s1, 0x4200
	v_mad_u32_u24 v4, v9, s2, 0x2100
	v_mad_u32_u24 v5, 0x108, v9, s1
	v_or_b32_e32 v0, v8, v9
	v_mad_u32_u24 v13, v8, s2, 0x2100
	s_mov_b32 s2, 0
	v_dual_add_nc_u32 v6, v4, v12 :: v_dual_mov_b32 v14, 0
	v_add_nc_u32_e32 v7, v5, v12
	v_cmp_ne_u32_e64 s1, 0, v0
	v_add3_u32 v12, v10, v11, 0x4200
	s_add_co_i32 s4, s16, s3
	s_branch .LBB34_95
.LBB34_94:                              ;   in Loop: Header=BB34_95 Depth=1
	s_or_b32 exec_lo, exec_lo, s5
	v_add_nc_u32_e32 v13, 8, v13
	s_add_co_i32 s2, s2, 1
	s_wait_storecnt_dscnt 0x0
	s_cmp_eq_u32 s2, s28
	s_cbranch_scc1 .LBB34_105
.LBB34_95:                              ; =>This Loop Header: Depth=1
                                        ;     Child Loop BB34_104 Depth 2
	s_mov_b32 s5, exec_lo
	v_cmpx_eq_u32_e64 s2, v9
	s_cbranch_execz .LBB34_97
; %bb.96:                               ;   in Loop: Header=BB34_95 Depth=1
	ds_load_b64 v[0:1], v6
	ds_load_b64 v[2:3], v7
	s_wait_dscnt 0x0
	v_add_f64_e64 v[0:1], v[0:1], -v[2:3]
	s_delay_alu instid0(VALU_DEP_1) | instskip(SKIP_1) | instid1(VALU_DEP_1)
	v_cmp_gt_f64_e32 vcc_lo, 0, v[0:1]
	v_xor_b32_e32 v2, 0x80000000, v1
	v_cndmask_b32_e32 v1, v1, v2, vcc_lo
	s_delay_alu instid0(VALU_DEP_1) | instskip(SKIP_1) | instid1(VALU_DEP_1)
	v_cmp_gt_f64_e32 vcc_lo, 0x10000000, v[0:1]
	v_cndmask_b32_e64 v2, 0, 0x100, vcc_lo
	v_ldexp_f64 v[0:1], v[0:1], v2
	s_delay_alu instid0(VALU_DEP_1) | instskip(SKIP_1) | instid1(TRANS32_DEP_1)
	v_rsq_f64_e32 v[2:3], v[0:1]
	v_nop
	v_mul_f64_e32 v[16:17], v[0:1], v[2:3]
	v_mul_f64_e32 v[2:3], 0.5, v[2:3]
	s_delay_alu instid0(VALU_DEP_1) | instskip(NEXT) | instid1(VALU_DEP_1)
	v_fma_f64 v[18:19], -v[2:3], v[16:17], 0.5
	v_fmac_f64_e32 v[16:17], v[16:17], v[18:19]
	v_fmac_f64_e32 v[2:3], v[2:3], v[18:19]
	s_delay_alu instid0(VALU_DEP_2) | instskip(NEXT) | instid1(VALU_DEP_1)
	v_fma_f64 v[18:19], -v[16:17], v[16:17], v[0:1]
	v_fmac_f64_e32 v[16:17], v[18:19], v[2:3]
	s_delay_alu instid0(VALU_DEP_1) | instskip(NEXT) | instid1(VALU_DEP_1)
	v_fma_f64 v[18:19], -v[16:17], v[16:17], v[0:1]
	v_fmac_f64_e32 v[16:17], v[18:19], v[2:3]
	v_cndmask_b32_e64 v2, 0, 0xffffff80, vcc_lo
	v_cmp_class_f64_e64 vcc_lo, v[0:1], 0x260
	s_delay_alu instid0(VALU_DEP_2) | instskip(NEXT) | instid1(VALU_DEP_1)
	v_ldexp_f64 v[2:3], v[16:17], v2
	v_dual_cndmask_b32 v1, v3, v1 :: v_dual_cndmask_b32 v0, v2, v0
	ds_store_b64 v6, v[0:1]
.LBB34_97:                              ;   in Loop: Header=BB34_95 Depth=1
	s_or_b32 exec_lo, exec_lo, s5
	s_lshl_b32 s5, s2, 3
	s_mul_i32 s12, s2, 0x108
	s_wait_dscnt 0x0
	s_add_co_i32 s12, s12, s5
	s_delay_alu instid0(SALU_CYCLE_1)
	v_dual_mov_b32 v0, s12 :: v_dual_add_nc_u32 v15, s5, v4
	ds_load_b64 v[2:3], v0 offset:8448
	ds_load_b64 v[0:1], v15
	s_wait_dscnt 0x1
	v_cmp_neq_f64_e32 vcc_lo, 0, v[2:3]
	v_cndmask_b32_e32 v3, 0x3ff00000, v3, vcc_lo
	v_cndmask_b32_e32 v2, 0, v2, vcc_lo
	s_nor_b32 s12, vcc_lo, s1
	s_delay_alu instid0(SALU_CYCLE_1)
	s_and_saveexec_b32 s5, s12
	s_cbranch_execz .LBB34_101
; %bb.98:                               ;   in Loop: Header=BB34_95 Depth=1
	v_mbcnt_lo_u32_b32 v2, exec_lo, 0
	s_mov_b32 s12, exec_lo
	s_delay_alu instid0(VALU_DEP_1)
	v_cmpx_eq_u32_e32 0, v2
	s_cbranch_execz .LBB34_100
; %bb.99:                               ;   in Loop: Header=BB34_95 Depth=1
	v_mov_b32_e32 v2, s4
	global_atomic_min_i32 v14, v2, s[10:11] scope:SCOPE_DEV
.LBB34_100:                             ;   in Loop: Header=BB34_95 Depth=1
	s_wait_xcnt 0x0
	s_or_b32 exec_lo, exec_lo, s12
	v_mov_b64_e32 v[2:3], 1.0
.LBB34_101:                             ;   in Loop: Header=BB34_95 Depth=1
	s_or_b32 exec_lo, exec_lo, s5
	s_delay_alu instid0(SALU_CYCLE_1)
	s_mov_b32 s5, exec_lo
	v_cmpx_lt_u32_e64 s2, v9
	s_cbranch_execz .LBB34_94
; %bb.102:                              ;   in Loop: Header=BB34_95 Depth=1
	v_lshl_add_u32 v16, s2, 3, v5
	ds_load_b64 v[16:17], v16
	s_wait_dscnt 0x0
	v_add_f64_e64 v[0:1], v[0:1], -v[16:17]
	s_delay_alu instid0(VALU_DEP_1) | instskip(SKIP_1) | instid1(VALU_DEP_2)
	v_div_scale_f64 v[16:17], null, v[2:3], v[2:3], v[0:1]
	v_div_scale_f64 v[22:23], vcc_lo, v[0:1], v[2:3], v[0:1]
	v_rcp_f64_e32 v[18:19], v[16:17]
	v_nop
	s_delay_alu instid0(TRANS32_DEP_1) | instskip(NEXT) | instid1(VALU_DEP_1)
	v_fma_f64 v[20:21], -v[16:17], v[18:19], 1.0
	v_fmac_f64_e32 v[18:19], v[18:19], v[20:21]
	s_delay_alu instid0(VALU_DEP_1) | instskip(NEXT) | instid1(VALU_DEP_1)
	v_fma_f64 v[20:21], -v[16:17], v[18:19], 1.0
	v_fmac_f64_e32 v[18:19], v[18:19], v[20:21]
	s_delay_alu instid0(VALU_DEP_1) | instskip(NEXT) | instid1(VALU_DEP_1)
	v_mul_f64_e32 v[20:21], v[22:23], v[18:19]
	v_fma_f64 v[16:17], -v[16:17], v[20:21], v[22:23]
	s_delay_alu instid0(VALU_DEP_1) | instskip(NEXT) | instid1(VALU_DEP_1)
	v_div_fmas_f64 v[16:17], v[16:17], v[18:19], v[20:21]
	v_div_fixup_f64 v[0:1], v[16:17], v[2:3], v[0:1]
	ds_store_b64 v15, v[0:1]
	s_wait_storecnt_dscnt 0x0
	s_and_b32 exec_lo, exec_lo, s0
	s_cbranch_execz .LBB34_94
; %bb.103:                              ;   in Loop: Header=BB34_95 Depth=1
	v_dual_mov_b32 v2, v13 :: v_dual_mov_b32 v3, v12
	v_mov_b32_e32 v15, v8
	s_mov_b32 s12, 0
.LBB34_104:                             ;   Parent Loop BB34_95 Depth=1
                                        ; =>  This Inner Loop Header: Depth=2
	ds_load_b64 v[16:17], v2
	ds_load_b64 v[18:19], v3
	v_add_nc_u32_e32 v15, 2, v15
	v_add_nc_u32_e32 v2, 0x210, v2
	s_delay_alu instid0(VALU_DEP_2)
	v_cmp_le_i32_e32 vcc_lo, s28, v15
	s_or_b32 s12, vcc_lo, s12
	s_wait_dscnt 0x0
	v_fmac_f64_e32 v[18:19], v[0:1], v[16:17]
	ds_store_b64 v3, v[18:19]
	v_add_nc_u32_e32 v3, 16, v3
	s_and_not1_b32 exec_lo, exec_lo, s12
	s_cbranch_execnz .LBB34_104
	s_branch .LBB34_94
.LBB34_105:
	s_and_saveexec_b32 s1, s0
	s_cbranch_execz .LBB34_114
; %bb.106:
	s_mul_i32 s17, s17, s28
	v_cmp_gt_i32_e64 s0, s28, v9
	v_dual_add_nc_u32 v0, s17, v9 :: v_dual_mov_b32 v4, v8
	v_add3_u32 v3, v10, v11, 0x2100
	s_cmp_lg_u32 s29, 0
	s_mov_b32 s2, 0
	s_delay_alu instid0(VALU_DEP_2)
	v_mul_lo_u32 v2, v0, s28
	s_cselect_b32 s4, -1, 0
	s_branch .LBB34_110
.LBB34_107:                             ;   in Loop: Header=BB34_110 Depth=1
	v_add_nc_u32_e32 v5, v2, v4
.LBB34_108:                             ;   in Loop: Header=BB34_110 Depth=1
	s_wait_dscnt 0x0
	global_store_b64 v5, v[0:1], s[18:19] scale_offset
.LBB34_109:                             ;   in Loop: Header=BB34_110 Depth=1
	s_wait_xcnt 0x0
	s_or_b32 exec_lo, exec_lo, s5
	v_dual_add_nc_u32 v4, 2, v4 :: v_dual_add_nc_u32 v3, 16, v3
	s_delay_alu instid0(VALU_DEP_1) | instskip(SKIP_1) | instid1(SALU_CYCLE_1)
	v_cmp_le_i32_e32 vcc_lo, s28, v4
	s_or_b32 s2, vcc_lo, s2
	s_and_not1_b32 exec_lo, exec_lo, s2
	s_cbranch_execz .LBB34_114
.LBB34_110:                             ; =>This Inner Loop Header: Depth=1
	s_and_saveexec_b32 s5, s0
	s_cbranch_execz .LBB34_109
; %bb.111:                              ;   in Loop: Header=BB34_110 Depth=1
	ds_load_b64 v[0:1], v3
	s_and_b32 vcc_lo, exec_lo, s4
	s_cbranch_vccz .LBB34_113
; %bb.112:                              ;   in Loop: Header=BB34_110 Depth=1
	v_add_nc_u32_e32 v5, s17, v4
	s_delay_alu instid0(VALU_DEP_1)
	v_mad_u32 v5, v5, s28, v9
	s_cbranch_execnz .LBB34_108
	s_branch .LBB34_107
.LBB34_113:                             ;   in Loop: Header=BB34_110 Depth=1
                                        ; implicit-def: $vgpr5
	s_branch .LBB34_107
.LBB34_114:
	s_or_b32 exec_lo, exec_lo, s1
	v_or_b32_e32 v0, v8, v9
	s_mov_b32 s0, 0
	s_mov_b32 s1, exec_lo
	s_delay_alu instid0(VALU_DEP_1)
	v_cmpx_eq_u32_e32 0, v0
	s_cbranch_execz .LBB34_116
; %bb.115:
	v_dual_mov_b32 v0, 0 :: v_dual_mov_b32 v1, 1
	s_add_nc_u64 s[4:5], s[6:7], s[8:9]
	global_wb scope:SCOPE_DEV
	s_wait_storecnt 0x0
	global_store_b32 v0, v1, s[4:5] scope:SCOPE_DEV
.LBB34_116:
	s_wait_xcnt 0x0
	s_or_b32 exec_lo, exec_lo, s1
	s_delay_alu instid0(SALU_CYCLE_1)
	s_and_b32 vcc_lo, exec_lo, s0
	s_cbranch_vccnz .LBB34_119
.LBB34_117:
	s_endpgm
.LBB34_118:
	s_cbranch_execz .LBB34_117
.LBB34_119:
	v_or_b32_e32 v0, v8, v9
	s_mov_b32 s0, exec_lo
	s_delay_alu instid0(VALU_DEP_1)
	v_cmpx_eq_u32_e32 0, v0
	s_cbranch_execz .LBB34_117
; %bb.120:
	v_mbcnt_lo_u32_b32 v0, exec_lo, 0
	s_mov_b32 s0, exec_lo
	s_delay_alu instid0(VALU_DEP_1)
	v_cmpx_eq_u32_e32 0, v0
	s_cbranch_execz .LBB34_122
; %bb.121:
	s_add_co_i32 s1, s16, s3
	s_delay_alu instid0(SALU_CYCLE_1)
	v_dual_mov_b32 v0, 0 :: v_dual_mov_b32 v1, s1
	global_atomic_min_i32 v0, v1, s[10:11] scope:SCOPE_DEV
.LBB34_122:
	s_wait_xcnt 0x0
	s_or_b32 exec_lo, exec_lo, s0
	v_dual_mov_b32 v0, 0 :: v_dual_mov_b32 v1, 1
	s_add_nc_u64 s[0:1], s[6:7], s[8:9]
	global_wb scope:SCOPE_DEV
	s_wait_storecnt 0x0
	global_store_b32 v0, v1, s[0:1] scope:SCOPE_DEV
	s_endpgm
	.section	.rodata,"a",@progbits
	.p2align	6, 0x0
	.amdhsa_kernel _ZN9rocsparseL19bsric0_17_32_kernelILi64ELi64ELi32EdEEv20rocsparse_direction_iiPKiS3_PT2_S3_PiS3_S6_21rocsparse_index_base_
		.amdhsa_group_segment_fixed_size 26112
		.amdhsa_private_segment_fixed_size 0
		.amdhsa_kernarg_size 76
		.amdhsa_user_sgpr_count 2
		.amdhsa_user_sgpr_dispatch_ptr 0
		.amdhsa_user_sgpr_queue_ptr 0
		.amdhsa_user_sgpr_kernarg_segment_ptr 1
		.amdhsa_user_sgpr_dispatch_id 0
		.amdhsa_user_sgpr_kernarg_preload_length 0
		.amdhsa_user_sgpr_kernarg_preload_offset 0
		.amdhsa_user_sgpr_private_segment_size 0
		.amdhsa_wavefront_size32 1
		.amdhsa_uses_dynamic_stack 0
		.amdhsa_enable_private_segment 0
		.amdhsa_system_sgpr_workgroup_id_x 1
		.amdhsa_system_sgpr_workgroup_id_y 0
		.amdhsa_system_sgpr_workgroup_id_z 0
		.amdhsa_system_sgpr_workgroup_info 0
		.amdhsa_system_vgpr_workitem_id 1
		.amdhsa_next_free_vgpr 145
		.amdhsa_next_free_sgpr 45
		.amdhsa_named_barrier_count 0
		.amdhsa_reserve_vcc 1
		.amdhsa_float_round_mode_32 0
		.amdhsa_float_round_mode_16_64 0
		.amdhsa_float_denorm_mode_32 3
		.amdhsa_float_denorm_mode_16_64 3
		.amdhsa_fp16_overflow 0
		.amdhsa_memory_ordered 1
		.amdhsa_forward_progress 1
		.amdhsa_inst_pref_size 30
		.amdhsa_round_robin_scheduling 0
		.amdhsa_exception_fp_ieee_invalid_op 0
		.amdhsa_exception_fp_denorm_src 0
		.amdhsa_exception_fp_ieee_div_zero 0
		.amdhsa_exception_fp_ieee_overflow 0
		.amdhsa_exception_fp_ieee_underflow 0
		.amdhsa_exception_fp_ieee_inexact 0
		.amdhsa_exception_int_div_zero 0
	.end_amdhsa_kernel
	.section	.text._ZN9rocsparseL19bsric0_17_32_kernelILi64ELi64ELi32EdEEv20rocsparse_direction_iiPKiS3_PT2_S3_PiS3_S6_21rocsparse_index_base_,"axG",@progbits,_ZN9rocsparseL19bsric0_17_32_kernelILi64ELi64ELi32EdEEv20rocsparse_direction_iiPKiS3_PT2_S3_PiS3_S6_21rocsparse_index_base_,comdat
.Lfunc_end34:
	.size	_ZN9rocsparseL19bsric0_17_32_kernelILi64ELi64ELi32EdEEv20rocsparse_direction_iiPKiS3_PT2_S3_PiS3_S6_21rocsparse_index_base_, .Lfunc_end34-_ZN9rocsparseL19bsric0_17_32_kernelILi64ELi64ELi32EdEEv20rocsparse_direction_iiPKiS3_PT2_S3_PiS3_S6_21rocsparse_index_base_
                                        ; -- End function
	.set _ZN9rocsparseL19bsric0_17_32_kernelILi64ELi64ELi32EdEEv20rocsparse_direction_iiPKiS3_PT2_S3_PiS3_S6_21rocsparse_index_base_.num_vgpr, 30
	.set _ZN9rocsparseL19bsric0_17_32_kernelILi64ELi64ELi32EdEEv20rocsparse_direction_iiPKiS3_PT2_S3_PiS3_S6_21rocsparse_index_base_.num_agpr, 0
	.set _ZN9rocsparseL19bsric0_17_32_kernelILi64ELi64ELi32EdEEv20rocsparse_direction_iiPKiS3_PT2_S3_PiS3_S6_21rocsparse_index_base_.numbered_sgpr, 45
	.set _ZN9rocsparseL19bsric0_17_32_kernelILi64ELi64ELi32EdEEv20rocsparse_direction_iiPKiS3_PT2_S3_PiS3_S6_21rocsparse_index_base_.num_named_barrier, 0
	.set _ZN9rocsparseL19bsric0_17_32_kernelILi64ELi64ELi32EdEEv20rocsparse_direction_iiPKiS3_PT2_S3_PiS3_S6_21rocsparse_index_base_.private_seg_size, 0
	.set _ZN9rocsparseL19bsric0_17_32_kernelILi64ELi64ELi32EdEEv20rocsparse_direction_iiPKiS3_PT2_S3_PiS3_S6_21rocsparse_index_base_.uses_vcc, 1
	.set _ZN9rocsparseL19bsric0_17_32_kernelILi64ELi64ELi32EdEEv20rocsparse_direction_iiPKiS3_PT2_S3_PiS3_S6_21rocsparse_index_base_.uses_flat_scratch, 0
	.set _ZN9rocsparseL19bsric0_17_32_kernelILi64ELi64ELi32EdEEv20rocsparse_direction_iiPKiS3_PT2_S3_PiS3_S6_21rocsparse_index_base_.has_dyn_sized_stack, 0
	.set _ZN9rocsparseL19bsric0_17_32_kernelILi64ELi64ELi32EdEEv20rocsparse_direction_iiPKiS3_PT2_S3_PiS3_S6_21rocsparse_index_base_.has_recursion, 0
	.set _ZN9rocsparseL19bsric0_17_32_kernelILi64ELi64ELi32EdEEv20rocsparse_direction_iiPKiS3_PT2_S3_PiS3_S6_21rocsparse_index_base_.has_indirect_call, 0
	.section	.AMDGPU.csdata,"",@progbits
; Kernel info:
; codeLenInByte = 3832
; TotalNumSgprs: 47
; NumVgprs: 30
; ScratchSize: 0
; MemoryBound: 0
; FloatMode: 240
; IeeeMode: 1
; LDSByteSize: 26112 bytes/workgroup (compile time only)
; SGPRBlocks: 0
; VGPRBlocks: 9
; NumSGPRsForWavesPerEU: 47
; NumVGPRsForWavesPerEU: 145
; NamedBarCnt: 0
; Occupancy: 6
; WaveLimiterHint : 1
; COMPUTE_PGM_RSRC2:SCRATCH_EN: 0
; COMPUTE_PGM_RSRC2:USER_SGPR: 2
; COMPUTE_PGM_RSRC2:TRAP_HANDLER: 0
; COMPUTE_PGM_RSRC2:TGID_X_EN: 1
; COMPUTE_PGM_RSRC2:TGID_Y_EN: 0
; COMPUTE_PGM_RSRC2:TGID_Z_EN: 0
; COMPUTE_PGM_RSRC2:TIDIG_COMP_CNT: 1
	.section	.text._ZN9rocsparseL17bsric0_2_8_kernelILi64ELi128ELi8EdEEv20rocsparse_direction_iiPKiS3_PT2_S3_PiS3_S6_21rocsparse_index_base_,"axG",@progbits,_ZN9rocsparseL17bsric0_2_8_kernelILi64ELi128ELi8EdEEv20rocsparse_direction_iiPKiS3_PT2_S3_PiS3_S6_21rocsparse_index_base_,comdat
	.globl	_ZN9rocsparseL17bsric0_2_8_kernelILi64ELi128ELi8EdEEv20rocsparse_direction_iiPKiS3_PT2_S3_PiS3_S6_21rocsparse_index_base_ ; -- Begin function _ZN9rocsparseL17bsric0_2_8_kernelILi64ELi128ELi8EdEEv20rocsparse_direction_iiPKiS3_PT2_S3_PiS3_S6_21rocsparse_index_base_
	.p2align	8
	.type	_ZN9rocsparseL17bsric0_2_8_kernelILi64ELi128ELi8EdEEv20rocsparse_direction_iiPKiS3_PT2_S3_PiS3_S6_21rocsparse_index_base_,@function
_ZN9rocsparseL17bsric0_2_8_kernelILi64ELi128ELi8EdEEv20rocsparse_direction_iiPKiS3_PT2_S3_PiS3_S6_21rocsparse_index_base_: ; @_ZN9rocsparseL17bsric0_2_8_kernelILi64ELi128ELi8EdEEv20rocsparse_direction_iiPKiS3_PT2_S3_PiS3_S6_21rocsparse_index_base_
; %bb.0:
	s_load_b256 s[4:11], s[0:1], 0x28
	s_bfe_u32 s2, ttmp6, 0x4000c
	s_and_b32 s3, ttmp6, 15
	s_add_co_i32 s2, s2, 1
	s_getreg_b32 s12, hwreg(HW_REG_IB_STS2, 6, 4)
	s_mul_i32 s2, ttmp9, s2
	v_and_b32_e32 v8, 0x3ff, v0
	s_add_co_i32 s3, s3, s2
	s_cmp_eq_u32 s12, 0
	v_bfe_u32 v9, v0, 10, 10
	s_cselect_b32 s2, ttmp9, s3
	s_wait_kmcnt 0x0
	s_load_b32 s16, s[8:9], s2 offset:0x0 scale_offset
	s_wait_kmcnt 0x0
	s_ashr_i32 s17, s16, 31
	s_delay_alu instid0(SALU_CYCLE_1) | instskip(NEXT) | instid1(SALU_CYCLE_1)
	s_lshl_b64 s[8:9], s[16:17], 2
	s_add_nc_u64 s[12:13], s[4:5], s[8:9]
	s_load_b32 s17, s[12:13], 0x0
	s_load_b32 s3, s[0:1], 0x48
	s_wait_kmcnt 0x0
	s_cmp_lg_u32 s17, -1
	s_cbranch_scc0 .LBB35_85
; %bb.1:
	s_clause 0x1
	s_load_b128 s[12:15], s[0:1], 0x10
	s_load_b64 s[18:19], s[0:1], 0x20
	v_lshlrev_b32_e32 v10, 3, v9
	s_mov_b32 s2, exec_lo
	s_delay_alu instid0(VALU_DEP_1)
	v_add_nc_u32_e32 v1, v10, v8
	s_wait_kmcnt 0x0
	s_add_nc_u64 s[20:21], s[12:13], s[8:9]
	s_load_b32 s20, s[20:21], 0x0
	s_wait_kmcnt 0x0
	s_sub_co_i32 s28, s20, s3
	s_delay_alu instid0(SALU_CYCLE_1) | instskip(NEXT) | instid1(VALU_DEP_1)
	v_add_nc_u32_e32 v0, s28, v1
	v_cmpx_ge_i32_e64 s17, v0
	s_cbranch_execz .LBB35_13
; %bb.2:
	v_add_nc_u32_e32 v1, s20, v1
	s_add_co_i32 s21, s17, 1
	v_not_b32_e32 v2, v8
	s_mov_b32 s22, -1
	s_delay_alu instid0(VALU_DEP_2) | instskip(NEXT) | instid1(VALU_DEP_1)
	v_subrev_nc_u32_e32 v1, s3, v1
	v_add_max_i32_e64 v1, v1, 64, s21
	s_mov_b32 s21, exec_lo
	s_delay_alu instid0(VALU_DEP_1) | instskip(SKIP_1) | instid1(VALU_DEP_1)
	v_add3_u32 v1, s3, v1, v2
	v_add_nc_u32_e32 v2, s20, v10
	v_sub_nc_u32_e32 v1, v1, v2
	s_delay_alu instid0(VALU_DEP_1)
	v_cmpx_lt_u32_e32 63, v1
	s_cbranch_execz .LBB35_10
; %bb.3:
	v_dual_lshrrev_b32 v4, 6, v1 :: v_dual_add_nc_u32 v1, 64, v0
	s_delay_alu instid0(VALU_DEP_1) | instskip(NEXT) | instid1(VALU_DEP_1)
	v_add_nc_u32_e32 v2, -1, v4
	v_lshrrev_b32_e32 v3, 1, v2
	s_delay_alu instid0(VALU_DEP_1)
	v_add_nc_u32_e32 v5, 1, v3
	v_cmp_lt_u32_e32 vcc_lo, 13, v2
	v_mov_b64_e32 v[2:3], v[0:1]
	s_and_saveexec_b32 s22, vcc_lo
	s_cbranch_execz .LBB35_7
; %bb.4:
	v_mov_b64_e32 v[2:3], v[0:1]
	v_and_b32_e32 v6, -8, v5
	s_mov_b32 s23, 0
.LBB35_5:                               ; =>This Inner Loop Header: Depth=1
	s_clause 0x1
	global_load_b32 v1, v2, s[14:15] scale_offset
	global_load_b32 v7, v3, s[14:15] scale_offset
	v_add_nc_u32_e32 v17, 0x200, v3
	v_add_nc_u32_e32 v15, 0x180, v3
	;; [unrolled: 1-line block ×14, first 2 shown]
	s_clause 0xd
	global_load_b32 v25, v17, s[14:15] scale_offset
	global_load_b32 v26, v15, s[14:15] scale_offset
	;; [unrolled: 1-line block ×14, first 2 shown]
	v_subrev_nc_u32_e32 v39, s28, v2
	v_subrev_nc_u32_e32 v40, s28, v3
	v_add_nc_u32_e32 v6, -8, v6
	s_wait_xcnt 0xa
	v_subrev_nc_u32_e32 v11, s28, v11
	s_wait_xcnt 0x9
	v_subrev_nc_u32_e32 v12, s28, v12
	v_dual_lshlrev_b32 v39, 2, v39 :: v_dual_lshlrev_b32 v40, 2, v40
	s_wait_xcnt 0x8
	v_subrev_nc_u32_e32 v14, s28, v14
	v_subrev_nc_u32_e32 v13, s28, v13
	v_cmp_eq_u32_e32 vcc_lo, 0, v6
	s_wait_xcnt 0x7
	v_subrev_nc_u32_e32 v16, s28, v16
	v_add_nc_u32_e32 v3, 0x400, v3
	v_subrev_nc_u32_e32 v15, s28, v15
	v_subrev_nc_u32_e32 v17, s28, v17
	s_wait_xcnt 0x6
	v_subrev_nc_u32_e32 v18, s28, v18
	s_wait_xcnt 0x3
	;; [unrolled: 2-line block ×3, first 2 shown]
	v_subrev_nc_u32_e32 v20, s28, v20
	v_subrev_nc_u32_e32 v21, s28, v21
	s_wait_xcnt 0x1
	v_subrev_nc_u32_e32 v22, s28, v22
	v_subrev_nc_u32_e32 v23, s28, v23
	s_wait_xcnt 0x0
	v_subrev_nc_u32_e32 v24, s28, v24
	v_add_nc_u32_e32 v2, 0x400, v2
	v_dual_lshlrev_b32 v12, 2, v12 :: v_dual_lshlrev_b32 v14, 2, v14
	v_dual_lshlrev_b32 v11, 2, v11 :: v_dual_lshlrev_b32 v13, 2, v13
	v_lshlrev_b32_e32 v16, 2, v16
	s_or_b32 s23, vcc_lo, s23
	v_dual_lshlrev_b32 v15, 2, v15 :: v_dual_lshlrev_b32 v18, 2, v18
	v_dual_lshlrev_b32 v17, 2, v17 :: v_dual_lshlrev_b32 v20, 2, v20
	;; [unrolled: 1-line block ×4, first 2 shown]
	v_lshlrev_b32_e32 v23, 2, v23
	s_wait_loadcnt 0xf
	v_subrev_nc_u32_e32 v1, s3, v1
	s_wait_loadcnt 0xe
	v_subrev_nc_u32_e32 v7, s3, v7
	ds_store_b32 v39, v1 offset:3328
	ds_store_b32 v40, v7 offset:3328
	s_wait_loadcnt 0xa
	v_subrev_nc_u32_e32 v1, s3, v28
	s_wait_loadcnt 0x9
	v_subrev_nc_u32_e32 v7, s3, v29
	;; [unrolled: 2-line block ×3, first 2 shown]
	v_subrev_nc_u32_e32 v27, s3, v27
	s_wait_loadcnt 0x7
	v_subrev_nc_u32_e32 v29, s3, v31
	v_subrev_nc_u32_e32 v26, s3, v26
	v_subrev_nc_u32_e32 v25, s3, v25
	s_wait_loadcnt 0x6
	v_subrev_nc_u32_e32 v30, s3, v32
	s_wait_loadcnt 0x3
	v_subrev_nc_u32_e32 v31, s3, v35
	;; [unrolled: 2-line block ×3, first 2 shown]
	v_subrev_nc_u32_e32 v34, s3, v34
	s_wait_loadcnt 0x1
	v_subrev_nc_u32_e32 v35, s3, v37
	v_subrev_nc_u32_e32 v33, s3, v33
	s_wait_loadcnt 0x0
	v_subrev_nc_u32_e32 v36, s3, v38
	ds_store_b32 v12, v7 offset:3328
	ds_store_b32 v11, v1 offset:3328
	;; [unrolled: 1-line block ×14, first 2 shown]
	s_and_not1_b32 exec_lo, exec_lo, s23
	s_cbranch_execnz .LBB35_5
; %bb.6:
	s_or_b32 exec_lo, exec_lo, s23
.LBB35_7:
	s_delay_alu instid0(SALU_CYCLE_1) | instskip(SKIP_3) | instid1(VALU_DEP_1)
	s_or_b32 exec_lo, exec_lo, s22
	v_and_b32_e32 v1, 7, v5
	s_mov_b32 s23, 0
	s_mov_b32 s22, exec_lo
	v_cmpx_ne_u32_e32 0, v1
	s_cbranch_execz .LBB35_9
.LBB35_8:                               ; =>This Inner Loop Header: Depth=1
	s_clause 0x1
	global_load_b32 v5, v2, s[14:15] scale_offset
	global_load_b32 v6, v3, s[14:15] scale_offset
	v_subrev_nc_u32_e32 v7, s28, v2
	v_add_nc_u32_e32 v1, -1, v1
	v_subrev_nc_u32_e32 v11, s28, v3
	s_wait_xcnt 0x0
	v_add_nc_u32_e32 v3, 0x80, v3
	v_add_nc_u32_e32 v2, 0x80, v2
	v_lshlrev_b32_e32 v7, 2, v7
	v_cmp_eq_u32_e32 vcc_lo, 0, v1
	v_lshlrev_b32_e32 v11, 2, v11
	s_or_b32 s23, vcc_lo, s23
	s_wait_loadcnt 0x1
	v_subrev_nc_u32_e32 v5, s3, v5
	s_wait_loadcnt 0x0
	v_subrev_nc_u32_e32 v6, s3, v6
	ds_store_b32 v7, v5 offset:3328
	ds_store_b32 v11, v6 offset:3328
	s_and_not1_b32 exec_lo, exec_lo, s23
	s_cbranch_execnz .LBB35_8
.LBB35_9:
	s_or_b32 exec_lo, exec_lo, s22
	v_add_nc_u32_e32 v1, 1, v4
	s_delay_alu instid0(VALU_DEP_1) | instskip(NEXT) | instid1(VALU_DEP_1)
	v_and_b32_e32 v2, 0x7fffffe, v1
	v_cmp_ne_u32_e32 vcc_lo, v1, v2
	v_lshl_add_u32 v0, v2, 6, v0
	s_or_not1_b32 s22, vcc_lo, exec_lo
.LBB35_10:
	s_or_b32 exec_lo, exec_lo, s21
	s_delay_alu instid0(SALU_CYCLE_1)
	s_and_b32 exec_lo, exec_lo, s22
	s_cbranch_execz .LBB35_13
; %bb.11:
	v_add_nc_u32_e32 v1, s3, v0
	s_delay_alu instid0(VALU_DEP_1) | instskip(SKIP_2) | instid1(VALU_DEP_2)
	v_subrev_nc_u32_e32 v2, s20, v1
	v_ashrrev_i32_e32 v1, 31, v0
	s_mov_b32 s20, 0
	v_lshl_add_u32 v4, v2, 2, 0xd00
	s_delay_alu instid0(VALU_DEP_2)
	v_lshl_add_u64 v[2:3], v[0:1], 2, s[14:15]
.LBB35_12:                              ; =>This Inner Loop Header: Depth=1
	global_load_b32 v1, v[2:3], off
	v_add_nc_u32_e32 v0, 64, v0
	s_wait_xcnt 0x0
	v_add_nc_u64_e32 v[2:3], 0x100, v[2:3]
	s_delay_alu instid0(VALU_DEP_2)
	v_cmp_lt_i32_e32 vcc_lo, s17, v0
	s_or_b32 s20, vcc_lo, s20
	s_wait_loadcnt 0x0
	v_subrev_nc_u32_e32 v1, s3, v1
	ds_store_b32 v4, v1
	v_add_nc_u32_e32 v4, 0x100, v4
	s_and_not1_b32 exec_lo, exec_lo, s20
	s_cbranch_execnz .LBB35_12
.LBB35_13:
	s_or_b32 exec_lo, exec_lo, s2
	s_clause 0x1
	s_load_b32 s30, s[0:1], 0x0
	s_load_b32 s29, s[0:1], 0x8
	s_wait_xcnt 0x0
	s_movk_i32 s0, 0x48
	v_mov_b64_e32 v[0:1], 0
	v_mad_u32_u24 v12, v9, s0, 0x6c0
	s_cmp_ge_i32 s28, s17
	s_delay_alu instid0(VALU_DEP_1)
	v_lshl_add_u32 v11, v8, 3, v12
	ds_store_b64 v11, v[0:1]
	s_wait_dscnt 0x0
	s_cbranch_scc1 .LBB35_66
; %bb.14:
	s_movk_i32 s20, 0x480
	s_movk_i32 s2, 0x240
	s_wait_kmcnt 0x0
	s_cmp_lg_u32 s30, 0
	v_mul_lo_u32 v17, s29, v8
	v_mul_lo_u32 v18, s29, v9
	v_cmp_gt_i32_e64 s0, s29, v8
	v_cmp_gt_i32_e64 s1, s29, v9
	v_mad_u32_u24 v13, 0x48, v9, s20
	v_dual_lshlrev_b32 v2, 3, v8 :: v_dual_bitop2_b32 v3, v8, v9 bitop3:0x54
	v_mad_u32_u24 v16, 0x48, v9, s2
	s_cselect_b32 s31, -1, 0
	s_cmp_eq_u32 s30, 0
	s_delay_alu instid0(VALU_DEP_2)
	v_add_nc_u32_e32 v14, v13, v2
	s_cselect_b32 vcc_lo, -1, 0
	s_and_b32 s33, s0, s1
	v_mad_u32_u24 v15, 0x48, v9, v2
	v_add_nc_u32_e32 v19, v16, v2
	v_cmp_ne_u32_e64 s2, 0, v3
	v_mad_u32_u24 v20, 0x48, v8, s20
	v_dual_cndmask_b32 v21, v9, v8 :: v_dual_cndmask_b32 v22, v8, v9
	v_mov_b32_e32 v23, 0
	s_cmp_gt_i32 s29, 0
	s_mul_i32 s35, s29, s29
	s_cselect_b32 s34, -1, 0
	s_mov_b32 s20, s28
	s_branch .LBB35_17
.LBB35_15:                              ;   in Loop: Header=BB35_17 Depth=1
	s_wait_xcnt 0x0
	s_or_b32 exec_lo, exec_lo, s21
	s_add_co_i32 s20, s20, 1
	global_wb scope:SCOPE_DEV
	s_wait_storecnt 0x0
	global_inv scope:SCOPE_DEV
	s_cmp_ge_i32 s20, s17
	s_cselect_b32 s26, -1, 0
.LBB35_16:                              ;   in Loop: Header=BB35_17 Depth=1
	s_delay_alu instid0(SALU_CYCLE_1)
	s_and_b32 vcc_lo, exec_lo, s26
	s_cbranch_vccnz .LBB35_66
.LBB35_17:                              ; =>This Loop Header: Depth=1
                                        ;     Child Loop BB35_22 Depth 2
                                        ;     Child Loop BB35_33 Depth 2
	;; [unrolled: 1-line block ×4, first 2 shown]
                                        ;       Child Loop BB35_63 Depth 3
	s_ashr_i32 s21, s20, 31
	s_delay_alu instid0(SALU_CYCLE_1) | instskip(NEXT) | instid1(SALU_CYCLE_1)
	s_lshl_b64 s[22:23], s[20:21], 2
	s_add_nc_u64 s[22:23], s[14:15], s[22:23]
	s_load_b32 s21, s[22:23], 0x0
	s_wait_kmcnt 0x0
	s_sub_co_i32 s24, s21, s3
	s_delay_alu instid0(SALU_CYCLE_1) | instskip(SKIP_2) | instid1(SALU_CYCLE_1)
	s_ashr_i32 s25, s24, 31
	s_wait_xcnt 0x0
	s_lshl_b64 s[22:23], s[24:25], 2
	s_add_nc_u64 s[26:27], s[4:5], s[22:23]
	s_load_b32 s25, s[26:27], 0x0
	s_wait_xcnt 0x0
	s_mov_b32 s26, -1
	s_wait_kmcnt 0x0
	s_cmp_eq_u32 s25, -1
	s_cbranch_scc1 .LBB35_16
; %bb.18:                               ;   in Loop: Header=BB35_17 Depth=1
	v_mad_u32 v2, s20, s29, v22
	s_delay_alu instid0(VALU_DEP_1)
	v_mad_u32 v24, v2, s29, v21
	v_mov_b64_e32 v[2:3], 0
	s_and_saveexec_b32 s26, s33
	s_cbranch_execz .LBB35_20
; %bb.19:                               ;   in Loop: Header=BB35_17 Depth=1
	global_load_b64 v[2:3], v24, s[18:19] scale_offset
.LBB35_20:                              ;   in Loop: Header=BB35_17 Depth=1
	s_wait_xcnt 0x0
	s_or_b32 exec_lo, exec_lo, s26
	s_add_nc_u64 s[26:27], s[12:13], s[22:23]
	ds_load_b32 v4, v23 offset:3328
	s_load_b32 s26, s[26:27], 0x0
	s_wait_loadcnt 0x0
	ds_store_b64 v14, v[2:3]
	s_wait_dscnt 0x1
	v_cmp_ge_i32_e32 vcc_lo, s24, v4
	s_wait_kmcnt 0x0
	s_sub_co_i32 s26, s26, s3
	s_delay_alu instid0(SALU_CYCLE_1) | instskip(SKIP_1) | instid1(SALU_CYCLE_1)
	s_cmp_le_i32 s26, s25
	s_cselect_b32 s27, -1, 0
	s_and_b32 s27, s27, vcc_lo
	s_delay_alu instid0(SALU_CYCLE_1)
	s_and_not1_b32 vcc_lo, exec_lo, s27
	s_mov_b32 s27, 0
	s_cbranch_vccnz .LBB35_32
; %bb.21:                               ;   in Loop: Header=BB35_17 Depth=1
	s_mov_b32 s36, 0
	s_mov_b32 s37, 0
.LBB35_22:                              ;   Parent Loop BB35_17 Depth=1
                                        ; =>  This Inner Loop Header: Depth=2
	s_ashr_i32 s27, s26, 31
	s_lshl_b32 s40, s37, 2
	s_lshl_b64 s[38:39], s[26:27], 2
	v_mov_b32_e32 v2, s40
	s_add_nc_u64 s[38:39], s[14:15], s[38:39]
	s_mov_b32 s41, -1
	s_load_b32 s27, s[38:39], 0x0
                                        ; implicit-def: $sgpr40
                                        ; implicit-def: $sgpr39
	ds_load_b32 v2, v2 offset:3328
	s_wait_kmcnt 0x0
	s_sub_co_i32 s42, s27, s3
                                        ; implicit-def: $sgpr27
	s_wait_dscnt 0x0
	v_readfirstlane_b32 s38, v2
	v_cmp_ge_i32_e32 vcc_lo, s42, v2
	s_cbranch_vccz .LBB35_28
; %bb.23:                               ;   in Loop: Header=BB35_22 Depth=2
	s_cmp_le_i32 s42, s38
                                        ; implicit-def: $sgpr27
                                        ; implicit-def: $sgpr40
                                        ; implicit-def: $sgpr39
	s_cbranch_scc0 .LBB35_25
; %bb.24:                               ;   in Loop: Header=BB35_22 Depth=2
	s_add_co_i32 s27, s37, s28
	s_lshl_b32 s39, s36, 2
	s_mul_i32 s27, s27, s35
	s_delay_alu instid0(SALU_CYCLE_1)
	v_dual_mov_b32 v2, s39 :: v_dual_mov_b32 v3, s27
	s_mul_i32 s39, s26, s35
	s_add_co_i32 s40, s26, 1
	v_mov_b32_e32 v4, s39
	s_add_co_i32 s39, s37, 1
	s_add_co_i32 s27, s36, 1
	s_mov_b32 s41, 0
	ds_store_2addr_stride64_b32 v2, v4, v3 offset0:9 offset1:11
.LBB35_25:                              ;   in Loop: Header=BB35_22 Depth=2
	s_and_not1_b32 vcc_lo, exec_lo, s41
	s_cbranch_vccnz .LBB35_27
; %bb.26:                               ;   in Loop: Header=BB35_22 Depth=2
	s_add_co_i32 s39, s37, 1
	s_mov_b32 s27, s36
	s_mov_b32 s40, s26
.LBB35_27:                              ;   in Loop: Header=BB35_22 Depth=2
	s_mov_b32 s41, 0
.LBB35_28:                              ;   in Loop: Header=BB35_22 Depth=2
	s_delay_alu instid0(SALU_CYCLE_1)
	s_and_not1_b32 vcc_lo, exec_lo, s41
	s_cbranch_vccnz .LBB35_30
; %bb.29:                               ;   in Loop: Header=BB35_22 Depth=2
	s_add_co_i32 s40, s26, 1
	s_mov_b32 s39, s37
	s_mov_b32 s27, s36
.LBB35_30:                              ;   in Loop: Header=BB35_22 Depth=2
	s_cmp_le_i32 s40, s25
	s_cselect_b32 s26, -1, 0
	s_cmp_le_i32 s38, s24
	s_cselect_b32 s36, -1, 0
	s_delay_alu instid0(SALU_CYCLE_1) | instskip(NEXT) | instid1(SALU_CYCLE_1)
	s_and_b32 s26, s26, s36
	s_and_b32 vcc_lo, exec_lo, s26
	s_cbranch_vccz .LBB35_32
; %bb.31:                               ;   in Loop: Header=BB35_22 Depth=2
	s_mov_b32 s36, s27
	s_mov_b32 s26, s40
	;; [unrolled: 1-line block ×3, first 2 shown]
	s_branch .LBB35_22
.LBB35_32:                              ;   in Loop: Header=BB35_17 Depth=1
	s_add_nc_u64 s[22:23], s[6:7], s[22:23]
	s_wait_dscnt 0x0
.LBB35_33:                              ;   Parent Loop BB35_17 Depth=1
                                        ; =>  This Inner Loop Header: Depth=2
	global_load_b32 v2, v23, s[22:23] scope:SCOPE_DEV
	s_wait_loadcnt 0x0
	v_cmp_eq_u32_e32 vcc_lo, 0, v2
	s_cbranch_vccnz .LBB35_33
; %bb.34:                               ;   in Loop: Header=BB35_17 Depth=1
	v_mov_b64_e32 v[4:5], 0
	v_mov_b64_e32 v[2:3], 0
	global_inv scope:SCOPE_DEV
	s_and_saveexec_b32 s22, s33
	s_cbranch_execz .LBB35_36
; %bb.35:                               ;   in Loop: Header=BB35_17 Depth=1
	v_mad_u32 v2, s25, s29, v22
	s_delay_alu instid0(VALU_DEP_1)
	v_mad_u32 v2, v2, s29, v21
	global_load_b64 v[2:3], v2, s[18:19] scale_offset
.LBB35_36:                              ;   in Loop: Header=BB35_17 Depth=1
	s_wait_xcnt 0x0
	s_or_b32 exec_lo, exec_lo, s22
	s_cmp_lt_i32 s27, 2
	s_wait_loadcnt 0x0
	ds_store_b64 v15, v[2:3]
	s_wait_dscnt 0x0
	s_cbranch_scc1 .LBB35_55
; %bb.37:                               ;   in Loop: Header=BB35_17 Depth=1
	v_mov_b64_e32 v[2:3], 0
	s_add_co_i32 s22, s27, -2
	s_mov_b32 s23, 0
	s_and_not1_b32 vcc_lo, exec_lo, s34
	s_cbranch_vccz .LBB35_40
	s_branch .LBB35_39
.LBB35_38:                              ;   in Loop: Header=BB35_17 Depth=1
	s_delay_alu instid0(VALU_DEP_1)
	v_mov_b64_e32 v[2:3], v[4:5]
	s_mov_b32 s23, s24
	s_and_not1_b32 vcc_lo, exec_lo, s34
	s_cbranch_vccz .LBB35_40
.LBB35_39:                              ;   in Loop: Header=BB35_17 Depth=1
	s_delay_alu instid0(VALU_DEP_1)
	v_mov_b64_e32 v[4:5], v[2:3]
	s_branch .LBB35_54
.LBB35_40:                              ;   in Loop: Header=BB35_17 Depth=1
	s_lshl_b32 s24, s23, 2
	s_delay_alu instid0(SALU_CYCLE_1)
	v_mov_b32_e32 v4, s24
	s_mov_b32 s24, 0
	ds_load_2addr_stride64_b32 v[4:5], v4 offset0:9 offset1:11
	s_wait_dscnt 0x0
	v_dual_add_nc_u32 v25, v4, v17 :: v_dual_add_nc_u32 v26, v5, v18
	v_dual_add_nc_u32 v27, v9, v5 :: v_dual_add_nc_u32 v28, v8, v4
	s_and_b32 vcc_lo, exec_lo, s31
	s_mov_b32 s25, -1
                                        ; implicit-def: $vgpr4_vgpr5
	s_cbranch_vccz .LBB35_47
	s_branch .LBB35_42
.LBB35_41:                              ;   in Loop: Header=BB35_47 Depth=2
	s_delay_alu instid0(VALU_DEP_2)
	v_mov_b64_e32 v[2:3], v[4:5]
	s_and_b32 vcc_lo, exec_lo, s31
	s_mov_b32 s25, -1
                                        ; implicit-def: $vgpr4_vgpr5
	s_cbranch_vccz .LBB35_47
.LBB35_42:                              ;   in Loop: Header=BB35_17 Depth=1
	v_mov_b64_e32 v[4:5], 0
	v_mov_b64_e32 v[6:7], 0
	s_and_saveexec_b32 s25, s0
	s_cbranch_execz .LBB35_44
; %bb.43:                               ;   in Loop: Header=BB35_17 Depth=1
	global_load_b64 v[6:7], v28, s[18:19] scale_offset
.LBB35_44:                              ;   in Loop: Header=BB35_17 Depth=1
	s_wait_xcnt 0x0
	s_or_b32 exec_lo, exec_lo, s25
	s_and_saveexec_b32 s25, s1
	s_cbranch_execz .LBB35_46
; %bb.45:                               ;   in Loop: Header=BB35_17 Depth=1
	global_load_b64 v[4:5], v27, s[18:19] scale_offset
.LBB35_46:                              ;   in Loop: Header=BB35_17 Depth=1
	s_wait_xcnt 0x0
	s_or_b32 exec_lo, exec_lo, s25
	s_wait_loadcnt 0x0
	v_fma_f64 v[4:5], v[6:7], v[4:5], v[2:3]
	s_mov_b32 s25, 0
.LBB35_47:                              ;   Parent Loop BB35_17 Depth=1
                                        ; =>  This Inner Loop Header: Depth=2
	s_delay_alu instid0(SALU_CYCLE_1)
	s_and_b32 vcc_lo, exec_lo, s25
	s_cbranch_vccz .LBB35_53
; %bb.48:                               ;   in Loop: Header=BB35_47 Depth=2
	v_mov_b64_e32 v[4:5], 0
	v_mov_b64_e32 v[6:7], 0
	s_and_saveexec_b32 s25, s0
	s_cbranch_execz .LBB35_50
; %bb.49:                               ;   in Loop: Header=BB35_47 Depth=2
	v_add_nc_u32_e32 v6, s24, v25
	global_load_b64 v[6:7], v6, s[18:19] scale_offset
.LBB35_50:                              ;   in Loop: Header=BB35_47 Depth=2
	s_wait_xcnt 0x0
	s_or_b32 exec_lo, exec_lo, s25
	s_and_saveexec_b32 s25, s1
	s_cbranch_execz .LBB35_52
; %bb.51:                               ;   in Loop: Header=BB35_47 Depth=2
	v_add_nc_u32_e32 v4, s24, v26
	global_load_b64 v[4:5], v4, s[18:19] scale_offset
.LBB35_52:                              ;   in Loop: Header=BB35_47 Depth=2
	s_wait_xcnt 0x0
	s_or_b32 exec_lo, exec_lo, s25
	s_wait_loadcnt 0x0
	v_fmac_f64_e32 v[2:3], v[6:7], v[4:5]
	s_delay_alu instid0(VALU_DEP_1)
	v_mov_b64_e32 v[4:5], v[2:3]
.LBB35_53:                              ;   in Loop: Header=BB35_47 Depth=2
	v_dual_add_nc_u32 v27, s29, v27 :: v_dual_add_nc_u32 v28, s29, v28
	s_add_co_i32 s24, s24, 1
	s_delay_alu instid0(SALU_CYCLE_1)
	s_cmp_eq_u32 s29, s24
	s_cbranch_scc0 .LBB35_41
.LBB35_54:                              ;   in Loop: Header=BB35_17 Depth=1
	s_add_co_i32 s24, s23, 1
	s_cmp_eq_u32 s23, s22
	s_cbranch_scc0 .LBB35_38
.LBB35_55:                              ;   in Loop: Header=BB35_17 Depth=1
	s_and_not1_b32 vcc_lo, exec_lo, s34
	ds_store_b64 v19, v[4:5]
	s_wait_dscnt 0x0
	s_cbranch_vccnz .LBB35_64
; %bb.56:                               ;   in Loop: Header=BB35_17 Depth=1
	s_mov_b32 s22, 0
	s_mov_b32 s23, 0
	s_branch .LBB35_58
.LBB35_57:                              ;   in Loop: Header=BB35_58 Depth=2
	s_wait_dscnt 0x0
	s_delay_alu instid0(VALU_DEP_1) | instskip(SKIP_1) | instid1(VALU_DEP_1)
	v_add_f64_e64 v[2:3], v[2:3], -v[6:7]
	s_addk_co_i32 s22, 0x48
	v_div_scale_f64 v[6:7], null, v[4:5], v[4:5], v[2:3]
	v_div_scale_f64 v[30:31], vcc_lo, v[2:3], v[4:5], v[2:3]
	s_delay_alu instid0(VALU_DEP_2) | instskip(SKIP_1) | instid1(TRANS32_DEP_1)
	v_rcp_f64_e32 v[26:27], v[6:7]
	v_nop
	v_fma_f64 v[28:29], -v[6:7], v[26:27], 1.0
	s_delay_alu instid0(VALU_DEP_1) | instskip(NEXT) | instid1(VALU_DEP_1)
	v_fmac_f64_e32 v[26:27], v[26:27], v[28:29]
	v_fma_f64 v[28:29], -v[6:7], v[26:27], 1.0
	s_delay_alu instid0(VALU_DEP_1) | instskip(NEXT) | instid1(VALU_DEP_1)
	v_fmac_f64_e32 v[26:27], v[26:27], v[28:29]
	v_mul_f64_e32 v[28:29], v[30:31], v[26:27]
	s_delay_alu instid0(VALU_DEP_1) | instskip(NEXT) | instid1(VALU_DEP_1)
	v_fma_f64 v[6:7], -v[6:7], v[28:29], v[30:31]
	v_div_fmas_f64 v[6:7], v[6:7], v[26:27], v[28:29]
	s_delay_alu instid0(VALU_DEP_1) | instskip(SKIP_2) | instid1(SALU_CYCLE_1)
	v_div_fixup_f64 v[2:3], v[6:7], v[4:5], v[2:3]
	v_lshl_add_u32 v4, s23, 3, v20
	s_add_co_i32 s23, s23, 1
	s_cmp_eq_u32 s23, s29
	ds_store_b64 v25, v[2:3]
	s_wait_storecnt_dscnt 0x0
	ds_load_b64 v[4:5], v4
	ds_load_b64 v[6:7], v11
	s_wait_dscnt 0x0
	v_fmac_f64_e32 v[6:7], v[2:3], v[4:5]
	ds_store_b64 v11, v[6:7]
	s_wait_dscnt 0x0
	s_cbranch_scc1 .LBB35_64
.LBB35_58:                              ;   Parent Loop BB35_17 Depth=1
                                        ; =>  This Loop Header: Depth=2
                                        ;       Child Loop BB35_63 Depth 3
	s_lshl_b32 s24, s23, 3
	s_mul_i32 s25, s23, 0x48
	v_add_nc_u32_e32 v25, s24, v13
	s_add_co_i32 s25, s25, s24
	s_delay_alu instid0(SALU_CYCLE_1)
	v_mov_b32_e32 v2, s25
	ds_load_b64 v[4:5], v2
	ds_load_b64 v[2:3], v25
	s_wait_dscnt 0x1
	v_cmp_neq_f64_e32 vcc_lo, 0, v[4:5]
	v_cndmask_b32_e32 v5, 0x3ff00000, v5, vcc_lo
	v_cndmask_b32_e32 v4, 0, v4, vcc_lo
	s_nor_b32 s25, vcc_lo, s2
	s_delay_alu instid0(SALU_CYCLE_1)
	s_and_saveexec_b32 s24, s25
	s_cbranch_execz .LBB35_62
; %bb.59:                               ;   in Loop: Header=BB35_58 Depth=2
	v_mbcnt_lo_u32_b32 v4, exec_lo, 0
	s_mov_b32 s25, exec_lo
	s_delay_alu instid0(VALU_DEP_1)
	v_cmpx_eq_u32_e32 0, v4
	s_cbranch_execz .LBB35_61
; %bb.60:                               ;   in Loop: Header=BB35_58 Depth=2
	v_mov_b32_e32 v4, s21
	global_atomic_min_i32 v23, v4, s[10:11] scope:SCOPE_DEV
.LBB35_61:                              ;   in Loop: Header=BB35_58 Depth=2
	s_wait_xcnt 0x0
	s_or_b32 exec_lo, exec_lo, s25
	v_mov_b64_e32 v[4:5], 1.0
.LBB35_62:                              ;   in Loop: Header=BB35_58 Depth=2
	s_or_b32 exec_lo, exec_lo, s24
	v_lshl_add_u32 v6, s23, 3, v16
	v_mov_b32_e32 v26, v13
	s_cmp_eq_u32 s23, 0
	s_mov_b32 s24, s22
	s_mov_b32 s25, s23
	ds_load_b64 v[6:7], v6
	s_cbranch_scc1 .LBB35_57
.LBB35_63:                              ;   Parent Loop BB35_17 Depth=1
                                        ;     Parent Loop BB35_58 Depth=2
                                        ; =>    This Inner Loop Header: Depth=3
	v_mov_b32_e32 v27, s24
	s_add_co_i32 s25, s25, -1
	s_add_co_i32 s24, s24, 8
	s_cmp_eq_u32 s25, 0
	ds_load_b64 v[28:29], v26
	ds_load_b64 v[30:31], v27
	v_add_nc_u32_e32 v26, 8, v26
	s_wait_dscnt 0x0
	v_fmac_f64_e32 v[6:7], v[30:31], v[28:29]
	s_cbranch_scc0 .LBB35_63
	s_branch .LBB35_57
.LBB35_64:                              ;   in Loop: Header=BB35_17 Depth=1
	s_and_saveexec_b32 s21, s33
	s_cbranch_execz .LBB35_15
; %bb.65:                               ;   in Loop: Header=BB35_17 Depth=1
	ds_load_b64 v[2:3], v14
	s_wait_dscnt 0x0
	global_store_b64 v24, v[2:3], s[18:19] scale_offset
	s_branch .LBB35_15
.LBB35_66:
	s_wait_kmcnt 0x0
	s_cmp_eq_u32 s30, 0
	v_max_i32_e32 v4, v8, v9
	s_cselect_b32 vcc_lo, -1, 0
	v_dual_cndmask_b32 v2, v9, v8 :: v_dual_cndmask_b32 v3, v8, v9
	s_delay_alu instid0(VALU_DEP_2) | instskip(NEXT) | instid1(VALU_DEP_2)
	v_cmp_gt_i32_e64 s0, s29, v4
	v_mad_u32 v3, s17, s29, v3
	s_and_saveexec_b32 s1, s0
	s_cbranch_execz .LBB35_68
; %bb.67:
	s_delay_alu instid0(VALU_DEP_1)
	v_mad_u32 v0, v3, s29, v2
	global_load_b64 v[0:1], v0, s[18:19] scale_offset
.LBB35_68:
	s_wait_xcnt 0x0
	s_or_b32 exec_lo, exec_lo, s1
	s_movk_i32 s1, 0x48
	s_movk_i32 s2, 0x480
	v_mad_u32_u24 v5, v9, s1, 0x480
	s_cmp_lt_i32 s29, 1
	s_delay_alu instid0(VALU_DEP_1)
	v_lshl_add_u32 v4, v8, 3, v5
	s_wait_loadcnt 0x0
	ds_store_b64 v4, v[0:1]
	s_wait_dscnt 0x0
	s_cbranch_scc1 .LBB35_79
; %bb.69:
	v_dual_add_nc_u32 v6, v5, v10 :: v_dual_bitop2_b32 v0, v8, v9 bitop3:0x54
	v_dual_mov_b32 v12, 0 :: v_dual_add_nc_u32 v7, v12, v10
	v_mad_u32_u24 v10, v8, s1, 0x480
	s_delay_alu instid0(VALU_DEP_3)
	v_cmp_ne_u32_e64 s1, 0, v0
	s_mov_b32 s4, 0
	s_add_co_i32 s5, s16, s3
	s_branch .LBB35_71
.LBB35_70:                              ;   in Loop: Header=BB35_71 Depth=1
	s_or_b32 exec_lo, exec_lo, s12
	v_dual_add_nc_u32 v5, 8, v5 :: v_dual_add_nc_u32 v10, 8, v10
	s_add_co_i32 s4, s4, 1
	s_addk_co_i32 s2, 0x50
	s_cmp_eq_u32 s29, s4
	s_wait_storecnt_dscnt 0x0
	s_cbranch_scc1 .LBB35_79
.LBB35_71:                              ; =>This Inner Loop Header: Depth=1
	s_mov_b32 s12, exec_lo
	v_cmpx_eq_u32_e64 s4, v9
	s_cbranch_execz .LBB35_73
; %bb.72:                               ;   in Loop: Header=BB35_71 Depth=1
	ds_load_b64 v[0:1], v6
	ds_load_b64 v[14:15], v7
	s_wait_dscnt 0x0
	v_add_f64_e64 v[0:1], v[0:1], -v[14:15]
	s_delay_alu instid0(VALU_DEP_1) | instskip(SKIP_1) | instid1(VALU_DEP_1)
	v_cmp_gt_f64_e32 vcc_lo, 0, v[0:1]
	v_xor_b32_e32 v13, 0x80000000, v1
	v_cndmask_b32_e32 v1, v1, v13, vcc_lo
	s_delay_alu instid0(VALU_DEP_1) | instskip(SKIP_1) | instid1(VALU_DEP_1)
	v_cmp_gt_f64_e32 vcc_lo, 0x10000000, v[0:1]
	v_cndmask_b32_e64 v13, 0, 0x100, vcc_lo
	v_ldexp_f64 v[0:1], v[0:1], v13
	v_cndmask_b32_e64 v13, 0, 0xffffff80, vcc_lo
	s_delay_alu instid0(VALU_DEP_2) | instskip(SKIP_1) | instid1(TRANS32_DEP_1)
	v_rsq_f64_e32 v[14:15], v[0:1]
	v_cmp_class_f64_e64 vcc_lo, v[0:1], 0x260
	v_mul_f64_e32 v[16:17], v[0:1], v[14:15]
	v_mul_f64_e32 v[14:15], 0.5, v[14:15]
	s_delay_alu instid0(VALU_DEP_1) | instskip(NEXT) | instid1(VALU_DEP_1)
	v_fma_f64 v[18:19], -v[14:15], v[16:17], 0.5
	v_fmac_f64_e32 v[16:17], v[16:17], v[18:19]
	v_fmac_f64_e32 v[14:15], v[14:15], v[18:19]
	s_delay_alu instid0(VALU_DEP_2) | instskip(NEXT) | instid1(VALU_DEP_1)
	v_fma_f64 v[18:19], -v[16:17], v[16:17], v[0:1]
	v_fmac_f64_e32 v[16:17], v[18:19], v[14:15]
	s_delay_alu instid0(VALU_DEP_1) | instskip(NEXT) | instid1(VALU_DEP_1)
	v_fma_f64 v[18:19], -v[16:17], v[16:17], v[0:1]
	v_fmac_f64_e32 v[16:17], v[18:19], v[14:15]
	s_delay_alu instid0(VALU_DEP_1) | instskip(NEXT) | instid1(VALU_DEP_1)
	v_ldexp_f64 v[14:15], v[16:17], v13
	v_dual_cndmask_b32 v1, v15, v1 :: v_dual_cndmask_b32 v0, v14, v0
	ds_store_b64 v6, v[0:1]
.LBB35_73:                              ;   in Loop: Header=BB35_71 Depth=1
	s_or_b32 exec_lo, exec_lo, s12
	v_mov_b32_e32 v0, s2
	s_wait_dscnt 0x0
	ds_load_b64 v[0:1], v0
	s_wait_dscnt 0x0
	v_cmp_neq_f64_e32 vcc_lo, 0, v[0:1]
	v_cndmask_b32_e32 v1, 0x3ff00000, v1, vcc_lo
	v_cndmask_b32_e32 v0, 0, v0, vcc_lo
	s_nor_b32 s13, vcc_lo, s1
	s_delay_alu instid0(SALU_CYCLE_1)
	s_and_saveexec_b32 s12, s13
	s_cbranch_execz .LBB35_77
; %bb.74:                               ;   in Loop: Header=BB35_71 Depth=1
	v_mbcnt_lo_u32_b32 v0, exec_lo, 0
	s_mov_b32 s13, exec_lo
	s_delay_alu instid0(VALU_DEP_1)
	v_cmpx_eq_u32_e32 0, v0
	s_cbranch_execz .LBB35_76
; %bb.75:                               ;   in Loop: Header=BB35_71 Depth=1
	v_mov_b32_e32 v0, s5
	global_atomic_min_i32 v12, v0, s[10:11] scope:SCOPE_DEV
.LBB35_76:                              ;   in Loop: Header=BB35_71 Depth=1
	s_wait_xcnt 0x0
	s_or_b32 exec_lo, exec_lo, s13
	v_mov_b64_e32 v[0:1], 1.0
.LBB35_77:                              ;   in Loop: Header=BB35_71 Depth=1
	s_or_b32 exec_lo, exec_lo, s12
	s_delay_alu instid0(SALU_CYCLE_1)
	s_mov_b32 s12, exec_lo
	v_cmpx_lt_u32_e64 s4, v9
	s_cbranch_execz .LBB35_70
; %bb.78:                               ;   in Loop: Header=BB35_71 Depth=1
	ds_load_2addr_b64 v[14:17], v5 offset1:72
	s_wait_dscnt 0x0
	v_add_f64_e64 v[14:15], v[14:15], -v[16:17]
	s_delay_alu instid0(VALU_DEP_1) | instskip(SKIP_1) | instid1(VALU_DEP_2)
	v_div_scale_f64 v[16:17], null, v[0:1], v[0:1], v[14:15]
	v_div_scale_f64 v[22:23], vcc_lo, v[14:15], v[0:1], v[14:15]
	v_rcp_f64_e32 v[18:19], v[16:17]
	v_nop
	s_delay_alu instid0(TRANS32_DEP_1) | instskip(NEXT) | instid1(VALU_DEP_1)
	v_fma_f64 v[20:21], -v[16:17], v[18:19], 1.0
	v_fmac_f64_e32 v[18:19], v[18:19], v[20:21]
	s_delay_alu instid0(VALU_DEP_1) | instskip(NEXT) | instid1(VALU_DEP_1)
	v_fma_f64 v[20:21], -v[16:17], v[18:19], 1.0
	v_fmac_f64_e32 v[18:19], v[18:19], v[20:21]
	s_delay_alu instid0(VALU_DEP_1) | instskip(NEXT) | instid1(VALU_DEP_1)
	v_mul_f64_e32 v[20:21], v[22:23], v[18:19]
	v_fma_f64 v[16:17], -v[16:17], v[20:21], v[22:23]
	s_delay_alu instid0(VALU_DEP_1) | instskip(NEXT) | instid1(VALU_DEP_1)
	v_div_fmas_f64 v[16:17], v[16:17], v[18:19], v[20:21]
	v_div_fixup_f64 v[0:1], v[16:17], v[0:1], v[14:15]
	ds_store_b64 v5, v[0:1]
	s_wait_storecnt_dscnt 0x0
	ds_load_b64 v[14:15], v10
	ds_load_b64 v[16:17], v11
	s_wait_dscnt 0x0
	v_fmac_f64_e32 v[16:17], v[0:1], v[14:15]
	ds_store_b64 v11, v[16:17]
	s_branch .LBB35_70
.LBB35_79:
	s_and_saveexec_b32 s1, s0
	s_cbranch_execz .LBB35_81
; %bb.80:
	ds_load_b64 v[0:1], v4
	v_mad_u32 v2, v3, s29, v2
	s_wait_dscnt 0x0
	global_store_b64 v2, v[0:1], s[18:19] scale_offset
.LBB35_81:
	s_wait_xcnt 0x0
	s_or_b32 exec_lo, exec_lo, s1
	v_or_b32_e32 v0, v8, v9
	s_mov_b32 s0, 0
	s_mov_b32 s1, exec_lo
	s_delay_alu instid0(VALU_DEP_1)
	v_cmpx_eq_u32_e32 0, v0
	s_cbranch_execz .LBB35_83
; %bb.82:
	v_dual_mov_b32 v0, 0 :: v_dual_mov_b32 v1, 1
	s_add_nc_u64 s[4:5], s[6:7], s[8:9]
	global_wb scope:SCOPE_DEV
	s_wait_storecnt 0x0
	global_store_b32 v0, v1, s[4:5] scope:SCOPE_DEV
.LBB35_83:
	s_wait_xcnt 0x0
	s_or_b32 exec_lo, exec_lo, s1
	s_delay_alu instid0(SALU_CYCLE_1)
	s_and_b32 vcc_lo, exec_lo, s0
	s_cbranch_vccnz .LBB35_86
.LBB35_84:
	s_endpgm
.LBB35_85:
	s_cbranch_execz .LBB35_84
.LBB35_86:
	v_or_b32_e32 v0, v8, v9
	s_mov_b32 s0, exec_lo
	s_delay_alu instid0(VALU_DEP_1)
	v_cmpx_eq_u32_e32 0, v0
	s_cbranch_execz .LBB35_84
; %bb.87:
	v_mbcnt_lo_u32_b32 v0, exec_lo, 0
	s_mov_b32 s0, exec_lo
	s_delay_alu instid0(VALU_DEP_1)
	v_cmpx_eq_u32_e32 0, v0
	s_cbranch_execz .LBB35_89
; %bb.88:
	s_add_co_i32 s1, s16, s3
	s_delay_alu instid0(SALU_CYCLE_1)
	v_dual_mov_b32 v0, 0 :: v_dual_mov_b32 v1, s1
	global_atomic_min_i32 v0, v1, s[10:11] scope:SCOPE_DEV
.LBB35_89:
	s_wait_xcnt 0x0
	s_or_b32 exec_lo, exec_lo, s0
	v_dual_mov_b32 v0, 0 :: v_dual_mov_b32 v1, 1
	s_add_nc_u64 s[0:1], s[6:7], s[8:9]
	global_wb scope:SCOPE_DEV
	s_wait_storecnt 0x0
	global_store_b32 v0, v1, s[0:1] scope:SCOPE_DEV
	s_endpgm
	.section	.rodata,"a",@progbits
	.p2align	6, 0x0
	.amdhsa_kernel _ZN9rocsparseL17bsric0_2_8_kernelILi64ELi128ELi8EdEEv20rocsparse_direction_iiPKiS3_PT2_S3_PiS3_S6_21rocsparse_index_base_
		.amdhsa_group_segment_fixed_size 3840
		.amdhsa_private_segment_fixed_size 0
		.amdhsa_kernarg_size 76
		.amdhsa_user_sgpr_count 2
		.amdhsa_user_sgpr_dispatch_ptr 0
		.amdhsa_user_sgpr_queue_ptr 0
		.amdhsa_user_sgpr_kernarg_segment_ptr 1
		.amdhsa_user_sgpr_dispatch_id 0
		.amdhsa_user_sgpr_kernarg_preload_length 0
		.amdhsa_user_sgpr_kernarg_preload_offset 0
		.amdhsa_user_sgpr_private_segment_size 0
		.amdhsa_wavefront_size32 1
		.amdhsa_uses_dynamic_stack 0
		.amdhsa_enable_private_segment 0
		.amdhsa_system_sgpr_workgroup_id_x 1
		.amdhsa_system_sgpr_workgroup_id_y 0
		.amdhsa_system_sgpr_workgroup_id_z 0
		.amdhsa_system_sgpr_workgroup_info 0
		.amdhsa_system_vgpr_workitem_id 1
		.amdhsa_next_free_vgpr 41
		.amdhsa_next_free_sgpr 43
		.amdhsa_named_barrier_count 0
		.amdhsa_reserve_vcc 1
		.amdhsa_float_round_mode_32 0
		.amdhsa_float_round_mode_16_64 0
		.amdhsa_float_denorm_mode_32 3
		.amdhsa_float_denorm_mode_16_64 3
		.amdhsa_fp16_overflow 0
		.amdhsa_memory_ordered 1
		.amdhsa_forward_progress 1
		.amdhsa_inst_pref_size 33
		.amdhsa_round_robin_scheduling 0
		.amdhsa_exception_fp_ieee_invalid_op 0
		.amdhsa_exception_fp_denorm_src 0
		.amdhsa_exception_fp_ieee_div_zero 0
		.amdhsa_exception_fp_ieee_overflow 0
		.amdhsa_exception_fp_ieee_underflow 0
		.amdhsa_exception_fp_ieee_inexact 0
		.amdhsa_exception_int_div_zero 0
	.end_amdhsa_kernel
	.section	.text._ZN9rocsparseL17bsric0_2_8_kernelILi64ELi128ELi8EdEEv20rocsparse_direction_iiPKiS3_PT2_S3_PiS3_S6_21rocsparse_index_base_,"axG",@progbits,_ZN9rocsparseL17bsric0_2_8_kernelILi64ELi128ELi8EdEEv20rocsparse_direction_iiPKiS3_PT2_S3_PiS3_S6_21rocsparse_index_base_,comdat
.Lfunc_end35:
	.size	_ZN9rocsparseL17bsric0_2_8_kernelILi64ELi128ELi8EdEEv20rocsparse_direction_iiPKiS3_PT2_S3_PiS3_S6_21rocsparse_index_base_, .Lfunc_end35-_ZN9rocsparseL17bsric0_2_8_kernelILi64ELi128ELi8EdEEv20rocsparse_direction_iiPKiS3_PT2_S3_PiS3_S6_21rocsparse_index_base_
                                        ; -- End function
	.set _ZN9rocsparseL17bsric0_2_8_kernelILi64ELi128ELi8EdEEv20rocsparse_direction_iiPKiS3_PT2_S3_PiS3_S6_21rocsparse_index_base_.num_vgpr, 41
	.set _ZN9rocsparseL17bsric0_2_8_kernelILi64ELi128ELi8EdEEv20rocsparse_direction_iiPKiS3_PT2_S3_PiS3_S6_21rocsparse_index_base_.num_agpr, 0
	.set _ZN9rocsparseL17bsric0_2_8_kernelILi64ELi128ELi8EdEEv20rocsparse_direction_iiPKiS3_PT2_S3_PiS3_S6_21rocsparse_index_base_.numbered_sgpr, 43
	.set _ZN9rocsparseL17bsric0_2_8_kernelILi64ELi128ELi8EdEEv20rocsparse_direction_iiPKiS3_PT2_S3_PiS3_S6_21rocsparse_index_base_.num_named_barrier, 0
	.set _ZN9rocsparseL17bsric0_2_8_kernelILi64ELi128ELi8EdEEv20rocsparse_direction_iiPKiS3_PT2_S3_PiS3_S6_21rocsparse_index_base_.private_seg_size, 0
	.set _ZN9rocsparseL17bsric0_2_8_kernelILi64ELi128ELi8EdEEv20rocsparse_direction_iiPKiS3_PT2_S3_PiS3_S6_21rocsparse_index_base_.uses_vcc, 1
	.set _ZN9rocsparseL17bsric0_2_8_kernelILi64ELi128ELi8EdEEv20rocsparse_direction_iiPKiS3_PT2_S3_PiS3_S6_21rocsparse_index_base_.uses_flat_scratch, 0
	.set _ZN9rocsparseL17bsric0_2_8_kernelILi64ELi128ELi8EdEEv20rocsparse_direction_iiPKiS3_PT2_S3_PiS3_S6_21rocsparse_index_base_.has_dyn_sized_stack, 0
	.set _ZN9rocsparseL17bsric0_2_8_kernelILi64ELi128ELi8EdEEv20rocsparse_direction_iiPKiS3_PT2_S3_PiS3_S6_21rocsparse_index_base_.has_recursion, 0
	.set _ZN9rocsparseL17bsric0_2_8_kernelILi64ELi128ELi8EdEEv20rocsparse_direction_iiPKiS3_PT2_S3_PiS3_S6_21rocsparse_index_base_.has_indirect_call, 0
	.section	.AMDGPU.csdata,"",@progbits
; Kernel info:
; codeLenInByte = 4152
; TotalNumSgprs: 45
; NumVgprs: 41
; ScratchSize: 0
; MemoryBound: 0
; FloatMode: 240
; IeeeMode: 1
; LDSByteSize: 3840 bytes/workgroup (compile time only)
; SGPRBlocks: 0
; VGPRBlocks: 2
; NumSGPRsForWavesPerEU: 45
; NumVGPRsForWavesPerEU: 41
; NamedBarCnt: 0
; Occupancy: 16
; WaveLimiterHint : 1
; COMPUTE_PGM_RSRC2:SCRATCH_EN: 0
; COMPUTE_PGM_RSRC2:USER_SGPR: 2
; COMPUTE_PGM_RSRC2:TRAP_HANDLER: 0
; COMPUTE_PGM_RSRC2:TGID_X_EN: 1
; COMPUTE_PGM_RSRC2:TGID_Y_EN: 0
; COMPUTE_PGM_RSRC2:TGID_Z_EN: 0
; COMPUTE_PGM_RSRC2:TIDIG_COMP_CNT: 1
	.section	.text._ZN9rocsparseL18bsric0_9_16_kernelILi64ELi128ELi16EdEEv20rocsparse_direction_iiPKiS3_PT2_S3_PiS3_S6_21rocsparse_index_base_,"axG",@progbits,_ZN9rocsparseL18bsric0_9_16_kernelILi64ELi128ELi16EdEEv20rocsparse_direction_iiPKiS3_PT2_S3_PiS3_S6_21rocsparse_index_base_,comdat
	.globl	_ZN9rocsparseL18bsric0_9_16_kernelILi64ELi128ELi16EdEEv20rocsparse_direction_iiPKiS3_PT2_S3_PiS3_S6_21rocsparse_index_base_ ; -- Begin function _ZN9rocsparseL18bsric0_9_16_kernelILi64ELi128ELi16EdEEv20rocsparse_direction_iiPKiS3_PT2_S3_PiS3_S6_21rocsparse_index_base_
	.p2align	8
	.type	_ZN9rocsparseL18bsric0_9_16_kernelILi64ELi128ELi16EdEEv20rocsparse_direction_iiPKiS3_PT2_S3_PiS3_S6_21rocsparse_index_base_,@function
_ZN9rocsparseL18bsric0_9_16_kernelILi64ELi128ELi16EdEEv20rocsparse_direction_iiPKiS3_PT2_S3_PiS3_S6_21rocsparse_index_base_: ; @_ZN9rocsparseL18bsric0_9_16_kernelILi64ELi128ELi16EdEEv20rocsparse_direction_iiPKiS3_PT2_S3_PiS3_S6_21rocsparse_index_base_
; %bb.0:
	s_load_b256 s[4:11], s[0:1], 0x28
	s_bfe_u32 s2, ttmp6, 0x4000c
	s_and_b32 s3, ttmp6, 15
	s_add_co_i32 s2, s2, 1
	s_getreg_b32 s12, hwreg(HW_REG_IB_STS2, 6, 4)
	s_mul_i32 s2, ttmp9, s2
	v_and_b32_e32 v8, 0x3ff, v0
	s_add_co_i32 s3, s3, s2
	s_cmp_eq_u32 s12, 0
	v_bfe_u32 v9, v0, 10, 10
	s_cselect_b32 s2, ttmp9, s3
	s_wait_kmcnt 0x0
	s_load_b32 s16, s[8:9], s2 offset:0x0 scale_offset
	s_wait_kmcnt 0x0
	s_ashr_i32 s17, s16, 31
	s_delay_alu instid0(SALU_CYCLE_1) | instskip(NEXT) | instid1(SALU_CYCLE_1)
	s_lshl_b64 s[8:9], s[16:17], 2
	s_add_nc_u64 s[12:13], s[4:5], s[8:9]
	s_load_b32 s17, s[12:13], 0x0
	s_load_b32 s3, s[0:1], 0x48
	s_wait_kmcnt 0x0
	s_cmp_lg_u32 s17, -1
	s_cbranch_scc0 .LBB36_128
; %bb.1:
	s_clause 0x1
	s_load_b128 s[12:15], s[0:1], 0x10
	s_load_b64 s[18:19], s[0:1], 0x20
	v_lshlrev_b32_e32 v0, 2, v9
	s_wait_kmcnt 0x0
	s_add_nc_u64 s[20:21], s[12:13], s[8:9]
	s_load_b32 s2, s[20:21], 0x0
	s_wait_kmcnt 0x0
	s_sub_co_i32 s30, s2, s3
	s_mov_b32 s2, exec_lo
	v_add3_u32 v0, v0, v8, s30
	s_delay_alu instid0(VALU_DEP_1)
	v_cmpx_ge_i32_e64 s17, v0
	s_cbranch_execz .LBB36_4
; %bb.2:
	v_dual_lshlrev_b32 v1, 4, v9 :: v_dual_lshlrev_b32 v2, 2, v8
	s_mov_b32 s20, 0
	s_delay_alu instid0(VALU_DEP_1)
	v_add3_u32 v1, v1, v2, 0x2600
.LBB36_3:                               ; =>This Inner Loop Header: Depth=1
	global_load_b32 v2, v0, s[14:15] scale_offset
	s_wait_xcnt 0x0
	v_add_nc_u32_e32 v0, 64, v0
	s_delay_alu instid0(VALU_DEP_1)
	v_cmp_lt_i32_e32 vcc_lo, s17, v0
	s_or_b32 s20, vcc_lo, s20
	s_wait_loadcnt 0x0
	v_subrev_nc_u32_e32 v2, s3, v2
	ds_store_b32 v1, v2
	v_add_nc_u32_e32 v1, 0x100, v1
	s_and_not1_b32 exec_lo, exec_lo, s20
	s_cbranch_execnz .LBB36_3
.LBB36_4:
	s_or_b32 exec_lo, exec_lo, s2
	v_mul_u32_u24_e32 v10, 0x88, v9
	v_lshlrev_b32_e32 v11, 3, v8
	s_mov_b32 s2, exec_lo
	v_cmpx_gt_u32_e32 16, v8
	s_cbranch_execz .LBB36_7
; %bb.5:
	v_mov_b64_e32 v[0:1], 0
	v_add_nc_u32_e32 v2, -4, v8
	v_add3_u32 v3, v10, v11, 0x1980
	s_mov_b32 s20, 0
.LBB36_6:                               ; =>This Inner Loop Header: Depth=1
	s_delay_alu instid0(VALU_DEP_2) | instskip(SKIP_4) | instid1(SALU_CYCLE_1)
	v_add_nc_u32_e32 v2, 4, v2
	ds_store_b64 v3, v[0:1]
	v_add_nc_u32_e32 v3, 32, v3
	v_cmp_lt_u32_e32 vcc_lo, 11, v2
	s_or_b32 s20, vcc_lo, s20
	s_and_not1_b32 exec_lo, exec_lo, s20
	s_cbranch_execnz .LBB36_6
.LBB36_7:
	s_or_b32 exec_lo, exec_lo, s2
	s_clause 0x1
	s_load_b32 s28, s[0:1], 0x8
	s_load_b32 s29, s[0:1], 0x0
	s_cmp_ge_i32 s30, s17
	s_wait_dscnt 0x0
	s_wait_kmcnt 0x0
	v_cmp_gt_i32_e64 s0, s28, v8
	s_cbranch_scc1 .LBB36_89
; %bb.8:
	v_mad_u32 v0, s28, s30, v9
	v_dual_mov_b32 v22, 0 :: v_dual_bitop2_b32 v1, v8, v9 bitop3:0x54
	v_mul_lo_u32 v15, s28, v9
	v_mul_lo_u32 v17, v8, s28
	v_mad_u32_u24 v13, 0x88, v9, v11
	s_movk_i32 s2, 0x880
	s_movk_i32 s20, 0x88
	v_mad_u32_u24 v14, 0x88, v9, s2
	v_cmp_ne_u32_e64 s2, 0, v1
	s_cmp_lg_u32 s29, 0
	v_mul_lo_u32 v20, s28, v0
	v_mov_b64_e32 v[0:1], 0
	v_cmp_gt_i32_e64 s1, s28, v9
	v_mad_u32_u24 v12, v9, s20, 0x1100
	v_add_nc_u32_e32 v16, 0x880, v13
	v_add_nc_u32_e32 v18, 0x1980, v13
	v_mad_u32_u24 v19, v8, s20, 0x1100
	v_add_nc_u32_e32 v21, 0x1100, v13
	s_cselect_b32 s31, -1, 0
	s_cmp_gt_i32 s28, 0
	s_mul_i32 s34, s28, s28
	s_cselect_b32 s33, -1, 0
	s_lshl_b32 s35, s28, 2
	s_mov_b32 s20, s30
	s_branch .LBB36_10
.LBB36_9:                               ;   in Loop: Header=BB36_10 Depth=1
	s_or_b32 exec_lo, exec_lo, s22
	s_add_co_i32 s20, s20, 1
	v_add_nc_u32_e32 v20, s34, v20
	s_cmp_ge_i32 s20, s17
	global_wb scope:SCOPE_DEV
	s_wait_storecnt 0x0
	global_inv scope:SCOPE_DEV
	s_cselect_b32 s21, -1, 0
	s_delay_alu instid0(SALU_CYCLE_1)
	s_and_b32 vcc_lo, exec_lo, s21
	s_cbranch_vccnz .LBB36_89
.LBB36_10:                              ; =>This Loop Header: Depth=1
                                        ;     Child Loop BB36_14 Depth 2
                                        ;     Child Loop BB36_26 Depth 2
                                        ;     Child Loop BB36_37 Depth 2
                                        ;     Child Loop BB36_41 Depth 2
                                        ;     Child Loop BB36_54 Depth 2
                                        ;       Child Loop BB36_56 Depth 3
                                        ;     Child Loop BB36_70 Depth 2
                                        ;       Child Loop BB36_75 Depth 3
                                        ;       Child Loop BB36_78 Depth 3
                                        ;     Child Loop BB36_84 Depth 2
	s_ashr_i32 s21, s20, 31
	s_delay_alu instid0(SALU_CYCLE_1) | instskip(NEXT) | instid1(SALU_CYCLE_1)
	s_lshl_b64 s[22:23], s[20:21], 2
	s_add_nc_u64 s[22:23], s[14:15], s[22:23]
	s_load_b32 s36, s[22:23], 0x0
	s_wait_kmcnt 0x0
	s_sub_co_i32 s24, s36, s3
	s_delay_alu instid0(SALU_CYCLE_1) | instskip(SKIP_2) | instid1(SALU_CYCLE_1)
	s_ashr_i32 s25, s24, 31
	s_wait_xcnt 0x0
	s_lshl_b64 s[22:23], s[24:25], 2
	s_add_nc_u64 s[26:27], s[4:5], s[22:23]
	s_load_b32 s25, s[26:27], 0x0
	s_wait_kmcnt 0x0
	s_cmp_eq_u32 s25, -1
	s_cbranch_scc1 .LBB36_88
; %bb.11:                               ;   in Loop: Header=BB36_10 Depth=1
	s_wait_xcnt 0x0
	s_add_nc_u64 s[26:27], s[12:13], s[22:23]
	s_mul_i32 s21, s20, s28
	s_load_b32 s26, s[26:27], 0x0
	s_wait_xcnt 0x0
	s_and_saveexec_b32 s27, s0
	s_cbranch_execz .LBB36_24
; %bb.12:                               ;   in Loop: Header=BB36_10 Depth=1
	v_dual_mov_b32 v4, v16 :: v_dual_mov_b32 v5, v8
	s_mov_b32 s37, 0
	s_branch .LBB36_14
.LBB36_13:                              ;   in Loop: Header=BB36_14 Depth=2
	s_wait_xcnt 0x0
	s_or_b32 exec_lo, exec_lo, s39
	v_add_nc_u32_e32 v5, 4, v5
	s_wait_loadcnt 0x0
	ds_store_b64 v4, v[2:3] offset:2176
	ds_store_b64 v4, v[0:1]
	v_add_nc_u32_e32 v4, 32, v4
	v_cmp_le_i32_e32 vcc_lo, s28, v5
	s_or_b32 s37, vcc_lo, s37
	s_delay_alu instid0(SALU_CYCLE_1)
	s_and_not1_b32 exec_lo, exec_lo, s37
	s_cbranch_execz .LBB36_24
.LBB36_14:                              ;   Parent Loop BB36_10 Depth=1
                                        ; =>  This Inner Loop Header: Depth=2
	s_and_b32 vcc_lo, exec_lo, s31
	s_cbranch_vccz .LBB36_21
; %bb.15:                               ;   in Loop: Header=BB36_14 Depth=2
	s_mov_b32 s39, 0
	s_mov_b32 s38, 0
                                        ; implicit-def: $vgpr6
	s_and_saveexec_b32 s40, s1
	s_delay_alu instid0(SALU_CYCLE_1)
	s_xor_b32 s40, exec_lo, s40
; %bb.16:                               ;   in Loop: Header=BB36_14 Depth=2
	v_add_nc_u32_e32 v2, s21, v5
	s_mov_b32 s38, exec_lo
	s_delay_alu instid0(VALU_DEP_1)
	v_mad_u32 v6, v2, s28, v9
; %bb.17:                               ;   in Loop: Header=BB36_14 Depth=2
	s_or_b32 exec_lo, exec_lo, s40
	s_delay_alu instid0(SALU_CYCLE_1)
	s_and_b32 vcc_lo, exec_lo, s39
	s_cbranch_vccz .LBB36_22
.LBB36_18:                              ;   in Loop: Header=BB36_14 Depth=2
                                        ; implicit-def: $vgpr6
	s_and_saveexec_b32 s39, s1
; %bb.19:                               ;   in Loop: Header=BB36_14 Depth=2
	v_add_nc_u32_e32 v6, v20, v5
	s_or_b32 s38, s38, exec_lo
; %bb.20:                               ;   in Loop: Header=BB36_14 Depth=2
	s_or_b32 exec_lo, exec_lo, s39
	v_mov_b64_e32 v[2:3], 0
	s_and_saveexec_b32 s39, s38
	s_cbranch_execz .LBB36_13
	s_branch .LBB36_23
.LBB36_21:                              ;   in Loop: Header=BB36_14 Depth=2
	s_mov_b32 s38, 0
                                        ; implicit-def: $vgpr6
	s_cbranch_execnz .LBB36_18
.LBB36_22:                              ;   in Loop: Header=BB36_14 Depth=2
	v_mov_b64_e32 v[2:3], 0
	s_and_saveexec_b32 s39, s38
	s_cbranch_execz .LBB36_13
.LBB36_23:                              ;   in Loop: Header=BB36_14 Depth=2
	global_load_b64 v[2:3], v6, s[18:19] scale_offset
	s_branch .LBB36_13
.LBB36_24:                              ;   in Loop: Header=BB36_10 Depth=1
	s_or_b32 exec_lo, exec_lo, s27
	ds_load_b32 v2, v22 offset:9728
	s_wait_kmcnt 0x0
	s_sub_co_i32 s26, s26, s3
	s_delay_alu instid0(SALU_CYCLE_1) | instskip(SKIP_4) | instid1(SALU_CYCLE_1)
	s_cmp_le_i32 s26, s25
	s_cselect_b32 s27, -1, 0
	s_wait_dscnt 0x0
	v_cmp_ge_i32_e32 vcc_lo, s24, v2
	s_and_b32 s27, s27, vcc_lo
	s_and_not1_b32 vcc_lo, exec_lo, s27
	s_mov_b32 s27, 0
	s_cbranch_vccnz .LBB36_36
; %bb.25:                               ;   in Loop: Header=BB36_10 Depth=1
	s_mov_b32 s37, 0
	s_mov_b32 s38, 0
.LBB36_26:                              ;   Parent Loop BB36_10 Depth=1
                                        ; =>  This Inner Loop Header: Depth=2
	s_ashr_i32 s27, s26, 31
	s_lshl_b32 s39, s38, 2
	s_wait_xcnt 0x0
	s_lshl_b64 s[40:41], s[26:27], 2
	v_mov_b32_e32 v2, s39
	s_add_nc_u64 s[40:41], s[14:15], s[40:41]
	s_mov_b32 s42, -1
	s_load_b32 s27, s[40:41], 0x0
                                        ; implicit-def: $sgpr41
                                        ; implicit-def: $sgpr40
	ds_load_b32 v2, v2 offset:9728
	s_wait_kmcnt 0x0
	s_sub_co_i32 s43, s27, s3
                                        ; implicit-def: $sgpr27
	s_wait_dscnt 0x0
	v_readfirstlane_b32 s39, v2
	v_cmp_ge_i32_e32 vcc_lo, s43, v2
	s_cbranch_vccz .LBB36_32
; %bb.27:                               ;   in Loop: Header=BB36_26 Depth=2
	s_cmp_le_i32 s43, s39
                                        ; implicit-def: $sgpr27
                                        ; implicit-def: $sgpr41
                                        ; implicit-def: $sgpr40
	s_cbranch_scc0 .LBB36_29
; %bb.28:                               ;   in Loop: Header=BB36_26 Depth=2
	s_add_co_i32 s27, s38, s30
	s_wait_xcnt 0x0
	s_lshl_b32 s40, s37, 2
	s_mul_i32 s27, s27, s34
	s_delay_alu instid0(SALU_CYCLE_1)
	v_dual_mov_b32 v2, s40 :: v_dual_mov_b32 v3, s27
	s_mul_i32 s40, s26, s34
	s_add_co_i32 s41, s26, 1
	v_mov_b32_e32 v4, s40
	s_add_co_i32 s40, s38, 1
	s_add_co_i32 s27, s37, 1
	s_mov_b32 s42, 0
	ds_store_2addr_stride64_b32 v2, v4, v3 offset0:34 offset1:36
.LBB36_29:                              ;   in Loop: Header=BB36_26 Depth=2
	s_and_not1_b32 vcc_lo, exec_lo, s42
	s_cbranch_vccnz .LBB36_31
; %bb.30:                               ;   in Loop: Header=BB36_26 Depth=2
	s_wait_xcnt 0x0
	s_add_co_i32 s40, s38, 1
	s_mov_b32 s27, s37
	s_mov_b32 s41, s26
.LBB36_31:                              ;   in Loop: Header=BB36_26 Depth=2
	s_mov_b32 s42, 0
.LBB36_32:                              ;   in Loop: Header=BB36_26 Depth=2
	s_delay_alu instid0(SALU_CYCLE_1)
	s_and_not1_b32 vcc_lo, exec_lo, s42
	s_cbranch_vccnz .LBB36_34
; %bb.33:                               ;   in Loop: Header=BB36_26 Depth=2
	s_wait_xcnt 0x0
	s_add_co_i32 s41, s26, 1
	s_mov_b32 s40, s38
	s_mov_b32 s27, s37
.LBB36_34:                              ;   in Loop: Header=BB36_26 Depth=2
	s_cmp_le_i32 s41, s25
	s_cselect_b32 s26, -1, 0
	s_cmp_le_i32 s39, s24
	s_cselect_b32 s37, -1, 0
	s_delay_alu instid0(SALU_CYCLE_1) | instskip(NEXT) | instid1(SALU_CYCLE_1)
	s_and_b32 s26, s26, s37
	s_and_b32 vcc_lo, exec_lo, s26
	s_cbranch_vccz .LBB36_36
; %bb.35:                               ;   in Loop: Header=BB36_26 Depth=2
	s_mov_b32 s37, s27
	s_mov_b32 s26, s41
	;; [unrolled: 1-line block ×3, first 2 shown]
	s_branch .LBB36_26
.LBB36_36:                              ;   in Loop: Header=BB36_10 Depth=1
	s_add_nc_u64 s[22:23], s[6:7], s[22:23]
	s_wait_dscnt 0x0
.LBB36_37:                              ;   Parent Loop BB36_10 Depth=1
                                        ; =>  This Inner Loop Header: Depth=2
	global_load_b32 v2, v22, s[22:23] scope:SCOPE_DEV
	s_wait_loadcnt 0x0
	v_cmp_eq_u32_e32 vcc_lo, 0, v2
	s_cbranch_vccnz .LBB36_37
; %bb.38:                               ;   in Loop: Header=BB36_10 Depth=1
	global_inv scope:SCOPE_DEV
	s_wait_xcnt 0x0
	s_and_saveexec_b32 s22, s0
	s_cbranch_execz .LBB36_51
; %bb.39:                               ;   in Loop: Header=BB36_10 Depth=1
	s_mul_i32 s25, s25, s28
	s_delay_alu instid0(SALU_CYCLE_1) | instskip(SKIP_2) | instid1(VALU_DEP_2)
	v_dual_mov_b32 v6, v8 :: v_dual_add_nc_u32 v2, s25, v9
	v_mov_b32_e32 v5, v13
	s_mov_b32 s23, 0
	v_mul_lo_u32 v4, v2, s28
	s_branch .LBB36_41
.LBB36_40:                              ;   in Loop: Header=BB36_41 Depth=2
	s_wait_xcnt 0x0
	s_or_b32 exec_lo, exec_lo, s26
	v_add_nc_u32_e32 v6, 4, v6
	s_wait_loadcnt 0x0
	ds_store_b64 v5, v[2:3]
	v_add_nc_u32_e32 v5, 32, v5
	v_cmp_le_i32_e32 vcc_lo, s28, v6
	s_or_b32 s23, vcc_lo, s23
	s_delay_alu instid0(SALU_CYCLE_1)
	s_and_not1_b32 exec_lo, exec_lo, s23
	s_cbranch_execz .LBB36_51
.LBB36_41:                              ;   Parent Loop BB36_10 Depth=1
                                        ; =>  This Inner Loop Header: Depth=2
	s_and_b32 vcc_lo, exec_lo, s31
	s_cbranch_vccz .LBB36_48
; %bb.42:                               ;   in Loop: Header=BB36_41 Depth=2
	s_mov_b32 s26, 0
	s_mov_b32 s24, 0
                                        ; implicit-def: $vgpr7
	s_and_saveexec_b32 s37, s1
	s_delay_alu instid0(SALU_CYCLE_1)
	s_xor_b32 s37, exec_lo, s37
; %bb.43:                               ;   in Loop: Header=BB36_41 Depth=2
	v_add_nc_u32_e32 v2, s25, v6
	s_mov_b32 s24, exec_lo
	s_delay_alu instid0(VALU_DEP_1)
	v_mad_u32 v7, v2, s28, v9
; %bb.44:                               ;   in Loop: Header=BB36_41 Depth=2
	s_or_b32 exec_lo, exec_lo, s37
	s_delay_alu instid0(SALU_CYCLE_1)
	s_and_b32 vcc_lo, exec_lo, s26
	s_cbranch_vccz .LBB36_49
.LBB36_45:                              ;   in Loop: Header=BB36_41 Depth=2
                                        ; implicit-def: $vgpr7
	s_and_saveexec_b32 s26, s1
; %bb.46:                               ;   in Loop: Header=BB36_41 Depth=2
	s_delay_alu instid0(VALU_DEP_1)
	v_add_nc_u32_e32 v7, v4, v6
	s_or_b32 s24, s24, exec_lo
; %bb.47:                               ;   in Loop: Header=BB36_41 Depth=2
	s_or_b32 exec_lo, exec_lo, s26
	v_mov_b64_e32 v[2:3], 0
	s_and_saveexec_b32 s26, s24
	s_cbranch_execz .LBB36_40
	s_branch .LBB36_50
.LBB36_48:                              ;   in Loop: Header=BB36_41 Depth=2
	s_mov_b32 s24, 0
                                        ; implicit-def: $vgpr7
	s_cbranch_execnz .LBB36_45
.LBB36_49:                              ;   in Loop: Header=BB36_41 Depth=2
	v_mov_b64_e32 v[2:3], 0
	s_and_saveexec_b32 s26, s24
	s_cbranch_execz .LBB36_40
.LBB36_50:                              ;   in Loop: Header=BB36_41 Depth=2
	global_load_b64 v[2:3], v7, s[18:19] scale_offset
	s_branch .LBB36_40
.LBB36_51:                              ;   in Loop: Header=BB36_10 Depth=1
	s_or_b32 exec_lo, exec_lo, s22
	s_cmp_lt_i32 s27, 2
	s_cbranch_scc1 .LBB36_67
; %bb.52:                               ;   in Loop: Header=BB36_10 Depth=1
	s_add_co_i32 s22, s27, -2
	s_mov_b32 s23, 0
	s_branch .LBB36_54
.LBB36_53:                              ;   in Loop: Header=BB36_54 Depth=2
	s_or_b32 exec_lo, exec_lo, s24
	s_add_co_i32 s24, s23, 1
	s_cmp_eq_u32 s23, s22
	s_mov_b32 s23, s24
	s_cbranch_scc1 .LBB36_67
.LBB36_54:                              ;   Parent Loop BB36_10 Depth=1
                                        ; =>  This Loop Header: Depth=2
                                        ;       Child Loop BB36_56 Depth 3
	s_and_saveexec_b32 s24, s0
	s_cbranch_execz .LBB36_53
; %bb.55:                               ;   in Loop: Header=BB36_54 Depth=2
	s_lshl_b32 s25, s23, 2
	s_delay_alu instid0(SALU_CYCLE_1)
	v_dual_mov_b32 v27, v8 :: v_dual_mov_b32 v2, s25
	s_mov_b32 s25, 0
	ds_load_2addr_stride64_b32 v[2:3], v2 offset0:34 offset1:36
	s_wait_dscnt 0x0
	v_add_nc_u32_e32 v23, v3, v15
	v_dual_add_nc_u32 v24, v9, v3 :: v_dual_add_nc_u32 v25, v8, v2
	v_add_nc_u32_e32 v26, v17, v2
.LBB36_56:                              ;   Parent Loop BB36_10 Depth=1
                                        ;     Parent Loop BB36_54 Depth=2
                                        ; =>    This Inner Loop Header: Depth=3
	v_mov_b64_e32 v[2:3], 0
	s_delay_alu instid0(VALU_DEP_3)
	v_dual_mov_b32 v28, v25 :: v_dual_mov_b32 v29, v24
	s_mov_b32 s26, 0
	s_and_b32 vcc_lo, exec_lo, s31
	s_cbranch_vccnz .LBB36_59
	s_branch .LBB36_58
.LBB36_57:                              ;   in Loop: Header=BB36_56 Depth=3
	s_delay_alu instid0(VALU_DEP_2)
	v_mov_b64_e32 v[2:3], v[4:5]
	s_and_b32 vcc_lo, exec_lo, s31
	s_cbranch_vccnz .LBB36_59
.LBB36_58:                              ;   in Loop: Header=BB36_56 Depth=3
                                        ; implicit-def: $vgpr4_vgpr5
	s_cbranch_execz .LBB36_65
	s_branch .LBB36_62
.LBB36_59:                              ;   in Loop: Header=BB36_56 Depth=3
	global_load_b64 v[4:5], v28, s[18:19] scale_offset
	v_mov_b64_e32 v[6:7], 0
	s_wait_xcnt 0x0
	s_and_saveexec_b32 s27, s1
	s_cbranch_execz .LBB36_61
; %bb.60:                               ;   in Loop: Header=BB36_56 Depth=3
	global_load_b64 v[6:7], v29, s[18:19] scale_offset
.LBB36_61:                              ;   in Loop: Header=BB36_56 Depth=3
	s_wait_xcnt 0x0
	s_or_b32 exec_lo, exec_lo, s27
	s_wait_loadcnt 0x0
	v_fma_f64 v[4:5], v[4:5], v[6:7], v[2:3]
	s_branch .LBB36_65
.LBB36_62:                              ;   in Loop: Header=BB36_56 Depth=3
	v_add_nc_u32_e32 v4, s26, v26
	v_mov_b64_e32 v[6:7], 0
	global_load_b64 v[4:5], v4, s[18:19] scale_offset
	s_wait_xcnt 0x0
	s_and_saveexec_b32 s27, s1
	s_cbranch_execz .LBB36_64
; %bb.63:                               ;   in Loop: Header=BB36_56 Depth=3
	v_add_nc_u32_e32 v6, s26, v23
	global_load_b64 v[6:7], v6, s[18:19] scale_offset
.LBB36_64:                              ;   in Loop: Header=BB36_56 Depth=3
	s_wait_xcnt 0x0
	s_or_b32 exec_lo, exec_lo, s27
	s_wait_loadcnt 0x0
	v_fmac_f64_e32 v[2:3], v[4:5], v[6:7]
	s_delay_alu instid0(VALU_DEP_1)
	v_mov_b64_e32 v[4:5], v[2:3]
.LBB36_65:                              ;   in Loop: Header=BB36_56 Depth=3
	v_dual_add_nc_u32 v29, s28, v29 :: v_dual_add_nc_u32 v28, s28, v28
	s_add_co_i32 s26, s26, 1
	s_delay_alu instid0(SALU_CYCLE_1)
	s_cmp_eq_u32 s28, s26
	s_cbranch_scc0 .LBB36_57
; %bb.66:                               ;   in Loop: Header=BB36_56 Depth=3
	v_lshl_add_u32 v6, v27, 3, v14
	v_dual_add_nc_u32 v27, 4, v27 :: v_dual_add_nc_u32 v26, s35, v26
	v_add_nc_u32_e32 v25, 4, v25
	ds_load_b64 v[2:3], v6
	v_cmp_le_i32_e32 vcc_lo, s28, v27
	s_or_b32 s25, vcc_lo, s25
	s_wait_dscnt 0x0
	v_add_f64_e32 v[2:3], v[4:5], v[2:3]
	ds_store_b64 v6, v[2:3]
	s_and_not1_b32 exec_lo, exec_lo, s25
	s_cbranch_execnz .LBB36_56
	s_branch .LBB36_53
.LBB36_67:                              ;   in Loop: Header=BB36_10 Depth=1
	s_and_not1_b32 vcc_lo, exec_lo, s33
	s_wait_loadcnt_dscnt 0x0
	s_cbranch_vccnz .LBB36_79
; %bb.68:                               ;   in Loop: Header=BB36_10 Depth=1
	v_mov_b32_e32 v23, v19
	s_mov_b32 s22, 0
	s_mov_b32 s23, 0
	s_branch .LBB36_70
.LBB36_69:                              ;   in Loop: Header=BB36_70 Depth=2
	s_or_b32 exec_lo, exec_lo, s24
	v_add_nc_u32_e32 v23, 8, v23
	s_add_co_i32 s23, s23, 1
	s_addk_co_i32 s22, 0x88
	s_cmp_eq_u32 s23, s28
	s_wait_dscnt 0x0
	s_cbranch_scc1 .LBB36_79
.LBB36_70:                              ;   Parent Loop BB36_10 Depth=1
                                        ; =>  This Loop Header: Depth=2
                                        ;       Child Loop BB36_75 Depth 3
                                        ;       Child Loop BB36_78 Depth 3
	s_lshl_b32 s24, s23, 3
	s_mul_i32 s25, s23, 0x88
	v_add_nc_u32_e32 v24, s24, v12
	s_add_co_i32 s25, s25, s24
	s_delay_alu instid0(SALU_CYCLE_1)
	v_mov_b32_e32 v2, s25
	ds_load_b64 v[4:5], v2
	ds_load_b64 v[2:3], v24
	s_wait_dscnt 0x1
	v_cmp_neq_f64_e32 vcc_lo, 0, v[4:5]
	v_cndmask_b32_e32 v5, 0x3ff00000, v5, vcc_lo
	v_cndmask_b32_e32 v4, 0, v4, vcc_lo
	s_nor_b32 s25, vcc_lo, s2
	s_delay_alu instid0(SALU_CYCLE_1)
	s_and_saveexec_b32 s24, s25
	s_cbranch_execz .LBB36_74
; %bb.71:                               ;   in Loop: Header=BB36_70 Depth=2
	v_mbcnt_lo_u32_b32 v4, exec_lo, 0
	s_mov_b32 s25, exec_lo
	s_delay_alu instid0(VALU_DEP_1)
	v_cmpx_eq_u32_e32 0, v4
	s_cbranch_execz .LBB36_73
; %bb.72:                               ;   in Loop: Header=BB36_70 Depth=2
	v_mov_b32_e32 v4, s36
	global_atomic_min_i32 v22, v4, s[10:11] scope:SCOPE_DEV
.LBB36_73:                              ;   in Loop: Header=BB36_70 Depth=2
	s_wait_xcnt 0x0
	s_or_b32 exec_lo, exec_lo, s25
	v_mov_b64_e32 v[4:5], 1.0
.LBB36_74:                              ;   in Loop: Header=BB36_70 Depth=2
	s_or_b32 exec_lo, exec_lo, s24
	v_lshl_add_u32 v6, s23, 3, v14
	v_mov_b32_e32 v25, v12
	s_cmp_eq_u32 s23, 0
	s_mov_b32 s24, s22
	s_mov_b32 s25, s23
	ds_load_b64 v[6:7], v6
	s_cbranch_scc1 .LBB36_76
.LBB36_75:                              ;   Parent Loop BB36_10 Depth=1
                                        ;     Parent Loop BB36_70 Depth=2
                                        ; =>    This Inner Loop Header: Depth=3
	v_mov_b32_e32 v28, s24
	s_add_co_i32 s25, s25, -1
	s_add_co_i32 s24, s24, 8
	s_cmp_eq_u32 s25, 0
	ds_load_b64 v[26:27], v25
	ds_load_b64 v[28:29], v28
	v_add_nc_u32_e32 v25, 8, v25
	s_wait_dscnt 0x0
	v_fmac_f64_e32 v[6:7], v[28:29], v[26:27]
	s_cbranch_scc0 .LBB36_75
.LBB36_76:                              ;   in Loop: Header=BB36_70 Depth=2
	s_wait_dscnt 0x0
	s_delay_alu instid0(VALU_DEP_1) | instskip(NEXT) | instid1(VALU_DEP_1)
	v_add_f64_e64 v[2:3], v[2:3], -v[6:7]
	v_div_scale_f64 v[6:7], null, v[4:5], v[4:5], v[2:3]
	v_div_scale_f64 v[30:31], vcc_lo, v[2:3], v[4:5], v[2:3]
	s_delay_alu instid0(VALU_DEP_2) | instskip(SKIP_1) | instid1(TRANS32_DEP_1)
	v_rcp_f64_e32 v[26:27], v[6:7]
	v_nop
	v_fma_f64 v[28:29], -v[6:7], v[26:27], 1.0
	s_delay_alu instid0(VALU_DEP_1) | instskip(NEXT) | instid1(VALU_DEP_1)
	v_fmac_f64_e32 v[26:27], v[26:27], v[28:29]
	v_fma_f64 v[28:29], -v[6:7], v[26:27], 1.0
	s_delay_alu instid0(VALU_DEP_1) | instskip(NEXT) | instid1(VALU_DEP_1)
	v_fmac_f64_e32 v[26:27], v[26:27], v[28:29]
	v_mul_f64_e32 v[28:29], v[30:31], v[26:27]
	s_delay_alu instid0(VALU_DEP_1) | instskip(NEXT) | instid1(VALU_DEP_1)
	v_fma_f64 v[6:7], -v[6:7], v[28:29], v[30:31]
	v_div_fmas_f64 v[6:7], v[6:7], v[26:27], v[28:29]
	s_delay_alu instid0(VALU_DEP_1)
	v_div_fixup_f64 v[2:3], v[6:7], v[4:5], v[2:3]
	ds_store_b64 v24, v[2:3]
	s_wait_storecnt_dscnt 0x0
	s_and_saveexec_b32 s24, s0
	s_cbranch_execz .LBB36_69
; %bb.77:                               ;   in Loop: Header=BB36_70 Depth=2
	v_dual_mov_b32 v4, v23 :: v_dual_mov_b32 v5, v18
	v_mov_b32_e32 v6, v8
	s_mov_b32 s25, 0
.LBB36_78:                              ;   Parent Loop BB36_10 Depth=1
                                        ;     Parent Loop BB36_70 Depth=2
                                        ; =>    This Inner Loop Header: Depth=3
	ds_load_b64 v[24:25], v4
	ds_load_b64 v[26:27], v5
	v_add_nc_u32_e32 v6, 4, v6
	v_add_nc_u32_e32 v4, 0x220, v4
	s_wait_dscnt 0x0
	v_fmac_f64_e32 v[26:27], v[2:3], v[24:25]
	ds_store_b64 v5, v[26:27]
	v_add_nc_u32_e32 v5, 32, v5
	v_cmp_le_i32_e32 vcc_lo, s28, v6
	s_or_b32 s25, vcc_lo, s25
	s_delay_alu instid0(SALU_CYCLE_1)
	s_and_not1_b32 exec_lo, exec_lo, s25
	s_cbranch_execnz .LBB36_78
	s_branch .LBB36_69
.LBB36_79:                              ;   in Loop: Header=BB36_10 Depth=1
	s_and_saveexec_b32 s22, s0
	s_cbranch_execz .LBB36_9
; %bb.80:                               ;   in Loop: Header=BB36_10 Depth=1
	v_dual_mov_b32 v4, v21 :: v_dual_mov_b32 v5, v8
	s_mov_b32 s23, 0
	s_branch .LBB36_84
.LBB36_81:                              ;   in Loop: Header=BB36_84 Depth=2
	v_add_nc_u32_e32 v6, v20, v5
.LBB36_82:                              ;   in Loop: Header=BB36_84 Depth=2
	s_wait_dscnt 0x0
	global_store_b64 v6, v[2:3], s[18:19] scale_offset
.LBB36_83:                              ;   in Loop: Header=BB36_84 Depth=2
	s_wait_xcnt 0x0
	s_or_b32 exec_lo, exec_lo, s24
	v_dual_add_nc_u32 v5, 4, v5 :: v_dual_add_nc_u32 v4, 32, v4
	s_delay_alu instid0(VALU_DEP_1) | instskip(SKIP_1) | instid1(SALU_CYCLE_1)
	v_cmp_le_i32_e32 vcc_lo, s28, v5
	s_or_b32 s23, vcc_lo, s23
	s_and_not1_b32 exec_lo, exec_lo, s23
	s_cbranch_execz .LBB36_9
.LBB36_84:                              ;   Parent Loop BB36_10 Depth=1
                                        ; =>  This Inner Loop Header: Depth=2
	s_and_saveexec_b32 s24, s1
	s_cbranch_execz .LBB36_83
; %bb.85:                               ;   in Loop: Header=BB36_84 Depth=2
	ds_load_b64 v[2:3], v4
	s_and_b32 vcc_lo, exec_lo, s31
	s_cbranch_vccz .LBB36_87
; %bb.86:                               ;   in Loop: Header=BB36_84 Depth=2
	v_add_nc_u32_e32 v6, s21, v5
	s_delay_alu instid0(VALU_DEP_1)
	v_mad_u32 v6, v6, s28, v9
	s_cbranch_execnz .LBB36_82
	s_branch .LBB36_81
.LBB36_87:                              ;   in Loop: Header=BB36_84 Depth=2
                                        ; implicit-def: $vgpr6
	s_branch .LBB36_81
.LBB36_88:                              ;   in Loop: Header=BB36_10 Depth=1
                                        ; implicit-def: $sgpr20
                                        ; implicit-def: $vgpr20
	s_cbranch_execz .LBB36_10
.LBB36_89:
	v_cmp_gt_i32_e64 s0, s28, v8
	s_and_saveexec_b32 s2, s0
	s_cbranch_execz .LBB36_102
; %bb.90:
	s_mul_i32 s4, s17, s28
	v_cmp_gt_i32_e64 s1, s28, v9
	v_dual_add_nc_u32 v0, s4, v9 :: v_dual_mov_b32 v4, v8
	v_add3_u32 v3, v10, v11, 0x1100
	s_cmp_lg_u32 s29, 0
	s_mov_b32 s5, 0
	s_delay_alu instid0(VALU_DEP_2)
	v_mul_lo_u32 v2, v0, s28
	s_cselect_b32 s12, -1, 0
	s_branch .LBB36_92
.LBB36_91:                              ;   in Loop: Header=BB36_92 Depth=1
	s_wait_xcnt 0x0
	s_or_b32 exec_lo, exec_lo, s14
	v_add_nc_u32_e32 v4, 4, v4
	s_wait_loadcnt 0x0
	ds_store_b64 v3, v[0:1]
	v_add_nc_u32_e32 v3, 32, v3
	v_cmp_le_i32_e32 vcc_lo, s28, v4
	s_or_b32 s5, vcc_lo, s5
	s_delay_alu instid0(SALU_CYCLE_1)
	s_and_not1_b32 exec_lo, exec_lo, s5
	s_cbranch_execz .LBB36_102
.LBB36_92:                              ; =>This Inner Loop Header: Depth=1
	s_and_b32 vcc_lo, exec_lo, s12
	s_cbranch_vccz .LBB36_99
; %bb.93:                               ;   in Loop: Header=BB36_92 Depth=1
	s_mov_b32 s14, 0
	s_mov_b32 s13, 0
                                        ; implicit-def: $vgpr5
	s_and_saveexec_b32 s15, s1
	s_delay_alu instid0(SALU_CYCLE_1)
	s_xor_b32 s15, exec_lo, s15
; %bb.94:                               ;   in Loop: Header=BB36_92 Depth=1
	v_add_nc_u32_e32 v0, s4, v4
	s_mov_b32 s13, exec_lo
	s_delay_alu instid0(VALU_DEP_1)
	v_mad_u32 v5, v0, s28, v9
; %bb.95:                               ;   in Loop: Header=BB36_92 Depth=1
	s_or_b32 exec_lo, exec_lo, s15
	s_delay_alu instid0(SALU_CYCLE_1)
	s_and_b32 vcc_lo, exec_lo, s14
	s_cbranch_vccz .LBB36_100
.LBB36_96:                              ;   in Loop: Header=BB36_92 Depth=1
                                        ; implicit-def: $vgpr5
	s_and_saveexec_b32 s14, s1
; %bb.97:                               ;   in Loop: Header=BB36_92 Depth=1
	s_delay_alu instid0(VALU_DEP_1)
	v_add_nc_u32_e32 v5, v2, v4
	s_or_b32 s13, s13, exec_lo
; %bb.98:                               ;   in Loop: Header=BB36_92 Depth=1
	s_or_b32 exec_lo, exec_lo, s14
	v_mov_b64_e32 v[0:1], 0
	s_and_saveexec_b32 s14, s13
	s_cbranch_execz .LBB36_91
	s_branch .LBB36_101
.LBB36_99:                              ;   in Loop: Header=BB36_92 Depth=1
	s_mov_b32 s13, 0
                                        ; implicit-def: $vgpr5
	s_cbranch_execnz .LBB36_96
.LBB36_100:                             ;   in Loop: Header=BB36_92 Depth=1
	v_mov_b64_e32 v[0:1], 0
	s_and_saveexec_b32 s14, s13
	s_cbranch_execz .LBB36_91
.LBB36_101:                             ;   in Loop: Header=BB36_92 Depth=1
	global_load_b64 v[0:1], v5, s[18:19] scale_offset
	s_branch .LBB36_91
.LBB36_102:
	s_or_b32 exec_lo, exec_lo, s2
	s_cmp_lt_i32 s28, 1
	s_wait_loadcnt_dscnt 0x0
	s_cbranch_scc1 .LBB36_115
; %bb.103:
	s_movk_i32 s2, 0x88
	s_movk_i32 s1, 0x1980
	v_dual_lshlrev_b32 v1, 3, v9 :: v_dual_bitop2_b32 v0, v8, v9 bitop3:0x54
	v_mad_u32_u24 v4, v9, s2, 0x1100
	v_mad_u32_u24 v5, 0x88, v9, s1
	v_add3_u32 v12, v10, v11, 0x1980
	s_delay_alu instid0(VALU_DEP_4) | instskip(SKIP_1) | instid1(VALU_DEP_4)
	v_cmp_ne_u32_e64 s1, 0, v0
	v_mad_u32_u24 v13, v8, s2, 0x1100
	v_dual_add_nc_u32 v6, v4, v1 :: v_dual_add_nc_u32 v7, v5, v1
	v_mov_b32_e32 v14, 0
	s_mov_b32 s2, 0
	s_add_co_i32 s4, s16, s3
	s_branch .LBB36_105
.LBB36_104:                             ;   in Loop: Header=BB36_105 Depth=1
	s_or_b32 exec_lo, exec_lo, s5
	v_add_nc_u32_e32 v13, 8, v13
	s_add_co_i32 s2, s2, 1
	s_wait_storecnt_dscnt 0x0
	s_cmp_eq_u32 s2, s28
	s_cbranch_scc1 .LBB36_115
.LBB36_105:                             ; =>This Loop Header: Depth=1
                                        ;     Child Loop BB36_114 Depth 2
	s_mov_b32 s5, exec_lo
	v_cmpx_eq_u32_e64 s2, v9
	s_cbranch_execz .LBB36_107
; %bb.106:                              ;   in Loop: Header=BB36_105 Depth=1
	ds_load_b64 v[0:1], v6
	ds_load_b64 v[2:3], v7
	s_wait_dscnt 0x0
	v_add_f64_e64 v[0:1], v[0:1], -v[2:3]
	s_delay_alu instid0(VALU_DEP_1) | instskip(SKIP_1) | instid1(VALU_DEP_1)
	v_cmp_gt_f64_e32 vcc_lo, 0, v[0:1]
	v_xor_b32_e32 v2, 0x80000000, v1
	v_cndmask_b32_e32 v1, v1, v2, vcc_lo
	s_delay_alu instid0(VALU_DEP_1) | instskip(SKIP_1) | instid1(VALU_DEP_1)
	v_cmp_gt_f64_e32 vcc_lo, 0x10000000, v[0:1]
	v_cndmask_b32_e64 v2, 0, 0x100, vcc_lo
	v_ldexp_f64 v[0:1], v[0:1], v2
	s_delay_alu instid0(VALU_DEP_1) | instskip(SKIP_1) | instid1(TRANS32_DEP_1)
	v_rsq_f64_e32 v[2:3], v[0:1]
	v_nop
	v_mul_f64_e32 v[16:17], v[0:1], v[2:3]
	v_mul_f64_e32 v[2:3], 0.5, v[2:3]
	s_delay_alu instid0(VALU_DEP_1) | instskip(NEXT) | instid1(VALU_DEP_1)
	v_fma_f64 v[18:19], -v[2:3], v[16:17], 0.5
	v_fmac_f64_e32 v[16:17], v[16:17], v[18:19]
	v_fmac_f64_e32 v[2:3], v[2:3], v[18:19]
	s_delay_alu instid0(VALU_DEP_2) | instskip(NEXT) | instid1(VALU_DEP_1)
	v_fma_f64 v[18:19], -v[16:17], v[16:17], v[0:1]
	v_fmac_f64_e32 v[16:17], v[18:19], v[2:3]
	s_delay_alu instid0(VALU_DEP_1) | instskip(NEXT) | instid1(VALU_DEP_1)
	v_fma_f64 v[18:19], -v[16:17], v[16:17], v[0:1]
	v_fmac_f64_e32 v[16:17], v[18:19], v[2:3]
	v_cndmask_b32_e64 v2, 0, 0xffffff80, vcc_lo
	v_cmp_class_f64_e64 vcc_lo, v[0:1], 0x260
	s_delay_alu instid0(VALU_DEP_2) | instskip(NEXT) | instid1(VALU_DEP_1)
	v_ldexp_f64 v[2:3], v[16:17], v2
	v_dual_cndmask_b32 v1, v3, v1 :: v_dual_cndmask_b32 v0, v2, v0
	ds_store_b64 v6, v[0:1]
.LBB36_107:                             ;   in Loop: Header=BB36_105 Depth=1
	s_or_b32 exec_lo, exec_lo, s5
	s_lshl_b32 s5, s2, 3
	s_mul_i32 s12, s2, 0x88
	s_wait_dscnt 0x0
	s_add_co_i32 s12, s12, s5
	s_delay_alu instid0(SALU_CYCLE_1)
	v_dual_mov_b32 v0, s12 :: v_dual_add_nc_u32 v15, s5, v4
	ds_load_b64 v[2:3], v0 offset:4352
	ds_load_b64 v[0:1], v15
	s_wait_dscnt 0x1
	v_cmp_neq_f64_e32 vcc_lo, 0, v[2:3]
	v_cndmask_b32_e32 v3, 0x3ff00000, v3, vcc_lo
	v_cndmask_b32_e32 v2, 0, v2, vcc_lo
	s_nor_b32 s12, vcc_lo, s1
	s_delay_alu instid0(SALU_CYCLE_1)
	s_and_saveexec_b32 s5, s12
	s_cbranch_execz .LBB36_111
; %bb.108:                              ;   in Loop: Header=BB36_105 Depth=1
	v_mbcnt_lo_u32_b32 v2, exec_lo, 0
	s_mov_b32 s12, exec_lo
	s_delay_alu instid0(VALU_DEP_1)
	v_cmpx_eq_u32_e32 0, v2
	s_cbranch_execz .LBB36_110
; %bb.109:                              ;   in Loop: Header=BB36_105 Depth=1
	v_mov_b32_e32 v2, s4
	global_atomic_min_i32 v14, v2, s[10:11] scope:SCOPE_DEV
.LBB36_110:                             ;   in Loop: Header=BB36_105 Depth=1
	s_wait_xcnt 0x0
	s_or_b32 exec_lo, exec_lo, s12
	v_mov_b64_e32 v[2:3], 1.0
.LBB36_111:                             ;   in Loop: Header=BB36_105 Depth=1
	s_or_b32 exec_lo, exec_lo, s5
	s_delay_alu instid0(SALU_CYCLE_1)
	s_mov_b32 s5, exec_lo
	v_cmpx_lt_u32_e64 s2, v9
	s_cbranch_execz .LBB36_104
; %bb.112:                              ;   in Loop: Header=BB36_105 Depth=1
	v_lshl_add_u32 v16, s2, 3, v5
	ds_load_b64 v[16:17], v16
	s_wait_dscnt 0x0
	v_add_f64_e64 v[0:1], v[0:1], -v[16:17]
	s_delay_alu instid0(VALU_DEP_1) | instskip(SKIP_1) | instid1(VALU_DEP_2)
	v_div_scale_f64 v[16:17], null, v[2:3], v[2:3], v[0:1]
	v_div_scale_f64 v[22:23], vcc_lo, v[0:1], v[2:3], v[0:1]
	v_rcp_f64_e32 v[18:19], v[16:17]
	v_nop
	s_delay_alu instid0(TRANS32_DEP_1) | instskip(NEXT) | instid1(VALU_DEP_1)
	v_fma_f64 v[20:21], -v[16:17], v[18:19], 1.0
	v_fmac_f64_e32 v[18:19], v[18:19], v[20:21]
	s_delay_alu instid0(VALU_DEP_1) | instskip(NEXT) | instid1(VALU_DEP_1)
	v_fma_f64 v[20:21], -v[16:17], v[18:19], 1.0
	v_fmac_f64_e32 v[18:19], v[18:19], v[20:21]
	s_delay_alu instid0(VALU_DEP_1) | instskip(NEXT) | instid1(VALU_DEP_1)
	v_mul_f64_e32 v[20:21], v[22:23], v[18:19]
	v_fma_f64 v[16:17], -v[16:17], v[20:21], v[22:23]
	s_delay_alu instid0(VALU_DEP_1) | instskip(NEXT) | instid1(VALU_DEP_1)
	v_div_fmas_f64 v[16:17], v[16:17], v[18:19], v[20:21]
	v_div_fixup_f64 v[0:1], v[16:17], v[2:3], v[0:1]
	ds_store_b64 v15, v[0:1]
	s_wait_storecnt_dscnt 0x0
	s_and_b32 exec_lo, exec_lo, s0
	s_cbranch_execz .LBB36_104
; %bb.113:                              ;   in Loop: Header=BB36_105 Depth=1
	v_dual_mov_b32 v2, v13 :: v_dual_mov_b32 v3, v12
	v_mov_b32_e32 v15, v8
	s_mov_b32 s12, 0
.LBB36_114:                             ;   Parent Loop BB36_105 Depth=1
                                        ; =>  This Inner Loop Header: Depth=2
	ds_load_b64 v[16:17], v2
	ds_load_b64 v[18:19], v3
	v_add_nc_u32_e32 v15, 4, v15
	v_add_nc_u32_e32 v2, 0x220, v2
	s_delay_alu instid0(VALU_DEP_2)
	v_cmp_le_i32_e32 vcc_lo, s28, v15
	s_or_b32 s12, vcc_lo, s12
	s_wait_dscnt 0x0
	v_fmac_f64_e32 v[18:19], v[0:1], v[16:17]
	ds_store_b64 v3, v[18:19]
	v_add_nc_u32_e32 v3, 32, v3
	s_and_not1_b32 exec_lo, exec_lo, s12
	s_cbranch_execnz .LBB36_114
	s_branch .LBB36_104
.LBB36_115:
	s_and_saveexec_b32 s1, s0
	s_cbranch_execz .LBB36_124
; %bb.116:
	s_mul_i32 s17, s17, s28
	v_cmp_gt_i32_e64 s0, s28, v9
	v_dual_add_nc_u32 v0, s17, v9 :: v_dual_mov_b32 v4, v8
	v_add3_u32 v3, v10, v11, 0x1100
	s_cmp_lg_u32 s29, 0
	s_mov_b32 s2, 0
	s_delay_alu instid0(VALU_DEP_2)
	v_mul_lo_u32 v2, v0, s28
	s_cselect_b32 s4, -1, 0
	s_branch .LBB36_120
.LBB36_117:                             ;   in Loop: Header=BB36_120 Depth=1
	v_add_nc_u32_e32 v5, v2, v4
.LBB36_118:                             ;   in Loop: Header=BB36_120 Depth=1
	s_wait_dscnt 0x0
	global_store_b64 v5, v[0:1], s[18:19] scale_offset
.LBB36_119:                             ;   in Loop: Header=BB36_120 Depth=1
	s_wait_xcnt 0x0
	s_or_b32 exec_lo, exec_lo, s5
	v_dual_add_nc_u32 v4, 4, v4 :: v_dual_add_nc_u32 v3, 32, v3
	s_delay_alu instid0(VALU_DEP_1) | instskip(SKIP_1) | instid1(SALU_CYCLE_1)
	v_cmp_le_i32_e32 vcc_lo, s28, v4
	s_or_b32 s2, vcc_lo, s2
	s_and_not1_b32 exec_lo, exec_lo, s2
	s_cbranch_execz .LBB36_124
.LBB36_120:                             ; =>This Inner Loop Header: Depth=1
	s_and_saveexec_b32 s5, s0
	s_cbranch_execz .LBB36_119
; %bb.121:                              ;   in Loop: Header=BB36_120 Depth=1
	ds_load_b64 v[0:1], v3
	s_and_b32 vcc_lo, exec_lo, s4
	s_cbranch_vccz .LBB36_123
; %bb.122:                              ;   in Loop: Header=BB36_120 Depth=1
	v_add_nc_u32_e32 v5, s17, v4
	s_delay_alu instid0(VALU_DEP_1)
	v_mad_u32 v5, v5, s28, v9
	s_cbranch_execnz .LBB36_118
	s_branch .LBB36_117
.LBB36_123:                             ;   in Loop: Header=BB36_120 Depth=1
                                        ; implicit-def: $vgpr5
	s_branch .LBB36_117
.LBB36_124:
	s_or_b32 exec_lo, exec_lo, s1
	v_or_b32_e32 v0, v8, v9
	s_mov_b32 s0, 0
	s_mov_b32 s1, exec_lo
	s_delay_alu instid0(VALU_DEP_1)
	v_cmpx_eq_u32_e32 0, v0
	s_cbranch_execz .LBB36_126
; %bb.125:
	v_dual_mov_b32 v0, 0 :: v_dual_mov_b32 v1, 1
	s_add_nc_u64 s[4:5], s[6:7], s[8:9]
	global_wb scope:SCOPE_DEV
	s_wait_storecnt 0x0
	global_store_b32 v0, v1, s[4:5] scope:SCOPE_DEV
.LBB36_126:
	s_wait_xcnt 0x0
	s_or_b32 exec_lo, exec_lo, s1
	s_delay_alu instid0(SALU_CYCLE_1)
	s_and_b32 vcc_lo, exec_lo, s0
	s_cbranch_vccnz .LBB36_129
.LBB36_127:
	s_endpgm
.LBB36_128:
	s_cbranch_execz .LBB36_127
.LBB36_129:
	v_or_b32_e32 v0, v8, v9
	s_mov_b32 s0, exec_lo
	s_delay_alu instid0(VALU_DEP_1)
	v_cmpx_eq_u32_e32 0, v0
	s_cbranch_execz .LBB36_127
; %bb.130:
	v_mbcnt_lo_u32_b32 v0, exec_lo, 0
	s_mov_b32 s0, exec_lo
	s_delay_alu instid0(VALU_DEP_1)
	v_cmpx_eq_u32_e32 0, v0
	s_cbranch_execz .LBB36_132
; %bb.131:
	s_add_co_i32 s1, s16, s3
	s_delay_alu instid0(SALU_CYCLE_1)
	v_dual_mov_b32 v0, 0 :: v_dual_mov_b32 v1, s1
	global_atomic_min_i32 v0, v1, s[10:11] scope:SCOPE_DEV
.LBB36_132:
	s_wait_xcnt 0x0
	s_or_b32 exec_lo, exec_lo, s0
	v_dual_mov_b32 v0, 0 :: v_dual_mov_b32 v1, 1
	s_add_nc_u64 s[0:1], s[6:7], s[8:9]
	global_wb scope:SCOPE_DEV
	s_wait_storecnt 0x0
	global_store_b32 v0, v1, s[0:1] scope:SCOPE_DEV
	s_endpgm
	.section	.rodata,"a",@progbits
	.p2align	6, 0x0
	.amdhsa_kernel _ZN9rocsparseL18bsric0_9_16_kernelILi64ELi128ELi16EdEEv20rocsparse_direction_iiPKiS3_PT2_S3_PiS3_S6_21rocsparse_index_base_
		.amdhsa_group_segment_fixed_size 10240
		.amdhsa_private_segment_fixed_size 0
		.amdhsa_kernarg_size 76
		.amdhsa_user_sgpr_count 2
		.amdhsa_user_sgpr_dispatch_ptr 0
		.amdhsa_user_sgpr_queue_ptr 0
		.amdhsa_user_sgpr_kernarg_segment_ptr 1
		.amdhsa_user_sgpr_dispatch_id 0
		.amdhsa_user_sgpr_kernarg_preload_length 0
		.amdhsa_user_sgpr_kernarg_preload_offset 0
		.amdhsa_user_sgpr_private_segment_size 0
		.amdhsa_wavefront_size32 1
		.amdhsa_uses_dynamic_stack 0
		.amdhsa_enable_private_segment 0
		.amdhsa_system_sgpr_workgroup_id_x 1
		.amdhsa_system_sgpr_workgroup_id_y 0
		.amdhsa_system_sgpr_workgroup_id_z 0
		.amdhsa_system_sgpr_workgroup_info 0
		.amdhsa_system_vgpr_workitem_id 1
		.amdhsa_next_free_vgpr 113
		.amdhsa_next_free_sgpr 44
		.amdhsa_named_barrier_count 0
		.amdhsa_reserve_vcc 1
		.amdhsa_float_round_mode_32 0
		.amdhsa_float_round_mode_16_64 0
		.amdhsa_float_denorm_mode_32 3
		.amdhsa_float_denorm_mode_16_64 3
		.amdhsa_fp16_overflow 0
		.amdhsa_memory_ordered 1
		.amdhsa_forward_progress 1
		.amdhsa_inst_pref_size 32
		.amdhsa_round_robin_scheduling 0
		.amdhsa_exception_fp_ieee_invalid_op 0
		.amdhsa_exception_fp_denorm_src 0
		.amdhsa_exception_fp_ieee_div_zero 0
		.amdhsa_exception_fp_ieee_overflow 0
		.amdhsa_exception_fp_ieee_underflow 0
		.amdhsa_exception_fp_ieee_inexact 0
		.amdhsa_exception_int_div_zero 0
	.end_amdhsa_kernel
	.section	.text._ZN9rocsparseL18bsric0_9_16_kernelILi64ELi128ELi16EdEEv20rocsparse_direction_iiPKiS3_PT2_S3_PiS3_S6_21rocsparse_index_base_,"axG",@progbits,_ZN9rocsparseL18bsric0_9_16_kernelILi64ELi128ELi16EdEEv20rocsparse_direction_iiPKiS3_PT2_S3_PiS3_S6_21rocsparse_index_base_,comdat
.Lfunc_end36:
	.size	_ZN9rocsparseL18bsric0_9_16_kernelILi64ELi128ELi16EdEEv20rocsparse_direction_iiPKiS3_PT2_S3_PiS3_S6_21rocsparse_index_base_, .Lfunc_end36-_ZN9rocsparseL18bsric0_9_16_kernelILi64ELi128ELi16EdEEv20rocsparse_direction_iiPKiS3_PT2_S3_PiS3_S6_21rocsparse_index_base_
                                        ; -- End function
	.set _ZN9rocsparseL18bsric0_9_16_kernelILi64ELi128ELi16EdEEv20rocsparse_direction_iiPKiS3_PT2_S3_PiS3_S6_21rocsparse_index_base_.num_vgpr, 32
	.set _ZN9rocsparseL18bsric0_9_16_kernelILi64ELi128ELi16EdEEv20rocsparse_direction_iiPKiS3_PT2_S3_PiS3_S6_21rocsparse_index_base_.num_agpr, 0
	.set _ZN9rocsparseL18bsric0_9_16_kernelILi64ELi128ELi16EdEEv20rocsparse_direction_iiPKiS3_PT2_S3_PiS3_S6_21rocsparse_index_base_.numbered_sgpr, 44
	.set _ZN9rocsparseL18bsric0_9_16_kernelILi64ELi128ELi16EdEEv20rocsparse_direction_iiPKiS3_PT2_S3_PiS3_S6_21rocsparse_index_base_.num_named_barrier, 0
	.set _ZN9rocsparseL18bsric0_9_16_kernelILi64ELi128ELi16EdEEv20rocsparse_direction_iiPKiS3_PT2_S3_PiS3_S6_21rocsparse_index_base_.private_seg_size, 0
	.set _ZN9rocsparseL18bsric0_9_16_kernelILi64ELi128ELi16EdEEv20rocsparse_direction_iiPKiS3_PT2_S3_PiS3_S6_21rocsparse_index_base_.uses_vcc, 1
	.set _ZN9rocsparseL18bsric0_9_16_kernelILi64ELi128ELi16EdEEv20rocsparse_direction_iiPKiS3_PT2_S3_PiS3_S6_21rocsparse_index_base_.uses_flat_scratch, 0
	.set _ZN9rocsparseL18bsric0_9_16_kernelILi64ELi128ELi16EdEEv20rocsparse_direction_iiPKiS3_PT2_S3_PiS3_S6_21rocsparse_index_base_.has_dyn_sized_stack, 0
	.set _ZN9rocsparseL18bsric0_9_16_kernelILi64ELi128ELi16EdEEv20rocsparse_direction_iiPKiS3_PT2_S3_PiS3_S6_21rocsparse_index_base_.has_recursion, 0
	.set _ZN9rocsparseL18bsric0_9_16_kernelILi64ELi128ELi16EdEEv20rocsparse_direction_iiPKiS3_PT2_S3_PiS3_S6_21rocsparse_index_base_.has_indirect_call, 0
	.section	.AMDGPU.csdata,"",@progbits
; Kernel info:
; codeLenInByte = 4016
; TotalNumSgprs: 46
; NumVgprs: 32
; ScratchSize: 0
; MemoryBound: 0
; FloatMode: 240
; IeeeMode: 1
; LDSByteSize: 10240 bytes/workgroup (compile time only)
; SGPRBlocks: 0
; VGPRBlocks: 7
; NumSGPRsForWavesPerEU: 46
; NumVGPRsForWavesPerEU: 113
; NamedBarCnt: 0
; Occupancy: 8
; WaveLimiterHint : 1
; COMPUTE_PGM_RSRC2:SCRATCH_EN: 0
; COMPUTE_PGM_RSRC2:USER_SGPR: 2
; COMPUTE_PGM_RSRC2:TRAP_HANDLER: 0
; COMPUTE_PGM_RSRC2:TGID_X_EN: 1
; COMPUTE_PGM_RSRC2:TGID_Y_EN: 0
; COMPUTE_PGM_RSRC2:TGID_Z_EN: 0
; COMPUTE_PGM_RSRC2:TIDIG_COMP_CNT: 1
	.section	.text._ZN9rocsparseL19bsric0_17_32_kernelILi64ELi128ELi32EdEEv20rocsparse_direction_iiPKiS3_PT2_S3_PiS3_S6_21rocsparse_index_base_,"axG",@progbits,_ZN9rocsparseL19bsric0_17_32_kernelILi64ELi128ELi32EdEEv20rocsparse_direction_iiPKiS3_PT2_S3_PiS3_S6_21rocsparse_index_base_,comdat
	.globl	_ZN9rocsparseL19bsric0_17_32_kernelILi64ELi128ELi32EdEEv20rocsparse_direction_iiPKiS3_PT2_S3_PiS3_S6_21rocsparse_index_base_ ; -- Begin function _ZN9rocsparseL19bsric0_17_32_kernelILi64ELi128ELi32EdEEv20rocsparse_direction_iiPKiS3_PT2_S3_PiS3_S6_21rocsparse_index_base_
	.p2align	8
	.type	_ZN9rocsparseL19bsric0_17_32_kernelILi64ELi128ELi32EdEEv20rocsparse_direction_iiPKiS3_PT2_S3_PiS3_S6_21rocsparse_index_base_,@function
_ZN9rocsparseL19bsric0_17_32_kernelILi64ELi128ELi32EdEEv20rocsparse_direction_iiPKiS3_PT2_S3_PiS3_S6_21rocsparse_index_base_: ; @_ZN9rocsparseL19bsric0_17_32_kernelILi64ELi128ELi32EdEEv20rocsparse_direction_iiPKiS3_PT2_S3_PiS3_S6_21rocsparse_index_base_
; %bb.0:
	s_load_b256 s[4:11], s[0:1], 0x28
	s_bfe_u32 s2, ttmp6, 0x4000c
	s_and_b32 s3, ttmp6, 15
	s_add_co_i32 s2, s2, 1
	s_getreg_b32 s12, hwreg(HW_REG_IB_STS2, 6, 4)
	s_mul_i32 s2, ttmp9, s2
	v_and_b32_e32 v8, 0x3ff, v0
	s_add_co_i32 s3, s3, s2
	s_cmp_eq_u32 s12, 0
	v_bfe_u32 v9, v0, 10, 10
	s_cselect_b32 s2, ttmp9, s3
	s_wait_kmcnt 0x0
	s_load_b32 s16, s[8:9], s2 offset:0x0 scale_offset
	s_wait_kmcnt 0x0
	s_ashr_i32 s17, s16, 31
	s_delay_alu instid0(SALU_CYCLE_1) | instskip(NEXT) | instid1(SALU_CYCLE_1)
	s_lshl_b64 s[8:9], s[16:17], 2
	s_add_nc_u64 s[12:13], s[4:5], s[8:9]
	s_load_b32 s17, s[12:13], 0x0
	s_load_b32 s3, s[0:1], 0x48
	s_wait_kmcnt 0x0
	s_cmp_lg_u32 s17, -1
	s_cbranch_scc0 .LBB37_118
; %bb.1:
	s_clause 0x1
	s_load_b128 s[12:15], s[0:1], 0x10
	s_load_b64 s[18:19], s[0:1], 0x20
	v_dual_lshlrev_b32 v0, 1, v9 :: v_dual_lshlrev_b32 v12, 3, v9
	s_wait_kmcnt 0x0
	s_add_nc_u64 s[20:21], s[12:13], s[8:9]
	s_load_b32 s2, s[20:21], 0x0
	s_wait_kmcnt 0x0
	s_sub_co_i32 s30, s2, s3
	s_mov_b32 s2, exec_lo
	v_add3_u32 v0, v0, v8, s30
	s_delay_alu instid0(VALU_DEP_1)
	v_cmpx_ge_i32_e64 s17, v0
	s_cbranch_execz .LBB37_4
; %bb.2:
	v_lshlrev_b32_e32 v1, 2, v8
	s_mov_b32 s20, 0
	s_delay_alu instid0(VALU_DEP_1)
	v_add3_u32 v1, v12, v1, 0x6700
.LBB37_3:                               ; =>This Inner Loop Header: Depth=1
	global_load_b32 v2, v0, s[14:15] scale_offset
	s_wait_xcnt 0x0
	v_add_nc_u32_e32 v0, 64, v0
	s_delay_alu instid0(VALU_DEP_1)
	v_cmp_lt_i32_e32 vcc_lo, s17, v0
	s_or_b32 s20, vcc_lo, s20
	s_wait_loadcnt 0x0
	v_subrev_nc_u32_e32 v2, s3, v2
	ds_store_b32 v1, v2
	v_add_nc_u32_e32 v1, 0x100, v1
	s_and_not1_b32 exec_lo, exec_lo, s20
	s_cbranch_execnz .LBB37_3
.LBB37_4:
	s_or_b32 exec_lo, exec_lo, s2
	v_mul_u32_u24_e32 v10, 0x108, v9
	v_lshlrev_b32_e32 v11, 3, v8
	s_mov_b32 s2, exec_lo
	v_cmpx_gt_u32_e32 32, v8
	s_cbranch_execz .LBB37_7
; %bb.5:
	v_mov_b64_e32 v[0:1], 0
	v_add_nc_u32_e32 v2, -2, v8
	v_add3_u32 v3, v10, v11, 0x4200
	s_mov_b32 s20, 0
.LBB37_6:                               ; =>This Inner Loop Header: Depth=1
	s_delay_alu instid0(VALU_DEP_2) | instskip(SKIP_4) | instid1(SALU_CYCLE_1)
	v_add_nc_u32_e32 v2, 2, v2
	ds_store_b64 v3, v[0:1]
	v_add_nc_u32_e32 v3, 16, v3
	v_cmp_lt_u32_e32 vcc_lo, 29, v2
	s_or_b32 s20, vcc_lo, s20
	s_and_not1_b32 exec_lo, exec_lo, s20
	s_cbranch_execnz .LBB37_6
.LBB37_7:
	s_or_b32 exec_lo, exec_lo, s2
	s_clause 0x1
	s_load_b32 s28, s[0:1], 0x8
	s_load_b32 s29, s[0:1], 0x0
	s_cmp_ge_i32 s30, s17
	s_wait_dscnt 0x0
	s_wait_kmcnt 0x0
	v_cmp_gt_i32_e64 s0, s28, v8
	s_cbranch_scc1 .LBB37_79
; %bb.8:
	v_mad_u32 v0, s28, s30, v9
	v_dual_mov_b32 v21, 0 :: v_dual_bitop2_b32 v1, v8, v9 bitop3:0x54
	v_mul_lo_u32 v14, s28, v9
	v_mul_lo_u32 v16, v8, s28
	v_mad_u32_u24 v15, 0x108, v9, v11
	s_cmp_eq_u32 s29, 0
	s_movk_i32 s20, 0x2100
	v_cmp_ne_u32_e64 s2, 0, v1
	s_cselect_b32 s31, -1, 0
	s_cmp_lg_u32 s29, 0
	v_mul_lo_u32 v19, s28, v0
	v_mov_b64_e32 v[0:1], 0
	v_cmp_gt_i32_e64 s1, s28, v9
	v_mad_u32_u24 v13, 0x108, v9, s20
	v_add_nc_u32_e32 v17, 0x4200, v15
	v_mad_u32_u24 v18, 0x108, v8, s20
	v_add_nc_u32_e32 v20, 0x2100, v15
	s_cselect_b32 s33, -1, 0
	s_cmp_gt_i32 s28, 0
	s_mul_i32 s35, s28, s28
	s_cselect_b32 s34, -1, 0
	s_lshl_b32 s36, s28, 1
	s_mov_b32 s20, s30
	s_branch .LBB37_10
.LBB37_9:                               ;   in Loop: Header=BB37_10 Depth=1
	s_or_b32 exec_lo, exec_lo, s22
	s_add_co_i32 s20, s20, 1
	v_add_nc_u32_e32 v19, s35, v19
	s_cmp_ge_i32 s20, s17
	global_wb scope:SCOPE_DEV
	s_wait_storecnt 0x0
	global_inv scope:SCOPE_DEV
	s_cselect_b32 s21, -1, 0
	s_delay_alu instid0(SALU_CYCLE_1)
	s_and_b32 vcc_lo, exec_lo, s21
	s_cbranch_vccnz .LBB37_79
.LBB37_10:                              ; =>This Loop Header: Depth=1
                                        ;     Child Loop BB37_14 Depth 2
                                        ;     Child Loop BB37_26 Depth 2
	;; [unrolled: 1-line block ×4, first 2 shown]
                                        ;       Child Loop BB37_43 Depth 3
                                        ;         Child Loop BB37_48 Depth 4
                                        ;     Child Loop BB37_57 Depth 2
                                        ;       Child Loop BB37_64 Depth 3
                                        ;       Child Loop BB37_68 Depth 3
                                        ;     Child Loop BB37_73 Depth 2
	s_ashr_i32 s21, s20, 31
	s_delay_alu instid0(SALU_CYCLE_1) | instskip(NEXT) | instid1(SALU_CYCLE_1)
	s_lshl_b64 s[22:23], s[20:21], 2
	s_add_nc_u64 s[22:23], s[14:15], s[22:23]
	s_load_b32 s37, s[22:23], 0x0
	s_wait_kmcnt 0x0
	s_sub_co_i32 s24, s37, s3
	s_delay_alu instid0(SALU_CYCLE_1) | instskip(SKIP_2) | instid1(SALU_CYCLE_1)
	s_ashr_i32 s25, s24, 31
	s_wait_xcnt 0x0
	s_lshl_b64 s[22:23], s[24:25], 2
	s_add_nc_u64 s[26:27], s[4:5], s[22:23]
	s_load_b32 s25, s[26:27], 0x0
	s_wait_kmcnt 0x0
	s_cmp_eq_u32 s25, -1
	s_cbranch_scc1 .LBB37_78
; %bb.11:                               ;   in Loop: Header=BB37_10 Depth=1
	s_wait_xcnt 0x0
	s_add_nc_u64 s[26:27], s[12:13], s[22:23]
	s_mul_i32 s21, s20, s28
	s_load_b32 s26, s[26:27], 0x0
	s_wait_xcnt 0x0
	s_and_saveexec_b32 s27, s0
	s_cbranch_execz .LBB37_24
; %bb.12:                               ;   in Loop: Header=BB37_10 Depth=1
	v_dual_mov_b32 v4, v15 :: v_dual_mov_b32 v5, v8
	s_mov_b32 s38, 0
	s_branch .LBB37_14
.LBB37_13:                              ;   in Loop: Header=BB37_14 Depth=2
	s_wait_xcnt 0x0
	s_or_b32 exec_lo, exec_lo, s40
	v_add_nc_u32_e32 v5, 2, v5
	s_wait_loadcnt 0x0
	ds_store_b64 v4, v[2:3] offset:8448
	ds_store_b64 v4, v[0:1]
	v_add_nc_u32_e32 v4, 16, v4
	v_cmp_le_i32_e32 vcc_lo, s28, v5
	s_or_b32 s38, vcc_lo, s38
	s_delay_alu instid0(SALU_CYCLE_1)
	s_and_not1_b32 exec_lo, exec_lo, s38
	s_cbranch_execz .LBB37_24
.LBB37_14:                              ;   Parent Loop BB37_10 Depth=1
                                        ; =>  This Inner Loop Header: Depth=2
	s_mov_b32 s40, -1
	s_and_b32 vcc_lo, exec_lo, s33
	s_mov_b32 s39, 0
                                        ; implicit-def: $vgpr6
	s_cbranch_vccz .LBB37_19
; %bb.15:                               ;   in Loop: Header=BB37_14 Depth=2
	s_mov_b32 s40, 0
                                        ; implicit-def: $vgpr6
	s_and_saveexec_b32 s41, s1
	s_delay_alu instid0(SALU_CYCLE_1)
	s_xor_b32 s41, exec_lo, s41
; %bb.16:                               ;   in Loop: Header=BB37_14 Depth=2
	v_add_nc_u32_e32 v2, s21, v5
	s_mov_b32 s39, exec_lo
	s_delay_alu instid0(VALU_DEP_1)
	v_mad_u32 v6, v2, s28, v9
; %bb.17:                               ;   in Loop: Header=BB37_14 Depth=2
	s_or_b32 exec_lo, exec_lo, s41
	s_delay_alu instid0(SALU_CYCLE_1)
	s_and_b32 vcc_lo, exec_lo, s40
	s_cbranch_vccnz .LBB37_20
.LBB37_18:                              ;   in Loop: Header=BB37_14 Depth=2
	v_mov_b64_e32 v[2:3], 0
	s_and_saveexec_b32 s40, s39
	s_cbranch_execz .LBB37_13
	s_branch .LBB37_23
.LBB37_19:                              ;   in Loop: Header=BB37_14 Depth=2
	s_and_b32 vcc_lo, exec_lo, s40
	s_cbranch_vccz .LBB37_18
.LBB37_20:                              ;   in Loop: Header=BB37_14 Depth=2
                                        ; implicit-def: $vgpr6
	s_and_saveexec_b32 s40, s1
; %bb.21:                               ;   in Loop: Header=BB37_14 Depth=2
	v_add_nc_u32_e32 v6, v19, v5
	s_or_b32 s39, s39, exec_lo
; %bb.22:                               ;   in Loop: Header=BB37_14 Depth=2
	s_or_b32 exec_lo, exec_lo, s40
	v_mov_b64_e32 v[2:3], 0
	s_and_saveexec_b32 s40, s39
	s_cbranch_execz .LBB37_13
.LBB37_23:                              ;   in Loop: Header=BB37_14 Depth=2
	global_load_b64 v[2:3], v6, s[18:19] scale_offset
	s_branch .LBB37_13
.LBB37_24:                              ;   in Loop: Header=BB37_10 Depth=1
	s_or_b32 exec_lo, exec_lo, s27
	ds_load_b32 v2, v21 offset:26368
	s_wait_kmcnt 0x0
	s_sub_co_i32 s26, s26, s3
	s_delay_alu instid0(SALU_CYCLE_1) | instskip(SKIP_4) | instid1(SALU_CYCLE_1)
	s_cmp_le_i32 s26, s25
	s_cselect_b32 s27, -1, 0
	s_wait_dscnt 0x0
	v_cmp_ge_i32_e32 vcc_lo, s24, v2
	s_and_b32 s27, s27, vcc_lo
	s_and_not1_b32 vcc_lo, exec_lo, s27
	s_mov_b32 s27, 0
	s_cbranch_vccnz .LBB37_36
; %bb.25:                               ;   in Loop: Header=BB37_10 Depth=1
	s_mov_b32 s38, 0
	s_mov_b32 s39, 0
.LBB37_26:                              ;   Parent Loop BB37_10 Depth=1
                                        ; =>  This Inner Loop Header: Depth=2
	s_ashr_i32 s27, s26, 31
	s_lshl_b32 s42, s39, 2
	s_lshl_b64 s[40:41], s[26:27], 2
	v_mov_b32_e32 v2, s42
	s_add_nc_u64 s[40:41], s[14:15], s[40:41]
	s_mov_b32 s43, -1
	s_load_b32 s27, s[40:41], 0x0
                                        ; implicit-def: $sgpr42
                                        ; implicit-def: $sgpr41
	ds_load_b32 v2, v2 offset:26368
	s_wait_kmcnt 0x0
	s_sub_co_i32 s44, s27, s3
                                        ; implicit-def: $sgpr27
	s_wait_dscnt 0x0
	s_wait_xcnt 0x0
	v_readfirstlane_b32 s40, v2
	v_cmp_ge_i32_e32 vcc_lo, s44, v2
	s_cbranch_vccz .LBB37_32
; %bb.27:                               ;   in Loop: Header=BB37_26 Depth=2
	s_cmp_le_i32 s44, s40
                                        ; implicit-def: $sgpr27
                                        ; implicit-def: $sgpr42
                                        ; implicit-def: $sgpr41
	s_cbranch_scc0 .LBB37_29
; %bb.28:                               ;   in Loop: Header=BB37_26 Depth=2
	s_add_co_i32 s27, s39, s30
	s_lshl_b32 s41, s38, 2
	s_mul_i32 s27, s27, s35
	s_delay_alu instid0(SALU_CYCLE_1)
	v_dual_mov_b32 v2, s41 :: v_dual_mov_b32 v3, s27
	s_mul_i32 s41, s26, s35
	s_add_co_i32 s42, s26, 1
	v_mov_b32_e32 v4, s41
	s_add_co_i32 s41, s39, 1
	s_add_co_i32 s27, s38, 1
	s_mov_b32 s43, 0
	ds_store_2addr_stride64_b32 v2, v4, v3 offset0:99 offset1:101
.LBB37_29:                              ;   in Loop: Header=BB37_26 Depth=2
	s_and_not1_b32 vcc_lo, exec_lo, s43
	s_cbranch_vccnz .LBB37_31
; %bb.30:                               ;   in Loop: Header=BB37_26 Depth=2
	s_add_co_i32 s41, s39, 1
	s_mov_b32 s27, s38
	s_mov_b32 s42, s26
.LBB37_31:                              ;   in Loop: Header=BB37_26 Depth=2
	s_mov_b32 s43, 0
.LBB37_32:                              ;   in Loop: Header=BB37_26 Depth=2
	s_delay_alu instid0(SALU_CYCLE_1)
	s_and_not1_b32 vcc_lo, exec_lo, s43
	s_cbranch_vccnz .LBB37_34
; %bb.33:                               ;   in Loop: Header=BB37_26 Depth=2
	s_add_co_i32 s42, s26, 1
	s_mov_b32 s41, s39
	s_mov_b32 s27, s38
.LBB37_34:                              ;   in Loop: Header=BB37_26 Depth=2
	s_cmp_le_i32 s42, s25
	s_cselect_b32 s26, -1, 0
	s_cmp_le_i32 s40, s24
	s_cselect_b32 s38, -1, 0
	s_delay_alu instid0(SALU_CYCLE_1) | instskip(NEXT) | instid1(SALU_CYCLE_1)
	s_and_b32 s26, s26, s38
	s_and_b32 vcc_lo, exec_lo, s26
	s_cbranch_vccz .LBB37_36
; %bb.35:                               ;   in Loop: Header=BB37_26 Depth=2
	s_mov_b32 s38, s27
	s_mov_b32 s26, s42
	;; [unrolled: 1-line block ×3, first 2 shown]
	s_branch .LBB37_26
.LBB37_36:                              ;   in Loop: Header=BB37_10 Depth=1
	s_add_nc_u64 s[22:23], s[6:7], s[22:23]
	s_wait_dscnt 0x0
.LBB37_37:                              ;   Parent Loop BB37_10 Depth=1
                                        ; =>  This Inner Loop Header: Depth=2
	global_load_b32 v2, v21, s[22:23] scope:SCOPE_DEV
	s_wait_loadcnt 0x0
	v_cmp_eq_u32_e32 vcc_lo, 0, v2
	s_cbranch_vccnz .LBB37_37
; %bb.38:                               ;   in Loop: Header=BB37_10 Depth=1
	s_cmp_lt_i32 s27, 2
	global_inv scope:SCOPE_DEV
	s_cbranch_scc1 .LBB37_54
; %bb.39:                               ;   in Loop: Header=BB37_10 Depth=1
	s_wait_xcnt 0x0
	s_add_co_i32 s22, s27, -2
	s_mov_b32 s23, 0
	s_branch .LBB37_41
.LBB37_40:                              ;   in Loop: Header=BB37_41 Depth=2
	s_or_b32 exec_lo, exec_lo, s24
	s_add_co_i32 s24, s23, 1
	s_cmp_eq_u32 s23, s22
	s_mov_b32 s23, s24
	s_cbranch_scc1 .LBB37_54
.LBB37_41:                              ;   Parent Loop BB37_10 Depth=1
                                        ; =>  This Loop Header: Depth=2
                                        ;       Child Loop BB37_43 Depth 3
                                        ;         Child Loop BB37_48 Depth 4
	s_and_saveexec_b32 s24, s0
	s_cbranch_execz .LBB37_40
; %bb.42:                               ;   in Loop: Header=BB37_41 Depth=2
	s_lshl_b32 s26, s23, 2
	s_delay_alu instid0(SALU_CYCLE_1)
	v_dual_mov_b32 v26, v8 :: v_dual_mov_b32 v2, s26
	s_mov_b32 s26, 0
	ds_load_2addr_stride64_b32 v[2:3], v2 offset0:99 offset1:101
	s_wait_dscnt 0x0
	v_dual_add_nc_u32 v22, v3, v14 :: v_dual_add_nc_u32 v23, v9, v3
	v_add_nc_u32_e32 v24, v8, v2
	v_add_nc_u32_e32 v25, v16, v2
.LBB37_43:                              ;   Parent Loop BB37_10 Depth=1
                                        ;     Parent Loop BB37_41 Depth=2
                                        ; =>    This Loop Header: Depth=3
                                        ;         Child Loop BB37_48 Depth 4
	v_mov_b64_e32 v[2:3], 0
	s_delay_alu instid0(VALU_DEP_3)
	v_dual_mov_b32 v27, v24 :: v_dual_mov_b32 v28, v23
	s_mov_b32 s27, 0
	s_and_b32 vcc_lo, exec_lo, s33
	s_mov_b32 s38, -1
                                        ; implicit-def: $vgpr4_vgpr5
	s_cbranch_vccz .LBB37_48
	s_branch .LBB37_45
.LBB37_44:                              ;   in Loop: Header=BB37_48 Depth=4
	s_delay_alu instid0(VALU_DEP_2)
	v_mov_b64_e32 v[2:3], v[4:5]
	s_and_b32 vcc_lo, exec_lo, s33
	s_mov_b32 s38, -1
                                        ; implicit-def: $vgpr4_vgpr5
	s_cbranch_vccz .LBB37_48
.LBB37_45:                              ;   in Loop: Header=BB37_43 Depth=3
	global_load_b64 v[4:5], v27, s[18:19] scale_offset
	v_mov_b64_e32 v[6:7], 0
	s_wait_xcnt 0x0
	s_and_saveexec_b32 s38, s1
	s_cbranch_execz .LBB37_47
; %bb.46:                               ;   in Loop: Header=BB37_43 Depth=3
	global_load_b64 v[6:7], v28, s[18:19] scale_offset
.LBB37_47:                              ;   in Loop: Header=BB37_43 Depth=3
	s_wait_xcnt 0x0
	s_or_b32 exec_lo, exec_lo, s38
	s_wait_loadcnt 0x0
	v_fma_f64 v[4:5], v[4:5], v[6:7], v[2:3]
	s_mov_b32 s38, 0
.LBB37_48:                              ;   Parent Loop BB37_10 Depth=1
                                        ;     Parent Loop BB37_41 Depth=2
                                        ;       Parent Loop BB37_43 Depth=3
                                        ; =>      This Inner Loop Header: Depth=4
	s_delay_alu instid0(SALU_CYCLE_1)
	s_and_b32 vcc_lo, exec_lo, s38
	s_cbranch_vccz .LBB37_52
; %bb.49:                               ;   in Loop: Header=BB37_48 Depth=4
	v_add_nc_u32_e32 v4, s27, v25
	v_mov_b64_e32 v[6:7], 0
	global_load_b64 v[4:5], v4, s[18:19] scale_offset
	s_wait_xcnt 0x0
	s_and_saveexec_b32 s38, s1
	s_cbranch_execz .LBB37_51
; %bb.50:                               ;   in Loop: Header=BB37_48 Depth=4
	v_add_nc_u32_e32 v6, s27, v22
	global_load_b64 v[6:7], v6, s[18:19] scale_offset
.LBB37_51:                              ;   in Loop: Header=BB37_48 Depth=4
	s_wait_xcnt 0x0
	s_or_b32 exec_lo, exec_lo, s38
	s_wait_loadcnt 0x0
	v_fmac_f64_e32 v[2:3], v[4:5], v[6:7]
	s_delay_alu instid0(VALU_DEP_1)
	v_mov_b64_e32 v[4:5], v[2:3]
.LBB37_52:                              ;   in Loop: Header=BB37_48 Depth=4
	v_dual_add_nc_u32 v28, s28, v28 :: v_dual_add_nc_u32 v27, s28, v27
	s_add_co_i32 s27, s27, 1
	s_delay_alu instid0(SALU_CYCLE_1)
	s_cmp_eq_u32 s28, s27
	s_cbranch_scc0 .LBB37_44
; %bb.53:                               ;   in Loop: Header=BB37_43 Depth=3
	v_lshl_add_u32 v6, v26, 3, v10
	v_dual_add_nc_u32 v26, 2, v26 :: v_dual_add_nc_u32 v25, s36, v25
	v_add_nc_u32_e32 v24, 2, v24
	ds_load_b64 v[2:3], v6
	v_cmp_le_i32_e32 vcc_lo, s28, v26
	s_or_b32 s26, vcc_lo, s26
	s_wait_dscnt 0x0
	v_add_f64_e32 v[2:3], v[4:5], v[2:3]
	ds_store_b64 v6, v[2:3]
	s_and_not1_b32 exec_lo, exec_lo, s26
	s_cbranch_execnz .LBB37_43
	s_branch .LBB37_40
.LBB37_54:                              ;   in Loop: Header=BB37_10 Depth=1
	s_and_not1_b32 vcc_lo, exec_lo, s34
	s_wait_loadcnt_dscnt 0x0
	s_cbranch_vccnz .LBB37_69
; %bb.55:                               ;   in Loop: Header=BB37_10 Depth=1
	v_mov_b32_e32 v22, v18
	s_wait_xcnt 0x0
	s_mul_i32 s22, s35, s25
	s_mov_b32 s23, 0
	s_mov_b32 s24, s22
	s_branch .LBB37_57
.LBB37_56:                              ;   in Loop: Header=BB37_57 Depth=2
	s_or_b32 exec_lo, exec_lo, s25
	v_add_nc_u32_e32 v22, 8, v22
	s_add_co_i32 s23, s23, 1
	s_add_co_i32 s24, s24, 1
	s_cmp_eq_u32 s23, s28
	s_wait_dscnt 0x0
	s_cbranch_scc1 .LBB37_69
.LBB37_57:                              ;   Parent Loop BB37_10 Depth=1
                                        ; =>  This Loop Header: Depth=2
                                        ;       Child Loop BB37_64 Depth 3
                                        ;       Child Loop BB37_68 Depth 3
	s_mul_i32 s25, s23, s28
	v_lshl_add_u32 v23, s23, 3, v13
	s_add_co_i32 s25, s25, s22
	s_delay_alu instid0(SALU_CYCLE_1) | instskip(NEXT) | instid1(SALU_CYCLE_1)
	s_add_co_i32 s26, s25, s23
	v_mov_b32_e32 v2, s26
	global_load_b64 v[4:5], v2, s[18:19] scale_offset
	s_wait_xcnt 0x0
	ds_load_b64 v[2:3], v23
	s_wait_loadcnt 0x0
	v_cmp_neq_f64_e32 vcc_lo, 0, v[4:5]
	v_cndmask_b32_e32 v5, 0x3ff00000, v5, vcc_lo
	v_cndmask_b32_e32 v4, 0, v4, vcc_lo
	s_nor_b32 s27, vcc_lo, s2
	s_delay_alu instid0(SALU_CYCLE_1)
	s_and_saveexec_b32 s26, s27
	s_cbranch_execz .LBB37_61
; %bb.58:                               ;   in Loop: Header=BB37_57 Depth=2
	v_mbcnt_lo_u32_b32 v4, exec_lo, 0
	s_mov_b32 s27, exec_lo
	s_delay_alu instid0(VALU_DEP_1)
	v_cmpx_eq_u32_e32 0, v4
	s_cbranch_execz .LBB37_60
; %bb.59:                               ;   in Loop: Header=BB37_57 Depth=2
	v_mov_b32_e32 v4, s37
	global_atomic_min_i32 v21, v4, s[10:11] scope:SCOPE_DEV
.LBB37_60:                              ;   in Loop: Header=BB37_57 Depth=2
	s_wait_xcnt 0x0
	s_or_b32 exec_lo, exec_lo, s27
	v_mov_b64_e32 v[4:5], 1.0
.LBB37_61:                              ;   in Loop: Header=BB37_57 Depth=2
	s_or_b32 exec_lo, exec_lo, s26
	v_lshl_add_u32 v6, s23, 3, v10
	s_cmp_eq_u32 s23, 0
	ds_load_b64 v[6:7], v6
	s_cbranch_scc1 .LBB37_66
; %bb.62:                               ;   in Loop: Header=BB37_57 Depth=2
	v_mov_b32_e32 v24, v13
	s_mov_b32 s26, 0
	s_mov_b32 s27, s23
	;; [unrolled: 1-line block ×3, first 2 shown]
	s_branch .LBB37_64
.LBB37_63:                              ;   in Loop: Header=BB37_64 Depth=3
	s_wait_xcnt 0x0
	v_mov_b32_e32 v25, s39
	ds_load_b64 v[28:29], v24
	v_add_nc_u32_e32 v24, 8, v24
	s_add_co_i32 s27, s27, -1
	s_add_co_i32 s26, s26, 1
	global_load_b64 v[26:27], v25, s[18:19] scale_offset
	s_add_co_i32 s38, s38, s28
	s_cmp_eq_u32 s27, 0
	s_wait_loadcnt_dscnt 0x0
	v_fmac_f64_e32 v[6:7], v[26:27], v[28:29]
	s_cbranch_scc1 .LBB37_66
.LBB37_64:                              ;   Parent Loop BB37_10 Depth=1
                                        ;     Parent Loop BB37_57 Depth=2
                                        ; =>    This Inner Loop Header: Depth=3
	s_and_not1_b32 vcc_lo, exec_lo, s31
	s_mov_b32 s39, s38
	s_cbranch_vccnz .LBB37_63
; %bb.65:                               ;   in Loop: Header=BB37_64 Depth=3
	s_add_co_i32 s39, s26, s25
	s_branch .LBB37_63
.LBB37_66:                              ;   in Loop: Header=BB37_57 Depth=2
	s_wait_dscnt 0x0
	s_delay_alu instid0(VALU_DEP_1) | instskip(NEXT) | instid1(VALU_DEP_1)
	v_add_f64_e64 v[2:3], v[2:3], -v[6:7]
	v_div_scale_f64 v[6:7], null, v[4:5], v[4:5], v[2:3]
	v_div_scale_f64 v[28:29], vcc_lo, v[2:3], v[4:5], v[2:3]
	s_wait_xcnt 0x0
	s_delay_alu instid0(VALU_DEP_2) | instskip(SKIP_1) | instid1(TRANS32_DEP_1)
	v_rcp_f64_e32 v[24:25], v[6:7]
	v_nop
	v_fma_f64 v[26:27], -v[6:7], v[24:25], 1.0
	s_delay_alu instid0(VALU_DEP_1) | instskip(NEXT) | instid1(VALU_DEP_1)
	v_fmac_f64_e32 v[24:25], v[24:25], v[26:27]
	v_fma_f64 v[26:27], -v[6:7], v[24:25], 1.0
	s_delay_alu instid0(VALU_DEP_1) | instskip(NEXT) | instid1(VALU_DEP_1)
	v_fmac_f64_e32 v[24:25], v[24:25], v[26:27]
	v_mul_f64_e32 v[26:27], v[28:29], v[24:25]
	s_delay_alu instid0(VALU_DEP_1) | instskip(NEXT) | instid1(VALU_DEP_1)
	v_fma_f64 v[6:7], -v[6:7], v[26:27], v[28:29]
	v_div_fmas_f64 v[6:7], v[6:7], v[24:25], v[26:27]
	s_delay_alu instid0(VALU_DEP_1)
	v_div_fixup_f64 v[2:3], v[6:7], v[4:5], v[2:3]
	ds_store_b64 v23, v[2:3]
	s_wait_storecnt_dscnt 0x0
	s_and_saveexec_b32 s25, s0
	s_cbranch_execz .LBB37_56
; %bb.67:                               ;   in Loop: Header=BB37_57 Depth=2
	v_dual_mov_b32 v4, v22 :: v_dual_mov_b32 v5, v17
	v_mov_b32_e32 v6, v8
	s_mov_b32 s26, 0
.LBB37_68:                              ;   Parent Loop BB37_10 Depth=1
                                        ;     Parent Loop BB37_57 Depth=2
                                        ; =>    This Inner Loop Header: Depth=3
	ds_load_b64 v[24:25], v4
	ds_load_b64 v[26:27], v5
	v_add_nc_u32_e32 v6, 2, v6
	v_add_nc_u32_e32 v4, 0x210, v4
	s_wait_dscnt 0x0
	v_fmac_f64_e32 v[26:27], v[2:3], v[24:25]
	ds_store_b64 v5, v[26:27]
	v_add_nc_u32_e32 v5, 16, v5
	v_cmp_le_i32_e32 vcc_lo, s28, v6
	s_or_b32 s26, vcc_lo, s26
	s_delay_alu instid0(SALU_CYCLE_1)
	s_and_not1_b32 exec_lo, exec_lo, s26
	s_cbranch_execnz .LBB37_68
	s_branch .LBB37_56
.LBB37_69:                              ;   in Loop: Header=BB37_10 Depth=1
	s_wait_xcnt 0x0
	s_and_saveexec_b32 s22, s0
	s_cbranch_execz .LBB37_9
; %bb.70:                               ;   in Loop: Header=BB37_10 Depth=1
	v_dual_mov_b32 v4, v20 :: v_dual_mov_b32 v5, v8
	s_mov_b32 s23, 0
	s_branch .LBB37_73
.LBB37_71:                              ;   in Loop: Header=BB37_73 Depth=2
	s_wait_dscnt 0x0
	global_store_b64 v6, v[2:3], s[18:19] scale_offset
.LBB37_72:                              ;   in Loop: Header=BB37_73 Depth=2
	s_wait_xcnt 0x0
	s_or_b32 exec_lo, exec_lo, s24
	v_dual_add_nc_u32 v5, 2, v5 :: v_dual_add_nc_u32 v4, 16, v4
	s_delay_alu instid0(VALU_DEP_1) | instskip(SKIP_1) | instid1(SALU_CYCLE_1)
	v_cmp_le_i32_e32 vcc_lo, s28, v5
	s_or_b32 s23, vcc_lo, s23
	s_and_not1_b32 exec_lo, exec_lo, s23
	s_cbranch_execz .LBB37_9
.LBB37_73:                              ;   Parent Loop BB37_10 Depth=1
                                        ; =>  This Inner Loop Header: Depth=2
	s_and_saveexec_b32 s24, s1
	s_cbranch_execz .LBB37_72
; %bb.74:                               ;   in Loop: Header=BB37_73 Depth=2
	ds_load_b64 v[2:3], v4
	s_and_b32 vcc_lo, exec_lo, s33
	s_mov_b32 s25, -1
                                        ; implicit-def: $vgpr6
	s_cbranch_vccz .LBB37_76
; %bb.75:                               ;   in Loop: Header=BB37_73 Depth=2
	v_add_nc_u32_e32 v6, s21, v5
	s_mov_b32 s25, 0
	s_delay_alu instid0(VALU_DEP_1)
	v_mad_u32 v6, v6, s28, v9
.LBB37_76:                              ;   in Loop: Header=BB37_73 Depth=2
	s_and_not1_b32 vcc_lo, exec_lo, s25
	s_cbranch_vccnz .LBB37_71
; %bb.77:                               ;   in Loop: Header=BB37_73 Depth=2
	v_add_nc_u32_e32 v6, v19, v5
	s_branch .LBB37_71
.LBB37_78:                              ;   in Loop: Header=BB37_10 Depth=1
                                        ; implicit-def: $sgpr20
                                        ; implicit-def: $vgpr19
	s_cbranch_execz .LBB37_10
.LBB37_79:
	v_cmp_gt_i32_e64 s0, s28, v8
	s_and_saveexec_b32 s2, s0
	s_cbranch_execz .LBB37_92
; %bb.80:
	s_mul_i32 s4, s17, s28
	v_cmp_gt_i32_e64 s1, s28, v9
	v_dual_add_nc_u32 v0, s4, v9 :: v_dual_mov_b32 v4, v8
	v_add3_u32 v3, v10, v11, 0x2100
	s_cmp_lg_u32 s29, 0
	s_mov_b32 s5, 0
	s_delay_alu instid0(VALU_DEP_2)
	v_mul_lo_u32 v2, v0, s28
	s_cselect_b32 s12, -1, 0
	s_branch .LBB37_82
.LBB37_81:                              ;   in Loop: Header=BB37_82 Depth=1
	s_wait_xcnt 0x0
	s_or_b32 exec_lo, exec_lo, s14
	v_add_nc_u32_e32 v4, 2, v4
	s_wait_loadcnt 0x0
	ds_store_b64 v3, v[0:1]
	v_add_nc_u32_e32 v3, 16, v3
	v_cmp_le_i32_e32 vcc_lo, s28, v4
	s_or_b32 s5, vcc_lo, s5
	s_delay_alu instid0(SALU_CYCLE_1)
	s_and_not1_b32 exec_lo, exec_lo, s5
	s_cbranch_execz .LBB37_92
.LBB37_82:                              ; =>This Inner Loop Header: Depth=1
	s_and_b32 vcc_lo, exec_lo, s12
	s_cbranch_vccz .LBB37_89
; %bb.83:                               ;   in Loop: Header=BB37_82 Depth=1
	s_mov_b32 s14, 0
	s_mov_b32 s13, 0
                                        ; implicit-def: $vgpr5
	s_and_saveexec_b32 s15, s1
	s_delay_alu instid0(SALU_CYCLE_1)
	s_xor_b32 s15, exec_lo, s15
; %bb.84:                               ;   in Loop: Header=BB37_82 Depth=1
	v_add_nc_u32_e32 v0, s4, v4
	s_mov_b32 s13, exec_lo
	s_delay_alu instid0(VALU_DEP_1)
	v_mad_u32 v5, v0, s28, v9
; %bb.85:                               ;   in Loop: Header=BB37_82 Depth=1
	s_or_b32 exec_lo, exec_lo, s15
	s_delay_alu instid0(SALU_CYCLE_1)
	s_and_b32 vcc_lo, exec_lo, s14
	s_cbranch_vccz .LBB37_90
.LBB37_86:                              ;   in Loop: Header=BB37_82 Depth=1
                                        ; implicit-def: $vgpr5
	s_and_saveexec_b32 s14, s1
; %bb.87:                               ;   in Loop: Header=BB37_82 Depth=1
	s_delay_alu instid0(VALU_DEP_1)
	v_add_nc_u32_e32 v5, v2, v4
	s_or_b32 s13, s13, exec_lo
; %bb.88:                               ;   in Loop: Header=BB37_82 Depth=1
	s_or_b32 exec_lo, exec_lo, s14
	v_mov_b64_e32 v[0:1], 0
	s_and_saveexec_b32 s14, s13
	s_cbranch_execz .LBB37_81
	s_branch .LBB37_91
.LBB37_89:                              ;   in Loop: Header=BB37_82 Depth=1
	s_mov_b32 s13, 0
                                        ; implicit-def: $vgpr5
	s_cbranch_execnz .LBB37_86
.LBB37_90:                              ;   in Loop: Header=BB37_82 Depth=1
	v_mov_b64_e32 v[0:1], 0
	s_and_saveexec_b32 s14, s13
	s_cbranch_execz .LBB37_81
.LBB37_91:                              ;   in Loop: Header=BB37_82 Depth=1
	global_load_b64 v[0:1], v5, s[18:19] scale_offset
	s_branch .LBB37_81
.LBB37_92:
	s_or_b32 exec_lo, exec_lo, s2
	s_cmp_lt_i32 s28, 1
	s_wait_loadcnt_dscnt 0x0
	s_cbranch_scc1 .LBB37_105
; %bb.93:
	s_movk_i32 s2, 0x108
	s_movk_i32 s1, 0x4200
	v_mad_u32_u24 v4, v9, s2, 0x2100
	v_mad_u32_u24 v5, 0x108, v9, s1
	v_or_b32_e32 v0, v8, v9
	v_mad_u32_u24 v13, v8, s2, 0x2100
	s_mov_b32 s2, 0
	v_dual_add_nc_u32 v6, v4, v12 :: v_dual_mov_b32 v14, 0
	v_add_nc_u32_e32 v7, v5, v12
	v_cmp_ne_u32_e64 s1, 0, v0
	v_add3_u32 v12, v10, v11, 0x4200
	s_add_co_i32 s4, s16, s3
	s_branch .LBB37_95
.LBB37_94:                              ;   in Loop: Header=BB37_95 Depth=1
	s_or_b32 exec_lo, exec_lo, s5
	v_add_nc_u32_e32 v13, 8, v13
	s_add_co_i32 s2, s2, 1
	s_wait_storecnt_dscnt 0x0
	s_cmp_eq_u32 s2, s28
	s_cbranch_scc1 .LBB37_105
.LBB37_95:                              ; =>This Loop Header: Depth=1
                                        ;     Child Loop BB37_104 Depth 2
	s_mov_b32 s5, exec_lo
	v_cmpx_eq_u32_e64 s2, v9
	s_cbranch_execz .LBB37_97
; %bb.96:                               ;   in Loop: Header=BB37_95 Depth=1
	ds_load_b64 v[0:1], v6
	ds_load_b64 v[2:3], v7
	s_wait_dscnt 0x0
	v_add_f64_e64 v[0:1], v[0:1], -v[2:3]
	s_delay_alu instid0(VALU_DEP_1) | instskip(SKIP_1) | instid1(VALU_DEP_1)
	v_cmp_gt_f64_e32 vcc_lo, 0, v[0:1]
	v_xor_b32_e32 v2, 0x80000000, v1
	v_cndmask_b32_e32 v1, v1, v2, vcc_lo
	s_delay_alu instid0(VALU_DEP_1) | instskip(SKIP_1) | instid1(VALU_DEP_1)
	v_cmp_gt_f64_e32 vcc_lo, 0x10000000, v[0:1]
	v_cndmask_b32_e64 v2, 0, 0x100, vcc_lo
	v_ldexp_f64 v[0:1], v[0:1], v2
	s_delay_alu instid0(VALU_DEP_1) | instskip(SKIP_1) | instid1(TRANS32_DEP_1)
	v_rsq_f64_e32 v[2:3], v[0:1]
	v_nop
	v_mul_f64_e32 v[16:17], v[0:1], v[2:3]
	v_mul_f64_e32 v[2:3], 0.5, v[2:3]
	s_delay_alu instid0(VALU_DEP_1) | instskip(NEXT) | instid1(VALU_DEP_1)
	v_fma_f64 v[18:19], -v[2:3], v[16:17], 0.5
	v_fmac_f64_e32 v[16:17], v[16:17], v[18:19]
	v_fmac_f64_e32 v[2:3], v[2:3], v[18:19]
	s_delay_alu instid0(VALU_DEP_2) | instskip(NEXT) | instid1(VALU_DEP_1)
	v_fma_f64 v[18:19], -v[16:17], v[16:17], v[0:1]
	v_fmac_f64_e32 v[16:17], v[18:19], v[2:3]
	s_delay_alu instid0(VALU_DEP_1) | instskip(NEXT) | instid1(VALU_DEP_1)
	v_fma_f64 v[18:19], -v[16:17], v[16:17], v[0:1]
	v_fmac_f64_e32 v[16:17], v[18:19], v[2:3]
	v_cndmask_b32_e64 v2, 0, 0xffffff80, vcc_lo
	v_cmp_class_f64_e64 vcc_lo, v[0:1], 0x260
	s_delay_alu instid0(VALU_DEP_2) | instskip(NEXT) | instid1(VALU_DEP_1)
	v_ldexp_f64 v[2:3], v[16:17], v2
	v_dual_cndmask_b32 v1, v3, v1 :: v_dual_cndmask_b32 v0, v2, v0
	ds_store_b64 v6, v[0:1]
.LBB37_97:                              ;   in Loop: Header=BB37_95 Depth=1
	s_or_b32 exec_lo, exec_lo, s5
	s_lshl_b32 s5, s2, 3
	s_mul_i32 s12, s2, 0x108
	s_wait_dscnt 0x0
	s_add_co_i32 s12, s12, s5
	s_delay_alu instid0(SALU_CYCLE_1)
	v_dual_mov_b32 v0, s12 :: v_dual_add_nc_u32 v15, s5, v4
	ds_load_b64 v[2:3], v0 offset:8448
	ds_load_b64 v[0:1], v15
	s_wait_dscnt 0x1
	v_cmp_neq_f64_e32 vcc_lo, 0, v[2:3]
	v_cndmask_b32_e32 v3, 0x3ff00000, v3, vcc_lo
	v_cndmask_b32_e32 v2, 0, v2, vcc_lo
	s_nor_b32 s12, vcc_lo, s1
	s_delay_alu instid0(SALU_CYCLE_1)
	s_and_saveexec_b32 s5, s12
	s_cbranch_execz .LBB37_101
; %bb.98:                               ;   in Loop: Header=BB37_95 Depth=1
	v_mbcnt_lo_u32_b32 v2, exec_lo, 0
	s_mov_b32 s12, exec_lo
	s_delay_alu instid0(VALU_DEP_1)
	v_cmpx_eq_u32_e32 0, v2
	s_cbranch_execz .LBB37_100
; %bb.99:                               ;   in Loop: Header=BB37_95 Depth=1
	v_mov_b32_e32 v2, s4
	global_atomic_min_i32 v14, v2, s[10:11] scope:SCOPE_DEV
.LBB37_100:                             ;   in Loop: Header=BB37_95 Depth=1
	s_wait_xcnt 0x0
	s_or_b32 exec_lo, exec_lo, s12
	v_mov_b64_e32 v[2:3], 1.0
.LBB37_101:                             ;   in Loop: Header=BB37_95 Depth=1
	s_or_b32 exec_lo, exec_lo, s5
	s_delay_alu instid0(SALU_CYCLE_1)
	s_mov_b32 s5, exec_lo
	v_cmpx_lt_u32_e64 s2, v9
	s_cbranch_execz .LBB37_94
; %bb.102:                              ;   in Loop: Header=BB37_95 Depth=1
	v_lshl_add_u32 v16, s2, 3, v5
	ds_load_b64 v[16:17], v16
	s_wait_dscnt 0x0
	v_add_f64_e64 v[0:1], v[0:1], -v[16:17]
	s_delay_alu instid0(VALU_DEP_1) | instskip(SKIP_1) | instid1(VALU_DEP_2)
	v_div_scale_f64 v[16:17], null, v[2:3], v[2:3], v[0:1]
	v_div_scale_f64 v[22:23], vcc_lo, v[0:1], v[2:3], v[0:1]
	v_rcp_f64_e32 v[18:19], v[16:17]
	v_nop
	s_delay_alu instid0(TRANS32_DEP_1) | instskip(NEXT) | instid1(VALU_DEP_1)
	v_fma_f64 v[20:21], -v[16:17], v[18:19], 1.0
	v_fmac_f64_e32 v[18:19], v[18:19], v[20:21]
	s_delay_alu instid0(VALU_DEP_1) | instskip(NEXT) | instid1(VALU_DEP_1)
	v_fma_f64 v[20:21], -v[16:17], v[18:19], 1.0
	v_fmac_f64_e32 v[18:19], v[18:19], v[20:21]
	s_delay_alu instid0(VALU_DEP_1) | instskip(NEXT) | instid1(VALU_DEP_1)
	v_mul_f64_e32 v[20:21], v[22:23], v[18:19]
	v_fma_f64 v[16:17], -v[16:17], v[20:21], v[22:23]
	s_delay_alu instid0(VALU_DEP_1) | instskip(NEXT) | instid1(VALU_DEP_1)
	v_div_fmas_f64 v[16:17], v[16:17], v[18:19], v[20:21]
	v_div_fixup_f64 v[0:1], v[16:17], v[2:3], v[0:1]
	ds_store_b64 v15, v[0:1]
	s_wait_storecnt_dscnt 0x0
	s_and_b32 exec_lo, exec_lo, s0
	s_cbranch_execz .LBB37_94
; %bb.103:                              ;   in Loop: Header=BB37_95 Depth=1
	v_dual_mov_b32 v2, v13 :: v_dual_mov_b32 v3, v12
	v_mov_b32_e32 v15, v8
	s_mov_b32 s12, 0
.LBB37_104:                             ;   Parent Loop BB37_95 Depth=1
                                        ; =>  This Inner Loop Header: Depth=2
	ds_load_b64 v[16:17], v2
	ds_load_b64 v[18:19], v3
	v_add_nc_u32_e32 v15, 2, v15
	v_add_nc_u32_e32 v2, 0x210, v2
	s_delay_alu instid0(VALU_DEP_2)
	v_cmp_le_i32_e32 vcc_lo, s28, v15
	s_or_b32 s12, vcc_lo, s12
	s_wait_dscnt 0x0
	v_fmac_f64_e32 v[18:19], v[0:1], v[16:17]
	ds_store_b64 v3, v[18:19]
	v_add_nc_u32_e32 v3, 16, v3
	s_and_not1_b32 exec_lo, exec_lo, s12
	s_cbranch_execnz .LBB37_104
	s_branch .LBB37_94
.LBB37_105:
	s_and_saveexec_b32 s1, s0
	s_cbranch_execz .LBB37_114
; %bb.106:
	s_mul_i32 s17, s17, s28
	v_cmp_gt_i32_e64 s0, s28, v9
	v_dual_add_nc_u32 v0, s17, v9 :: v_dual_mov_b32 v4, v8
	v_add3_u32 v3, v10, v11, 0x2100
	s_cmp_lg_u32 s29, 0
	s_mov_b32 s2, 0
	s_delay_alu instid0(VALU_DEP_2)
	v_mul_lo_u32 v2, v0, s28
	s_cselect_b32 s4, -1, 0
	s_branch .LBB37_110
.LBB37_107:                             ;   in Loop: Header=BB37_110 Depth=1
	v_add_nc_u32_e32 v5, v2, v4
.LBB37_108:                             ;   in Loop: Header=BB37_110 Depth=1
	s_wait_dscnt 0x0
	global_store_b64 v5, v[0:1], s[18:19] scale_offset
.LBB37_109:                             ;   in Loop: Header=BB37_110 Depth=1
	s_wait_xcnt 0x0
	s_or_b32 exec_lo, exec_lo, s5
	v_dual_add_nc_u32 v4, 2, v4 :: v_dual_add_nc_u32 v3, 16, v3
	s_delay_alu instid0(VALU_DEP_1) | instskip(SKIP_1) | instid1(SALU_CYCLE_1)
	v_cmp_le_i32_e32 vcc_lo, s28, v4
	s_or_b32 s2, vcc_lo, s2
	s_and_not1_b32 exec_lo, exec_lo, s2
	s_cbranch_execz .LBB37_114
.LBB37_110:                             ; =>This Inner Loop Header: Depth=1
	s_and_saveexec_b32 s5, s0
	s_cbranch_execz .LBB37_109
; %bb.111:                              ;   in Loop: Header=BB37_110 Depth=1
	ds_load_b64 v[0:1], v3
	s_and_b32 vcc_lo, exec_lo, s4
	s_cbranch_vccz .LBB37_113
; %bb.112:                              ;   in Loop: Header=BB37_110 Depth=1
	v_add_nc_u32_e32 v5, s17, v4
	s_delay_alu instid0(VALU_DEP_1)
	v_mad_u32 v5, v5, s28, v9
	s_cbranch_execnz .LBB37_108
	s_branch .LBB37_107
.LBB37_113:                             ;   in Loop: Header=BB37_110 Depth=1
                                        ; implicit-def: $vgpr5
	s_branch .LBB37_107
.LBB37_114:
	s_or_b32 exec_lo, exec_lo, s1
	v_or_b32_e32 v0, v8, v9
	s_mov_b32 s0, 0
	s_mov_b32 s1, exec_lo
	s_delay_alu instid0(VALU_DEP_1)
	v_cmpx_eq_u32_e32 0, v0
	s_cbranch_execz .LBB37_116
; %bb.115:
	v_dual_mov_b32 v0, 0 :: v_dual_mov_b32 v1, 1
	s_add_nc_u64 s[4:5], s[6:7], s[8:9]
	global_wb scope:SCOPE_DEV
	s_wait_storecnt 0x0
	global_store_b32 v0, v1, s[4:5] scope:SCOPE_DEV
.LBB37_116:
	s_wait_xcnt 0x0
	s_or_b32 exec_lo, exec_lo, s1
	s_delay_alu instid0(SALU_CYCLE_1)
	s_and_b32 vcc_lo, exec_lo, s0
	s_cbranch_vccnz .LBB37_119
.LBB37_117:
	s_endpgm
.LBB37_118:
	s_cbranch_execz .LBB37_117
.LBB37_119:
	v_or_b32_e32 v0, v8, v9
	s_mov_b32 s0, exec_lo
	s_delay_alu instid0(VALU_DEP_1)
	v_cmpx_eq_u32_e32 0, v0
	s_cbranch_execz .LBB37_117
; %bb.120:
	v_mbcnt_lo_u32_b32 v0, exec_lo, 0
	s_mov_b32 s0, exec_lo
	s_delay_alu instid0(VALU_DEP_1)
	v_cmpx_eq_u32_e32 0, v0
	s_cbranch_execz .LBB37_122
; %bb.121:
	s_add_co_i32 s1, s16, s3
	s_delay_alu instid0(SALU_CYCLE_1)
	v_dual_mov_b32 v0, 0 :: v_dual_mov_b32 v1, s1
	global_atomic_min_i32 v0, v1, s[10:11] scope:SCOPE_DEV
.LBB37_122:
	s_wait_xcnt 0x0
	s_or_b32 exec_lo, exec_lo, s0
	v_dual_mov_b32 v0, 0 :: v_dual_mov_b32 v1, 1
	s_add_nc_u64 s[0:1], s[6:7], s[8:9]
	global_wb scope:SCOPE_DEV
	s_wait_storecnt 0x0
	global_store_b32 v0, v1, s[0:1] scope:SCOPE_DEV
	s_endpgm
	.section	.rodata,"a",@progbits
	.p2align	6, 0x0
	.amdhsa_kernel _ZN9rocsparseL19bsric0_17_32_kernelILi64ELi128ELi32EdEEv20rocsparse_direction_iiPKiS3_PT2_S3_PiS3_S6_21rocsparse_index_base_
		.amdhsa_group_segment_fixed_size 26880
		.amdhsa_private_segment_fixed_size 0
		.amdhsa_kernarg_size 76
		.amdhsa_user_sgpr_count 2
		.amdhsa_user_sgpr_dispatch_ptr 0
		.amdhsa_user_sgpr_queue_ptr 0
		.amdhsa_user_sgpr_kernarg_segment_ptr 1
		.amdhsa_user_sgpr_dispatch_id 0
		.amdhsa_user_sgpr_kernarg_preload_length 0
		.amdhsa_user_sgpr_kernarg_preload_offset 0
		.amdhsa_user_sgpr_private_segment_size 0
		.amdhsa_wavefront_size32 1
		.amdhsa_uses_dynamic_stack 0
		.amdhsa_enable_private_segment 0
		.amdhsa_system_sgpr_workgroup_id_x 1
		.amdhsa_system_sgpr_workgroup_id_y 0
		.amdhsa_system_sgpr_workgroup_id_z 0
		.amdhsa_system_sgpr_workgroup_info 0
		.amdhsa_system_vgpr_workitem_id 1
		.amdhsa_next_free_vgpr 145
		.amdhsa_next_free_sgpr 45
		.amdhsa_named_barrier_count 0
		.amdhsa_reserve_vcc 1
		.amdhsa_float_round_mode_32 0
		.amdhsa_float_round_mode_16_64 0
		.amdhsa_float_denorm_mode_32 3
		.amdhsa_float_denorm_mode_16_64 3
		.amdhsa_fp16_overflow 0
		.amdhsa_memory_ordered 1
		.amdhsa_forward_progress 1
		.amdhsa_inst_pref_size 30
		.amdhsa_round_robin_scheduling 0
		.amdhsa_exception_fp_ieee_invalid_op 0
		.amdhsa_exception_fp_denorm_src 0
		.amdhsa_exception_fp_ieee_div_zero 0
		.amdhsa_exception_fp_ieee_overflow 0
		.amdhsa_exception_fp_ieee_underflow 0
		.amdhsa_exception_fp_ieee_inexact 0
		.amdhsa_exception_int_div_zero 0
	.end_amdhsa_kernel
	.section	.text._ZN9rocsparseL19bsric0_17_32_kernelILi64ELi128ELi32EdEEv20rocsparse_direction_iiPKiS3_PT2_S3_PiS3_S6_21rocsparse_index_base_,"axG",@progbits,_ZN9rocsparseL19bsric0_17_32_kernelILi64ELi128ELi32EdEEv20rocsparse_direction_iiPKiS3_PT2_S3_PiS3_S6_21rocsparse_index_base_,comdat
.Lfunc_end37:
	.size	_ZN9rocsparseL19bsric0_17_32_kernelILi64ELi128ELi32EdEEv20rocsparse_direction_iiPKiS3_PT2_S3_PiS3_S6_21rocsparse_index_base_, .Lfunc_end37-_ZN9rocsparseL19bsric0_17_32_kernelILi64ELi128ELi32EdEEv20rocsparse_direction_iiPKiS3_PT2_S3_PiS3_S6_21rocsparse_index_base_
                                        ; -- End function
	.set _ZN9rocsparseL19bsric0_17_32_kernelILi64ELi128ELi32EdEEv20rocsparse_direction_iiPKiS3_PT2_S3_PiS3_S6_21rocsparse_index_base_.num_vgpr, 30
	.set _ZN9rocsparseL19bsric0_17_32_kernelILi64ELi128ELi32EdEEv20rocsparse_direction_iiPKiS3_PT2_S3_PiS3_S6_21rocsparse_index_base_.num_agpr, 0
	.set _ZN9rocsparseL19bsric0_17_32_kernelILi64ELi128ELi32EdEEv20rocsparse_direction_iiPKiS3_PT2_S3_PiS3_S6_21rocsparse_index_base_.numbered_sgpr, 45
	.set _ZN9rocsparseL19bsric0_17_32_kernelILi64ELi128ELi32EdEEv20rocsparse_direction_iiPKiS3_PT2_S3_PiS3_S6_21rocsparse_index_base_.num_named_barrier, 0
	.set _ZN9rocsparseL19bsric0_17_32_kernelILi64ELi128ELi32EdEEv20rocsparse_direction_iiPKiS3_PT2_S3_PiS3_S6_21rocsparse_index_base_.private_seg_size, 0
	.set _ZN9rocsparseL19bsric0_17_32_kernelILi64ELi128ELi32EdEEv20rocsparse_direction_iiPKiS3_PT2_S3_PiS3_S6_21rocsparse_index_base_.uses_vcc, 1
	.set _ZN9rocsparseL19bsric0_17_32_kernelILi64ELi128ELi32EdEEv20rocsparse_direction_iiPKiS3_PT2_S3_PiS3_S6_21rocsparse_index_base_.uses_flat_scratch, 0
	.set _ZN9rocsparseL19bsric0_17_32_kernelILi64ELi128ELi32EdEEv20rocsparse_direction_iiPKiS3_PT2_S3_PiS3_S6_21rocsparse_index_base_.has_dyn_sized_stack, 0
	.set _ZN9rocsparseL19bsric0_17_32_kernelILi64ELi128ELi32EdEEv20rocsparse_direction_iiPKiS3_PT2_S3_PiS3_S6_21rocsparse_index_base_.has_recursion, 0
	.set _ZN9rocsparseL19bsric0_17_32_kernelILi64ELi128ELi32EdEEv20rocsparse_direction_iiPKiS3_PT2_S3_PiS3_S6_21rocsparse_index_base_.has_indirect_call, 0
	.section	.AMDGPU.csdata,"",@progbits
; Kernel info:
; codeLenInByte = 3832
; TotalNumSgprs: 47
; NumVgprs: 30
; ScratchSize: 0
; MemoryBound: 0
; FloatMode: 240
; IeeeMode: 1
; LDSByteSize: 26880 bytes/workgroup (compile time only)
; SGPRBlocks: 0
; VGPRBlocks: 9
; NumSGPRsForWavesPerEU: 47
; NumVGPRsForWavesPerEU: 145
; NamedBarCnt: 0
; Occupancy: 6
; WaveLimiterHint : 1
; COMPUTE_PGM_RSRC2:SCRATCH_EN: 0
; COMPUTE_PGM_RSRC2:USER_SGPR: 2
; COMPUTE_PGM_RSRC2:TRAP_HANDLER: 0
; COMPUTE_PGM_RSRC2:TGID_X_EN: 1
; COMPUTE_PGM_RSRC2:TGID_Y_EN: 0
; COMPUTE_PGM_RSRC2:TGID_Z_EN: 0
; COMPUTE_PGM_RSRC2:TIDIG_COMP_CNT: 1
	.section	.text._ZN9rocsparseL23bsric0_binsearch_kernelILj32ELj32ELb0E21rocsparse_complex_numIfEEEv20rocsparse_direction_iiPKiS5_PT2_S5_PiS5_S8_21rocsparse_index_base_,"axG",@progbits,_ZN9rocsparseL23bsric0_binsearch_kernelILj32ELj32ELb0E21rocsparse_complex_numIfEEEv20rocsparse_direction_iiPKiS5_PT2_S5_PiS5_S8_21rocsparse_index_base_,comdat
	.globl	_ZN9rocsparseL23bsric0_binsearch_kernelILj32ELj32ELb0E21rocsparse_complex_numIfEEEv20rocsparse_direction_iiPKiS5_PT2_S5_PiS5_S8_21rocsparse_index_base_ ; -- Begin function _ZN9rocsparseL23bsric0_binsearch_kernelILj32ELj32ELb0E21rocsparse_complex_numIfEEEv20rocsparse_direction_iiPKiS5_PT2_S5_PiS5_S8_21rocsparse_index_base_
	.p2align	8
	.type	_ZN9rocsparseL23bsric0_binsearch_kernelILj32ELj32ELb0E21rocsparse_complex_numIfEEEv20rocsparse_direction_iiPKiS5_PT2_S5_PiS5_S8_21rocsparse_index_base_,@function
_ZN9rocsparseL23bsric0_binsearch_kernelILj32ELj32ELb0E21rocsparse_complex_numIfEEEv20rocsparse_direction_iiPKiS5_PT2_S5_PiS5_S8_21rocsparse_index_base_: ; @_ZN9rocsparseL23bsric0_binsearch_kernelILj32ELj32ELb0E21rocsparse_complex_numIfEEEv20rocsparse_direction_iiPKiS5_PT2_S5_PiS5_S8_21rocsparse_index_base_
; %bb.0:
	s_load_b256 s[8:15], s[0:1], 0x28
	s_bfe_u32 s2, ttmp6, 0x4000c
	s_and_b32 s3, ttmp6, 15
	s_add_co_i32 s2, s2, 1
	s_getreg_b32 s4, hwreg(HW_REG_IB_STS2, 6, 4)
	s_mul_i32 s2, ttmp9, s2
	s_load_b32 s7, s[0:1], 0x48
	s_add_co_i32 s3, s3, s2
	s_cmp_eq_u32 s4, 0
	s_cselect_b32 s2, ttmp9, s3
	s_delay_alu instid0(SALU_CYCLE_1)
	v_mov_b32_e32 v1, s2
	s_wait_kmcnt 0x0
	global_load_b32 v2, v1, s[12:13] scale_offset
	s_wait_loadcnt 0x0
	global_load_b32 v1, v2, s[8:9] scale_offset
	v_ashrrev_i32_e32 v3, 31, v2
	s_wait_loadcnt 0x0
	v_readfirstlane_b32 s2, v1
	s_cmp_lg_u32 s2, -1
	s_cselect_b32 s2, -1, 0
	s_delay_alu instid0(SALU_CYCLE_1) | instskip(NEXT) | instid1(SALU_CYCLE_1)
	s_and_saveexec_b32 s3, s2
	s_xor_b32 s20, exec_lo, s3
	s_cbranch_execz .LBB38_76
; %bb.1:
	s_load_b32 s21, s[0:1], 0x8
	s_mov_b32 s22, exec_lo
	s_wait_kmcnt 0x0
	v_cmpx_gt_i32_e64 s21, v0
	s_cbranch_execz .LBB38_73
; %bb.2:
	s_clause 0x2
	s_load_b128 s[16:19], s[0:1], 0x10
	s_load_b32 s5, s[0:1], 0x0
	s_load_b64 s[12:13], s[0:1], 0x20
	s_mul_i32 s23, s21, s21
	s_wait_xcnt 0x0
	v_cmp_ne_u32_e64 s0, 0, v0
	v_mul_lo_u32 v24, v1, s23
	s_mov_b32 s24, 0
	v_dual_add_nc_u32 v23, s7, v2 :: v_dual_mov_b32 v7, 0
	s_wait_kmcnt 0x0
	v_lshl_add_u64 v[4:5], v[2:3], 2, s[16:17]
	s_cmp_eq_u32 s5, 0
	s_cselect_b32 s1, -1, 0
	s_cmp_lg_u32 s5, 0
	global_load_b64 v[4:5], v[4:5], off
	s_cselect_b32 s25, -1, 0
	s_wait_loadcnt 0x0
	v_subrev_nc_u32_e32 v20, s7, v4
	v_xad_u32 v21, s7, -1, v5
	s_delay_alu instid0(VALU_DEP_2) | instskip(NEXT) | instid1(VALU_DEP_2)
	v_mul_lo_u32 v22, s23, v20
	v_add_nc_u32_e32 v4, v21, v20
	v_cmp_lt_i32_e64 s2, v20, v1
	v_cmp_ge_i32_e64 s3, v20, v1
	v_cmp_lt_i32_e64 s4, v20, v21
	s_delay_alu instid0(VALU_DEP_4) | instskip(NEXT) | instid1(VALU_DEP_1)
	v_ashrrev_i32_e32 v4, 1, v4
	v_ashrrev_i32_e32 v5, 31, v4
	v_add_nc_u32_e32 v25, v22, v0
	s_delay_alu instid0(VALU_DEP_2)
	v_lshl_add_u64 v[8:9], v[4:5], 2, s[18:19]
	v_mov_b32_e32 v5, v0
	s_branch .LBB38_4
.LBB38_3:                               ;   in Loop: Header=BB38_4 Depth=1
	v_add_nc_u32_e32 v5, 32, v5
	v_add_nc_u32_e32 v25, 32, v25
	s_delay_alu instid0(VALU_DEP_2) | instskip(SKIP_1) | instid1(SALU_CYCLE_1)
	v_cmp_le_i32_e32 vcc_lo, s21, v5
	s_or_b32 s24, vcc_lo, s24
	s_and_not1_b32 exec_lo, exec_lo, s24
	s_cbranch_execz .LBB38_73
.LBB38_4:                               ; =>This Loop Header: Depth=1
                                        ;     Child Loop BB38_10 Depth 2
                                        ;       Child Loop BB38_13 Depth 3
                                        ;       Child Loop BB38_17 Depth 3
                                        ;         Child Loop BB38_19 Depth 4
                                        ;         Child Loop BB38_26 Depth 4
                                        ;           Child Loop BB38_28 Depth 5
                                        ;           Child Loop BB38_34 Depth 5
                                        ;     Child Loop BB38_41 Depth 2
                                        ;       Child Loop BB38_51 Depth 3
                                        ;       Child Loop BB38_59 Depth 3
                                        ;         Child Loop BB38_61 Depth 4
                                        ;       Child Loop BB38_69 Depth 3
	s_delay_alu instid0(VALU_DEP_1) | instskip(SKIP_1) | instid1(SALU_CYCLE_1)
	v_mul_lo_u32 v26, v5, s21
	s_and_saveexec_b32 s5, s3
	s_xor_b32 s5, exec_lo, s5
; %bb.5:                                ;   in Loop: Header=BB38_4 Depth=1
	v_mul_lo_u32 v26, v5, s21
; %bb.6:                                ;   in Loop: Header=BB38_4 Depth=1
	s_or_saveexec_b32 s26, s5
	v_mov_b64_e32 v[10:11], 0
	s_xor_b32 exec_lo, exec_lo, s26
	s_cbranch_execz .LBB38_38
; %bb.7:                                ;   in Loop: Header=BB38_4 Depth=1
	v_mov_b64_e32 v[10:11], 0
	v_mov_b32_e32 v27, v20
	s_mov_b32 s27, 0
                                        ; implicit-def: $sgpr28
	s_branch .LBB38_10
.LBB38_8:                               ;   in Loop: Header=BB38_10 Depth=2
	v_add_nc_u32_e32 v27, 1, v27
	s_and_not1_b32 s5, s28, exec_lo
	s_delay_alu instid0(VALU_DEP_1) | instskip(SKIP_1) | instid1(SALU_CYCLE_1)
	v_cmp_ge_i32_e32 vcc_lo, v27, v1
	s_and_b32 s6, vcc_lo, exec_lo
	s_or_b32 s28, s5, s6
.LBB38_9:                               ;   in Loop: Header=BB38_10 Depth=2
	s_wait_xcnt 0x0
	s_or_b32 exec_lo, exec_lo, s29
	s_delay_alu instid0(SALU_CYCLE_1) | instskip(NEXT) | instid1(SALU_CYCLE_1)
	s_and_b32 s5, exec_lo, s28
	s_or_b32 s27, s5, s27
	s_delay_alu instid0(SALU_CYCLE_1)
	s_and_not1_b32 exec_lo, exec_lo, s27
	s_cbranch_execz .LBB38_37
.LBB38_10:                              ;   Parent Loop BB38_4 Depth=1
                                        ; =>  This Loop Header: Depth=2
                                        ;       Child Loop BB38_13 Depth 3
                                        ;       Child Loop BB38_17 Depth 3
                                        ;         Child Loop BB38_19 Depth 4
                                        ;         Child Loop BB38_26 Depth 4
                                        ;           Child Loop BB38_28 Depth 5
                                        ;           Child Loop BB38_34 Depth 5
	global_load_b32 v28, v27, s[18:19] scale_offset
	s_or_b32 s28, s28, exec_lo
	s_mov_b32 s29, exec_lo
	s_wait_loadcnt 0x0
	v_subrev_nc_u32_e32 v12, s7, v28
	global_load_b32 v29, v12, s[8:9] scale_offset
	s_wait_loadcnt 0x0
	s_wait_xcnt 0x0
	v_cmpx_ne_u32_e32 -1, v29
	s_cbranch_execz .LBB38_9
; %bb.11:                               ;   in Loop: Header=BB38_10 Depth=2
	v_ashrrev_i32_e32 v13, 31, v12
	s_mov_b32 s5, exec_lo
	s_delay_alu instid0(VALU_DEP_1) | instskip(NEXT) | instid1(VALU_DEP_1)
	v_lshlrev_b64_e32 v[14:15], 2, v[12:13]
	v_add_nc_u64_e32 v[16:17], s[16:17], v[14:15]
	v_add_nc_u64_e32 v[14:15], s[10:11], v[14:15]
	global_load_b32 v6, v[16:17], off
	global_load_b32 v13, v[14:15], off scope:SCOPE_DEV
	s_wait_loadcnt 0x0
	s_wait_xcnt 0x0
	v_cmpx_eq_u32_e32 0, v13
	s_cbranch_execz .LBB38_14
; %bb.12:                               ;   in Loop: Header=BB38_10 Depth=2
	s_mov_b32 s6, 0
.LBB38_13:                              ;   Parent Loop BB38_4 Depth=1
                                        ;     Parent Loop BB38_10 Depth=2
                                        ; =>    This Inner Loop Header: Depth=3
	global_load_b32 v13, v[14:15], off scope:SCOPE_DEV
	s_wait_loadcnt 0x0
	v_cmp_ne_u32_e32 vcc_lo, 0, v13
	s_or_b32 s6, vcc_lo, s6
	s_wait_xcnt 0x0
	s_and_not1_b32 exec_lo, exec_lo, s6
	s_cbranch_execnz .LBB38_13
.LBB38_14:                              ;   in Loop: Header=BB38_10 Depth=2
	s_or_b32 exec_lo, exec_lo, s5
	v_mul_lo_u32 v14, v27, s23
	v_subrev_nc_u32_e32 v13, s7, v6
	v_mul_lo_u32 v30, v12, s21
	v_mul_lo_u32 v31, v29, s23
	s_mov_b32 s30, 0
	global_inv scope:SCOPE_DEV
	v_mul_lo_u32 v32, s23, v13
	v_cmp_le_i32_e64 s5, v13, v29
	v_dual_add_nc_u32 v33, v14, v5 :: v_dual_add_nc_u32 v34, v14, v26
	s_branch .LBB38_17
.LBB38_15:                              ;   in Loop: Header=BB38_17 Depth=3
	s_or_b32 exec_lo, exec_lo, s33
.LBB38_16:                              ;   in Loop: Header=BB38_17 Depth=3
	s_delay_alu instid0(SALU_CYCLE_1)
	s_or_b32 exec_lo, exec_lo, s6
	v_dual_ashrrev_i32 v19, 31, v18 :: v_dual_mul_f32 v35, v12, v12
	s_wait_loadcnt 0x0
	v_pk_add_f32 v[14:15], v[14:15], v[16:17] neg_lo:[0,1] neg_hi:[0,1]
	s_add_co_i32 s30, s30, 1
	v_add_nc_u32_e32 v32, 1, v32
	v_lshl_add_u64 v[18:19], v[18:19], 3, s[12:13]
	v_fmac_f32_e32 v35, v6, v6
	v_pk_mul_f32 v[16:17], v[12:13], v[14:15] op_sel:[0,1] op_sel_hi:[0,0] neg_hi:[0,1]
	s_cmp_eq_u32 s30, s21
	s_delay_alu instid0(VALU_DEP_2) | instskip(SKIP_1) | instid1(VALU_DEP_3)
	v_div_scale_f32 v36, null, v35, v35, 1.0
	v_div_scale_f32 v39, vcc_lo, 1.0, v35, 1.0
	v_pk_fma_f32 v[14:15], v[14:15], v[6:7], v[16:17] op_sel_hi:[1,0,1]
	s_delay_alu instid0(VALU_DEP_3) | instskip(SKIP_1) | instid1(TRANS32_DEP_1)
	v_rcp_f32_e32 v37, v36
	v_nop
	v_fma_f32 v38, -v36, v37, 1.0
	s_delay_alu instid0(VALU_DEP_1) | instskip(NEXT) | instid1(VALU_DEP_1)
	v_fmac_f32_e32 v37, v38, v37
	v_mul_f32_e32 v38, v39, v37
	s_delay_alu instid0(VALU_DEP_1) | instskip(NEXT) | instid1(VALU_DEP_1)
	v_fma_f32 v40, -v36, v38, v39
	v_fmac_f32_e32 v38, v40, v37
	s_delay_alu instid0(VALU_DEP_1) | instskip(NEXT) | instid1(VALU_DEP_1)
	v_fma_f32 v36, -v36, v38, v39
	v_div_fmas_f32 v12, v36, v37, v38
	s_delay_alu instid0(VALU_DEP_1) | instskip(NEXT) | instid1(VALU_DEP_1)
	v_div_fixup_f32 v6, v12, v35, 1.0
	v_pk_mul_f32 v[14:15], v[6:7], v[14:15] op_sel_hi:[0,1]
	s_delay_alu instid0(VALU_DEP_1) | instskip(NEXT) | instid1(VALU_DEP_2)
	v_xor_b32_e32 v16, 0x80000000, v15
	v_pk_fma_f32 v[10:11], v[14:15], v[14:15], v[10:11] op_sel:[1,0,0] op_sel_hi:[0,0,1]
	v_mov_b32_e32 v17, v15
	global_store_b64 v[18:19], v[14:15], off
	v_pk_fma_f32 v[10:11], v[14:15], v[16:17], v[10:11]
	s_cbranch_scc1 .LBB38_8
.LBB38_17:                              ;   Parent Loop BB38_4 Depth=1
                                        ;     Parent Loop BB38_10 Depth=2
                                        ; =>    This Loop Header: Depth=3
                                        ;         Child Loop BB38_19 Depth 4
                                        ;         Child Loop BB38_26 Depth 4
                                        ;           Child Loop BB38_28 Depth 5
                                        ;           Child Loop BB38_34 Depth 5
	s_mul_i32 s31, s30, s21
	s_delay_alu instid0(SALU_CYCLE_1)
	v_add3_u32 v6, s31, s30, v31
	global_load_b64 v[14:15], v6, s[12:13] scale_offset
	s_wait_loadcnt 0x0
	v_cmp_neq_f32_e32 vcc_lo, 0, v14
	v_cmp_neq_f32_e64 s6, 0, v15
	s_or_b32 vcc_lo, vcc_lo, s6
	s_wait_xcnt 0x0
	v_dual_cndmask_b32 v6, 1.0, v14, vcc_lo :: v_dual_cndmask_b32 v12, 0, v15, vcc_lo
	s_nor_b32 s33, vcc_lo, s0
	s_delay_alu instid0(SALU_CYCLE_1)
	s_and_saveexec_b32 s6, s33
	s_cbranch_execz .LBB38_23
; %bb.18:                               ;   in Loop: Header=BB38_17 Depth=3
	s_mov_b32 s34, exec_lo
	s_brev_b32 s33, -2
.LBB38_19:                              ;   Parent Loop BB38_4 Depth=1
                                        ;     Parent Loop BB38_10 Depth=2
                                        ;       Parent Loop BB38_17 Depth=3
                                        ; =>      This Inner Loop Header: Depth=4
	s_ctz_i32_b32 s35, s34
	s_delay_alu instid0(SALU_CYCLE_1) | instskip(SKIP_1) | instid1(SALU_CYCLE_1)
	v_readlane_b32 s36, v28, s35
	s_lshl_b32 s35, 1, s35
	s_and_not1_b32 s34, s34, s35
	s_min_i32 s33, s33, s36
	s_cmp_lg_u32 s34, 0
	s_cbranch_scc1 .LBB38_19
; %bb.20:                               ;   in Loop: Header=BB38_17 Depth=3
	v_mbcnt_lo_u32_b32 v6, exec_lo, 0
	s_mov_b32 s34, exec_lo
	s_delay_alu instid0(VALU_DEP_1)
	v_cmpx_eq_u32_e32 0, v6
	s_xor_b32 s34, exec_lo, s34
	s_cbranch_execz .LBB38_22
; %bb.21:                               ;   in Loop: Header=BB38_17 Depth=3
	v_mov_b32_e32 v6, s33
	global_atomic_min_i32 v7, v6, s[14:15] scope:SCOPE_DEV
.LBB38_22:                              ;   in Loop: Header=BB38_17 Depth=3
	s_wait_xcnt 0x0
	s_or_b32 exec_lo, exec_lo, s34
	v_dual_mov_b32 v6, 1.0 :: v_dual_mov_b32 v12, 0
.LBB38_23:                              ;   in Loop: Header=BB38_17 Depth=3
	s_or_b32 exec_lo, exec_lo, s6
	v_dual_add_nc_u32 v14, s30, v34 :: v_dual_add_nc_u32 v15, s31, v33
	v_mov_b64_e32 v[16:17], 0
	s_delay_alu instid0(VALU_DEP_2)
	v_cndmask_b32_e64 v18, v15, v14, s1
	global_load_b64 v[14:15], v18, s[12:13] scale_offset
	s_wait_xcnt 0x0
	s_and_saveexec_b32 s6, s5
	s_cbranch_execz .LBB38_16
; %bb.24:                               ;   in Loop: Header=BB38_17 Depth=3
	global_load_b32 v19, v[8:9], off
	v_mov_b64_e32 v[16:17], 0
	v_dual_mov_b32 v36, v32 :: v_dual_add_nc_u32 v35, s30, v30
	v_mov_b32_e32 v37, v13
	s_mov_b32 s33, 0
	s_branch .LBB38_26
.LBB38_25:                              ;   in Loop: Header=BB38_26 Depth=4
	s_or_b32 exec_lo, exec_lo, s34
	v_dual_add_nc_u32 v38, 1, v37 :: v_dual_add_nc_u32 v36, s23, v36
	v_cmp_ge_i32_e32 vcc_lo, v37, v29
	s_delay_alu instid0(VALU_DEP_2) | instskip(SKIP_1) | instid1(SALU_CYCLE_1)
	v_mov_b32_e32 v37, v38
	s_or_b32 s33, vcc_lo, s33
	s_and_not1_b32 exec_lo, exec_lo, s33
	s_cbranch_execz .LBB38_15
.LBB38_26:                              ;   Parent Loop BB38_4 Depth=1
                                        ;     Parent Loop BB38_10 Depth=2
                                        ;       Parent Loop BB38_17 Depth=3
                                        ; =>      This Loop Header: Depth=4
                                        ;           Child Loop BB38_28 Depth 5
                                        ;           Child Loop BB38_34 Depth 5
	global_load_b32 v38, v37, s[18:19] scale_offset
	s_wait_loadcnt 0x1
	v_dual_mov_b32 v40, v19 :: v_dual_mov_b32 v39, v4
	s_wait_xcnt 0x0
	s_and_saveexec_b32 s34, s4
	s_cbranch_execz .LBB38_30
; %bb.27:                               ;   in Loop: Header=BB38_26 Depth=4
	v_dual_mov_b32 v40, v19 :: v_dual_mov_b32 v39, v4
	v_dual_mov_b32 v41, v20 :: v_dual_mov_b32 v42, v21
	s_mov_b32 s35, 0
.LBB38_28:                              ;   Parent Loop BB38_4 Depth=1
                                        ;     Parent Loop BB38_10 Depth=2
                                        ;       Parent Loop BB38_17 Depth=3
                                        ;         Parent Loop BB38_26 Depth=4
                                        ; =>        This Inner Loop Header: Depth=5
	s_wait_loadcnt 0x0
	s_delay_alu instid0(VALU_DEP_2) | instskip(NEXT) | instid1(VALU_DEP_2)
	v_cmp_lt_i32_e32 vcc_lo, v40, v38
	v_dual_cndmask_b32 v42, v39, v42 :: v_dual_add_nc_u32 v43, 1, v39
	s_delay_alu instid0(VALU_DEP_1) | instskip(NEXT) | instid1(VALU_DEP_1)
	v_cndmask_b32_e32 v41, v41, v43, vcc_lo
	v_add_nc_u32_e32 v39, v42, v41
	v_cmp_ge_i32_e32 vcc_lo, v41, v42
	s_delay_alu instid0(VALU_DEP_2)
	v_ashrrev_i32_e32 v39, 1, v39
	s_or_b32 s35, vcc_lo, s35
	global_load_b32 v40, v39, s[18:19] scale_offset
	s_wait_xcnt 0x0
	s_and_not1_b32 exec_lo, exec_lo, s35
	s_cbranch_execnz .LBB38_28
; %bb.29:                               ;   in Loop: Header=BB38_26 Depth=4
	s_or_b32 exec_lo, exec_lo, s35
.LBB38_30:                              ;   in Loop: Header=BB38_26 Depth=4
	s_delay_alu instid0(SALU_CYCLE_1) | instskip(NEXT) | instid1(SALU_CYCLE_1)
	s_or_b32 exec_lo, exec_lo, s34
	s_mov_b32 s34, exec_lo
	s_wait_loadcnt 0x0
	v_cmpx_eq_u32_e64 v40, v38
	s_cbranch_execz .LBB38_25
; %bb.31:                               ;   in Loop: Header=BB38_26 Depth=4
	v_mul_lo_u32 v41, v39, s23
	v_subrev_nc_u32_e32 v39, s7, v38
	v_mad_u32 v38, v37, s23, s31
	s_mov_b32 s35, 0
	v_mov_b32_e32 v42, v36
	s_delay_alu instid0(VALU_DEP_3)
	v_mul_lo_u32 v39, v39, s21
	v_add_nc_u32_e32 v40, v41, v26
	v_add_nc_u32_e32 v41, v5, v41
	s_branch .LBB38_34
.LBB38_32:                              ;   in Loop: Header=BB38_34 Depth=5
	s_clause 0x1
	global_load_b64 v[46:47], v44, s[12:13] scale_offset
	global_load_b64 v[48:49], v43, s[12:13] scale_offset
	s_wait_loadcnt 0x0
	v_pk_fma_f32 v[16:17], v[48:49], v[46:47], v[16:17] op_sel_hi:[1,0,1]
	s_delay_alu instid0(VALU_DEP_1)
	v_pk_fma_f32 v[16:17], v[48:49], v[46:47], v[16:17] op_sel:[1,1,0] op_sel_hi:[0,1,1] neg_hi:[0,1,0]
.LBB38_33:                              ;   in Loop: Header=BB38_34 Depth=5
	s_wait_xcnt 0x0
	s_or_b32 exec_lo, exec_lo, s36
	v_dual_add_nc_u32 v41, s21, v41 :: v_dual_add_nc_u32 v42, s21, v42
	s_add_co_i32 s35, s35, 1
	s_delay_alu instid0(SALU_CYCLE_1)
	s_cmp_lg_u32 s21, s35
	s_cbranch_scc0 .LBB38_25
.LBB38_34:                              ;   Parent Loop BB38_4 Depth=1
                                        ;     Parent Loop BB38_10 Depth=2
                                        ;       Parent Loop BB38_17 Depth=3
                                        ;         Parent Loop BB38_26 Depth=4
                                        ; =>        This Inner Loop Header: Depth=5
	s_delay_alu instid0(VALU_DEP_3) | instskip(SKIP_1) | instid1(VALU_DEP_1)
	v_add_nc_u32_e32 v43, s35, v39
	s_mov_b32 s36, exec_lo
	v_cmpx_lt_i32_e64 v43, v35
	s_cbranch_execz .LBB38_33
; %bb.35:                               ;   in Loop: Header=BB38_34 Depth=5
	v_dual_mov_b32 v43, v42 :: v_dual_mov_b32 v44, v41
	s_and_not1_b32 vcc_lo, exec_lo, s1
	s_cbranch_vccnz .LBB38_32
; %bb.36:                               ;   in Loop: Header=BB38_34 Depth=5
	v_dual_add_nc_u32 v43, s35, v38 :: v_dual_add_nc_u32 v44, s35, v40
	s_branch .LBB38_32
.LBB38_37:                              ;   in Loop: Header=BB38_4 Depth=1
	s_or_b32 exec_lo, exec_lo, s27
.LBB38_38:                              ;   in Loop: Header=BB38_4 Depth=1
	s_delay_alu instid0(SALU_CYCLE_1) | instskip(NEXT) | instid1(VALU_DEP_2)
	s_or_b32 exec_lo, exec_lo, s26
	v_add_nc_u32_e32 v27, v26, v24
	v_mov_b32_e32 v28, v22
	s_mov_b32 s6, 0
	s_branch .LBB38_41
.LBB38_39:                              ;   in Loop: Header=BB38_41 Depth=2
	v_mul_f32_e32 v29, v12, v12
	s_wait_loadcnt 0x0
	s_delay_alu instid0(VALU_DEP_2) | instskip(NEXT) | instid1(VALU_DEP_2)
	v_pk_add_f32 v[14:15], v[14:15], v[16:17] neg_lo:[0,1] neg_hi:[0,1]
	v_fmac_f32_e32 v29, v6, v6
	s_delay_alu instid0(VALU_DEP_1) | instskip(SKIP_2) | instid1(VALU_DEP_2)
	v_div_scale_f32 v13, null, v29, v29, 1.0
	v_div_scale_f32 v32, vcc_lo, 1.0, v29, 1.0
	s_wait_xcnt 0x0
	v_rcp_f32_e32 v30, v13
	v_nop
	s_delay_alu instid0(TRANS32_DEP_1) | instskip(NEXT) | instid1(VALU_DEP_1)
	v_fma_f32 v31, -v13, v30, 1.0
	v_fmac_f32_e32 v30, v31, v30
	s_delay_alu instid0(VALU_DEP_1) | instskip(NEXT) | instid1(VALU_DEP_1)
	v_mul_f32_e32 v31, v32, v30
	v_fma_f32 v33, -v13, v31, v32
	s_delay_alu instid0(VALU_DEP_1) | instskip(NEXT) | instid1(VALU_DEP_1)
	v_fmac_f32_e32 v31, v33, v30
	v_fma_f32 v16, -v13, v31, v32
	v_pk_mul_f32 v[12:13], v[12:13], v[14:15] op_sel:[0,1] op_sel_hi:[0,0] neg_hi:[0,1]
	s_delay_alu instid0(VALU_DEP_2) | instskip(NEXT) | instid1(VALU_DEP_2)
	v_div_fmas_f32 v16, v16, v30, v31
	v_pk_fma_f32 v[12:13], v[14:15], v[6:7], v[12:13] op_sel_hi:[1,0,1]
	s_delay_alu instid0(VALU_DEP_2) | instskip(NEXT) | instid1(VALU_DEP_1)
	v_div_fixup_f32 v6, v16, v29, 1.0
	v_pk_mul_f32 v[12:13], v[6:7], v[12:13] op_sel_hi:[0,1]
	s_delay_alu instid0(VALU_DEP_1) | instskip(NEXT) | instid1(VALU_DEP_2)
	v_xor_b32_e32 v14, 0x80000000, v13
	v_pk_fma_f32 v[10:11], v[12:13], v[12:13], v[10:11] op_sel:[1,0,0] op_sel_hi:[0,0,1]
	v_mov_b32_e32 v15, v13
	global_store_b64 v[18:19], v[12:13], off
	v_pk_fma_f32 v[10:11], v[12:13], v[14:15], v[10:11]
.LBB38_40:                              ;   in Loop: Header=BB38_41 Depth=2
	s_wait_xcnt 0x0
	s_or_b32 exec_lo, exec_lo, s5
	v_add_nc_u32_e32 v28, 1, v28
	s_add_co_i32 s6, s6, 1
	global_wb scope:SCOPE_DEV
	s_wait_storecnt 0x0
	global_inv scope:SCOPE_DEV
	s_cmp_eq_u32 s6, s21
	s_cbranch_scc1 .LBB38_3
.LBB38_41:                              ;   Parent Loop BB38_4 Depth=1
                                        ; =>  This Loop Header: Depth=2
                                        ;       Child Loop BB38_51 Depth 3
                                        ;       Child Loop BB38_59 Depth 3
                                        ;         Child Loop BB38_61 Depth 4
                                        ;       Child Loop BB38_69 Depth 3
	s_mul_i32 s26, s6, s21
	s_mov_b32 s27, exec_lo
	v_add_nc_u32_e32 v29, s26, v24
	s_delay_alu instid0(VALU_DEP_1) | instskip(NEXT) | instid1(VALU_DEP_1)
	v_add_nc_u32_e32 v12, s6, v29
	v_ashrrev_i32_e32 v13, 31, v12
	s_delay_alu instid0(VALU_DEP_1)
	v_lshl_add_u64 v[12:13], v[12:13], 3, s[12:13]
	v_cmpx_eq_u32_e64 s6, v5
	s_cbranch_execz .LBB38_49
; %bb.42:                               ;   in Loop: Header=BB38_41 Depth=2
	global_load_b64 v[14:15], v[12:13], off
	s_mov_b32 s5, exec_lo
	s_wait_loadcnt 0x0
	v_dual_sub_f32 v6, v14, v11 :: v_dual_sub_f32 v16, v15, v10
                                        ; implicit-def: $vgpr15
	s_delay_alu instid0(VALU_DEP_1) | instskip(SKIP_1) | instid1(VALU_DEP_3)
	v_cmp_gt_f32_e32 vcc_lo, 0, v6
	v_cndmask_b32_e64 v6, v6, -v6, vcc_lo
	v_cmp_gt_f32_e32 vcc_lo, 0, v16
	v_cndmask_b32_e64 v14, v16, -v16, vcc_lo
	s_wait_xcnt 0x0
	s_delay_alu instid0(VALU_DEP_1)
	v_cmpx_ngt_f32_e32 v6, v14
	s_xor_b32 s28, exec_lo, s5
	s_cbranch_execz .LBB38_46
; %bb.43:                               ;   in Loop: Header=BB38_41 Depth=2
	v_mov_b32_e32 v15, 0
	s_mov_b32 s29, exec_lo
	v_cmpx_neq_f32_e32 0, v16
	s_cbranch_execz .LBB38_45
; %bb.44:                               ;   in Loop: Header=BB38_41 Depth=2
	v_div_scale_f32 v15, null, v14, v14, v6
	v_div_scale_f32 v18, vcc_lo, v6, v14, v6
	s_delay_alu instid0(VALU_DEP_2) | instskip(SKIP_1) | instid1(TRANS32_DEP_1)
	v_rcp_f32_e32 v16, v15
	v_nop
	v_fma_f32 v17, -v15, v16, 1.0
	s_delay_alu instid0(VALU_DEP_1) | instskip(NEXT) | instid1(VALU_DEP_1)
	v_fmac_f32_e32 v16, v17, v16
	v_mul_f32_e32 v17, v18, v16
	s_delay_alu instid0(VALU_DEP_1) | instskip(NEXT) | instid1(VALU_DEP_1)
	v_fma_f32 v19, -v15, v17, v18
	v_fmac_f32_e32 v17, v19, v16
	s_delay_alu instid0(VALU_DEP_1) | instskip(NEXT) | instid1(VALU_DEP_1)
	v_fma_f32 v15, -v15, v17, v18
	v_div_fmas_f32 v15, v15, v16, v17
	s_delay_alu instid0(VALU_DEP_1) | instskip(NEXT) | instid1(VALU_DEP_1)
	v_div_fixup_f32 v6, v15, v14, v6
	v_fma_f32 v6, v6, v6, 1.0
	s_delay_alu instid0(VALU_DEP_1) | instskip(SKIP_1) | instid1(VALU_DEP_2)
	v_mul_f32_e32 v15, 0x4f800000, v6
	v_cmp_gt_f32_e32 vcc_lo, 0xf800000, v6
	v_cndmask_b32_e32 v6, v6, v15, vcc_lo
	s_delay_alu instid0(VALU_DEP_1) | instskip(SKIP_1) | instid1(TRANS32_DEP_1)
	v_sqrt_f32_e32 v15, v6
	v_nop
	v_dual_add_nc_u32 v16, -1, v15 :: v_dual_add_nc_u32 v17, 1, v15
	s_delay_alu instid0(VALU_DEP_1) | instskip(NEXT) | instid1(VALU_DEP_1)
	v_fma_f32 v18, -v16, v15, v6
	v_cmp_ge_f32_e64 s5, 0, v18
	s_delay_alu instid0(VALU_DEP_1) | instskip(NEXT) | instid1(VALU_DEP_1)
	v_dual_fma_f32 v19, -v17, v15, v6 :: v_dual_cndmask_b32 v15, v15, v16, s5
	v_cmp_lt_f32_e64 s5, 0, v19
	s_delay_alu instid0(VALU_DEP_1) | instskip(NEXT) | instid1(VALU_DEP_1)
	v_cndmask_b32_e64 v15, v15, v17, s5
	v_mul_f32_e32 v16, 0x37800000, v15
	s_delay_alu instid0(VALU_DEP_1) | instskip(SKIP_1) | instid1(VALU_DEP_2)
	v_cndmask_b32_e32 v15, v15, v16, vcc_lo
	v_cmp_class_f32_e64 vcc_lo, v6, 0x260
	v_cndmask_b32_e32 v6, v15, v6, vcc_lo
	s_delay_alu instid0(VALU_DEP_1)
	v_mul_f32_e32 v15, v14, v6
.LBB38_45:                              ;   in Loop: Header=BB38_41 Depth=2
	s_or_b32 exec_lo, exec_lo, s29
                                        ; implicit-def: $vgpr6
                                        ; implicit-def: $vgpr14
.LBB38_46:                              ;   in Loop: Header=BB38_41 Depth=2
	s_and_not1_saveexec_b32 s28, s28
	s_cbranch_execz .LBB38_48
; %bb.47:                               ;   in Loop: Header=BB38_41 Depth=2
	v_div_scale_f32 v15, null, v6, v6, v14
	v_div_scale_f32 v18, vcc_lo, v14, v6, v14
	s_delay_alu instid0(VALU_DEP_2) | instskip(SKIP_1) | instid1(TRANS32_DEP_1)
	v_rcp_f32_e32 v16, v15
	v_nop
	v_fma_f32 v17, -v15, v16, 1.0
	s_delay_alu instid0(VALU_DEP_1) | instskip(NEXT) | instid1(VALU_DEP_1)
	v_fmac_f32_e32 v16, v17, v16
	v_mul_f32_e32 v17, v18, v16
	s_delay_alu instid0(VALU_DEP_1) | instskip(NEXT) | instid1(VALU_DEP_1)
	v_fma_f32 v19, -v15, v17, v18
	v_fmac_f32_e32 v17, v19, v16
	s_delay_alu instid0(VALU_DEP_1) | instskip(NEXT) | instid1(VALU_DEP_1)
	v_fma_f32 v15, -v15, v17, v18
	v_div_fmas_f32 v15, v15, v16, v17
	s_delay_alu instid0(VALU_DEP_1) | instskip(NEXT) | instid1(VALU_DEP_1)
	v_div_fixup_f32 v14, v15, v6, v14
	v_fma_f32 v14, v14, v14, 1.0
	s_delay_alu instid0(VALU_DEP_1) | instskip(SKIP_1) | instid1(VALU_DEP_2)
	v_mul_f32_e32 v15, 0x4f800000, v14
	v_cmp_gt_f32_e32 vcc_lo, 0xf800000, v14
	v_cndmask_b32_e32 v14, v14, v15, vcc_lo
	s_delay_alu instid0(VALU_DEP_1) | instskip(SKIP_1) | instid1(TRANS32_DEP_1)
	v_sqrt_f32_e32 v15, v14
	v_nop
	v_dual_add_nc_u32 v16, -1, v15 :: v_dual_add_nc_u32 v17, 1, v15
	s_delay_alu instid0(VALU_DEP_1) | instskip(NEXT) | instid1(VALU_DEP_1)
	v_fma_f32 v18, -v16, v15, v14
	v_cmp_ge_f32_e64 s5, 0, v18
	s_delay_alu instid0(VALU_DEP_1) | instskip(NEXT) | instid1(VALU_DEP_1)
	v_dual_fma_f32 v19, -v17, v15, v14 :: v_dual_cndmask_b32 v15, v15, v16, s5
	v_cmp_lt_f32_e64 s5, 0, v19
	s_delay_alu instid0(VALU_DEP_1) | instskip(NEXT) | instid1(VALU_DEP_1)
	v_cndmask_b32_e64 v15, v15, v17, s5
	v_mul_f32_e32 v16, 0x37800000, v15
	s_delay_alu instid0(VALU_DEP_1) | instskip(SKIP_1) | instid1(VALU_DEP_2)
	v_cndmask_b32_e32 v15, v15, v16, vcc_lo
	v_cmp_class_f32_e64 vcc_lo, v14, 0x260
	v_cndmask_b32_e32 v14, v15, v14, vcc_lo
	s_delay_alu instid0(VALU_DEP_1)
	v_mul_f32_e32 v15, v6, v14
.LBB38_48:                              ;   in Loop: Header=BB38_41 Depth=2
	s_or_b32 exec_lo, exec_lo, s28
	s_delay_alu instid0(VALU_DEP_1) | instskip(SKIP_1) | instid1(VALU_DEP_2)
	v_mul_f32_e32 v6, 0x4f800000, v15
	v_cmp_gt_f32_e32 vcc_lo, 0xf800000, v15
	v_cndmask_b32_e32 v6, v15, v6, vcc_lo
	s_delay_alu instid0(VALU_DEP_1) | instskip(SKIP_1) | instid1(TRANS32_DEP_1)
	v_sqrt_f32_e32 v14, v6
	v_nop
	v_dual_add_nc_u32 v15, -1, v14 :: v_dual_add_nc_u32 v16, 1, v14
	s_delay_alu instid0(VALU_DEP_1) | instskip(NEXT) | instid1(VALU_DEP_1)
	v_dual_fma_f32 v17, -v15, v14, v6 :: v_dual_fma_f32 v18, -v16, v14, v6
	v_cmp_ge_f32_e64 s5, 0, v17
	s_delay_alu instid0(VALU_DEP_1) | instskip(NEXT) | instid1(VALU_DEP_3)
	v_cndmask_b32_e64 v14, v14, v15, s5
	v_cmp_lt_f32_e64 s5, 0, v18
	s_delay_alu instid0(VALU_DEP_1) | instskip(NEXT) | instid1(VALU_DEP_1)
	v_cndmask_b32_e64 v14, v14, v16, s5
	v_mul_f32_e32 v15, 0x37800000, v14
	s_delay_alu instid0(VALU_DEP_1) | instskip(SKIP_1) | instid1(VALU_DEP_2)
	v_cndmask_b32_e32 v14, v14, v15, vcc_lo
	v_cmp_class_f32_e64 vcc_lo, v6, 0x260
	v_cndmask_b32_e32 v6, v14, v6, vcc_lo
	global_store_b64 v[12:13], v[6:7], off
.LBB38_49:                              ;   in Loop: Header=BB38_41 Depth=2
	s_wait_xcnt 0x0
	s_or_b32 exec_lo, exec_lo, s27
	global_wb scope:SCOPE_DEV
	s_wait_storecnt 0x0
	global_inv scope:SCOPE_DEV
	global_load_b64 v[14:15], v[12:13], off
	s_wait_loadcnt 0x0
	v_cmp_neq_f32_e32 vcc_lo, 0, v14
	v_cmp_neq_f32_e64 s5, 0, v15
	s_or_b32 vcc_lo, vcc_lo, s5
	s_wait_xcnt 0x0
	v_dual_cndmask_b32 v12, 0, v15, vcc_lo :: v_dual_cndmask_b32 v6, 1.0, v14, vcc_lo
	s_nor_b32 s27, vcc_lo, s0
	s_delay_alu instid0(SALU_CYCLE_1)
	s_and_saveexec_b32 s5, s27
	s_cbranch_execz .LBB38_55
; %bb.50:                               ;   in Loop: Header=BB38_41 Depth=2
	s_mov_b32 s28, exec_lo
	s_brev_b32 s27, -2
.LBB38_51:                              ;   Parent Loop BB38_4 Depth=1
                                        ;     Parent Loop BB38_41 Depth=2
                                        ; =>    This Inner Loop Header: Depth=3
	s_ctz_i32_b32 s29, s28
	s_delay_alu instid0(SALU_CYCLE_1) | instskip(SKIP_1) | instid1(SALU_CYCLE_1)
	v_readlane_b32 s30, v23, s29
	s_lshl_b32 s29, 1, s29
	s_and_not1_b32 s28, s28, s29
	s_min_i32 s27, s27, s30
	s_cmp_lg_u32 s28, 0
	s_cbranch_scc1 .LBB38_51
; %bb.52:                               ;   in Loop: Header=BB38_41 Depth=2
	v_mbcnt_lo_u32_b32 v6, exec_lo, 0
	s_mov_b32 s28, exec_lo
	s_delay_alu instid0(VALU_DEP_1)
	v_cmpx_eq_u32_e32 0, v6
	s_xor_b32 s28, exec_lo, s28
	s_cbranch_execz .LBB38_54
; %bb.53:                               ;   in Loop: Header=BB38_41 Depth=2
	v_mov_b32_e32 v6, s27
	global_atomic_min_i32 v7, v6, s[14:15] scope:SCOPE_DEV
.LBB38_54:                              ;   in Loop: Header=BB38_41 Depth=2
	s_wait_xcnt 0x0
	s_or_b32 exec_lo, exec_lo, s28
	v_dual_mov_b32 v12, 0 :: v_dual_mov_b32 v6, 1.0
.LBB38_55:                              ;   in Loop: Header=BB38_41 Depth=2
	s_or_b32 exec_lo, exec_lo, s5
	s_delay_alu instid0(SALU_CYCLE_1)
	s_mov_b32 s5, exec_lo
	v_cmpx_lt_i32_e64 s6, v5
	s_cbranch_execz .LBB38_40
; %bb.56:                               ;   in Loop: Header=BB38_41 Depth=2
	v_dual_add_nc_u32 v13, s6, v27 :: v_dual_add_nc_u32 v14, v29, v5
	v_mov_b64_e32 v[16:17], 0
	s_delay_alu instid0(VALU_DEP_2)
	v_cndmask_b32_e64 v18, v14, v13, s1
	global_load_b64 v[14:15], v18, s[12:13] scale_offset
	s_wait_xcnt 0x0
	s_and_saveexec_b32 s27, s2
	s_cbranch_execz .LBB38_66
; %bb.57:                               ;   in Loop: Header=BB38_41 Depth=2
	v_dual_mov_b32 v16, 0 :: v_dual_mov_b32 v13, v28
	v_dual_mov_b32 v19, v25 :: v_dual_mov_b32 v30, v20
	s_mov_b32 s28, 0
	s_delay_alu instid0(VALU_DEP_2)
	v_mov_b32_e32 v17, v16
	s_branch .LBB38_59
.LBB38_58:                              ;   in Loop: Header=BB38_59 Depth=3
	v_dual_add_nc_u32 v30, 1, v30 :: v_dual_add_nc_u32 v19, s23, v19
	v_add_nc_u32_e32 v13, s23, v13
	s_delay_alu instid0(VALU_DEP_2)
	v_cmp_ge_i32_e32 vcc_lo, v30, v1
	s_or_b32 s28, vcc_lo, s28
	s_wait_xcnt 0x0
	s_and_not1_b32 exec_lo, exec_lo, s28
	s_cbranch_execz .LBB38_65
.LBB38_59:                              ;   Parent Loop BB38_4 Depth=1
                                        ;     Parent Loop BB38_41 Depth=2
                                        ; =>    This Loop Header: Depth=3
                                        ;         Child Loop BB38_61 Depth 4
	s_delay_alu instid0(VALU_DEP_2) | instskip(SKIP_3) | instid1(VALU_DEP_1)
	v_mul_lo_u32 v32, v30, s23
	s_mov_b32 s29, s21
	s_mov_b32 s30, 0
	;; [unrolled: 1-line block ×3, first 2 shown]
	v_dual_add_nc_u32 v31, s26, v32 :: v_dual_add_nc_u32 v32, v32, v26
	s_branch .LBB38_61
.LBB38_60:                              ;   in Loop: Header=BB38_61 Depth=4
	s_clause 0x1
	global_load_b64 v[36:37], v34, s[12:13] scale_offset
	global_load_b64 v[38:39], v33, s[12:13] scale_offset
	s_add_co_i32 s29, s29, -1
	s_add_co_i32 s31, s31, 1
	s_add_co_i32 s30, s30, s21
	s_cmp_eq_u32 s29, 0
	s_wait_loadcnt 0x0
	v_pk_fma_f32 v[16:17], v[38:39], v[36:37], v[16:17] op_sel_hi:[1,0,1]
	s_delay_alu instid0(VALU_DEP_1)
	v_pk_fma_f32 v[16:17], v[38:39], v[36:37], v[16:17] op_sel:[1,1,0] op_sel_hi:[0,1,1] neg_hi:[0,1,0]
	s_cbranch_scc1 .LBB38_58
.LBB38_61:                              ;   Parent Loop BB38_4 Depth=1
                                        ;     Parent Loop BB38_41 Depth=2
                                        ;       Parent Loop BB38_59 Depth=3
                                        ; =>      This Inner Loop Header: Depth=4
	s_and_b32 vcc_lo, exec_lo, s25
	s_mov_b32 s33, -1
                                        ; implicit-def: $vgpr34
                                        ; implicit-def: $vgpr33
	s_cbranch_vccz .LBB38_63
; %bb.62:                               ;   in Loop: Header=BB38_61 Depth=4
	s_wait_xcnt 0x0
	v_dual_add_nc_u32 v33, s30, v13 :: v_dual_add_nc_u32 v34, s30, v19
	s_mov_b32 s33, 0
.LBB38_63:                              ;   in Loop: Header=BB38_61 Depth=4
	s_delay_alu instid0(SALU_CYCLE_1)
	s_and_not1_b32 vcc_lo, exec_lo, s33
	s_cbranch_vccnz .LBB38_60
; %bb.64:                               ;   in Loop: Header=BB38_61 Depth=4
	s_wait_xcnt 0x0
	v_dual_add_nc_u32 v33, s31, v31 :: v_dual_add_nc_u32 v34, s31, v32
	s_branch .LBB38_60
.LBB38_65:                              ;   in Loop: Header=BB38_41 Depth=2
	s_or_b32 exec_lo, exec_lo, s28
.LBB38_66:                              ;   in Loop: Header=BB38_41 Depth=2
	s_delay_alu instid0(SALU_CYCLE_1) | instskip(SKIP_2) | instid1(VALU_DEP_1)
	s_or_b32 exec_lo, exec_lo, s27
	v_ashrrev_i32_e32 v19, 31, v18
	s_cmp_eq_u32 s6, 0
	v_lshl_add_u64 v[18:19], v[18:19], 3, s[12:13]
	s_cbranch_scc1 .LBB38_39
; %bb.67:                               ;   in Loop: Header=BB38_41 Depth=2
	v_mov_b32_e32 v13, v24
	s_mov_b32 s26, 0
	s_branch .LBB38_69
.LBB38_68:                              ;   in Loop: Header=BB38_69 Depth=3
	s_clause 0x1
	global_load_b64 v[32:33], v31, s[12:13] scale_offset
	global_load_b64 v[34:35], v30, s[12:13] scale_offset
	v_add_nc_u32_e32 v13, s21, v13
	s_add_co_i32 s26, s26, 1
	s_delay_alu instid0(SALU_CYCLE_1) | instskip(SKIP_2) | instid1(VALU_DEP_1)
	s_cmp_eq_u32 s6, s26
	s_wait_loadcnt 0x0
	v_pk_fma_f32 v[16:17], v[34:35], v[32:33], v[16:17] op_sel_hi:[1,0,1]
	v_pk_fma_f32 v[16:17], v[34:35], v[32:33], v[16:17] op_sel:[1,1,0] op_sel_hi:[0,1,1] neg_hi:[0,1,0]
	s_cbranch_scc1 .LBB38_39
.LBB38_69:                              ;   Parent Loop BB38_4 Depth=1
                                        ;     Parent Loop BB38_41 Depth=2
                                        ; =>    This Inner Loop Header: Depth=3
	s_and_b32 vcc_lo, exec_lo, s25
	s_mov_b32 s27, -1
                                        ; implicit-def: $vgpr31
                                        ; implicit-def: $vgpr30
	s_cbranch_vccz .LBB38_71
; %bb.70:                               ;   in Loop: Header=BB38_69 Depth=3
	s_wait_xcnt 0x0
	v_dual_add_nc_u32 v30, s6, v13 :: v_dual_add_nc_u32 v31, v5, v13
	s_mov_b32 s27, 0
.LBB38_71:                              ;   in Loop: Header=BB38_69 Depth=3
	s_delay_alu instid0(SALU_CYCLE_1)
	s_and_not1_b32 vcc_lo, exec_lo, s27
	s_cbranch_vccnz .LBB38_68
; %bb.72:                               ;   in Loop: Header=BB38_69 Depth=3
	s_wait_xcnt 0x0
	v_dual_add_nc_u32 v30, s26, v29 :: v_dual_add_nc_u32 v31, s26, v27
	s_branch .LBB38_68
.LBB38_73:
	s_or_b32 exec_lo, exec_lo, s22
	s_delay_alu instid0(SALU_CYCLE_1)
	s_mov_b32 s0, exec_lo
	v_cmpx_eq_u32_e32 31, v0
	s_cbranch_execz .LBB38_75
; %bb.74:
	v_lshl_add_u64 v[0:1], v[2:3], 2, s[10:11]
	v_mov_b32_e32 v2, 1
	global_wb scope:SCOPE_DEV
	s_wait_loadcnt 0x0
	s_wait_storecnt 0x0
	global_store_b32 v[0:1], v2, off scope:SCOPE_DEV
.LBB38_75:
	s_wait_xcnt 0x0
	s_or_b32 exec_lo, exec_lo, s0
                                        ; implicit-def: $vgpr0
                                        ; implicit-def: $vgpr2_vgpr3
.LBB38_76:
	s_and_not1_saveexec_b32 s0, s20
	s_cbranch_execz .LBB38_83
; %bb.77:
	s_mov_b32 s0, exec_lo
	v_cmpx_eq_u32_e32 31, v0
	s_cbranch_execz .LBB38_83
; %bb.78:
	v_add_nc_u32_e32 v0, s7, v2
	s_mov_b32 s1, exec_lo
	s_brev_b32 s0, -2
.LBB38_79:                              ; =>This Inner Loop Header: Depth=1
	s_ctz_i32_b32 s2, s1
	s_delay_alu instid0(VALU_DEP_1) | instid1(SALU_CYCLE_1)
	v_readlane_b32 s3, v0, s2
	s_lshl_b32 s2, 1, s2
	s_delay_alu instid0(SALU_CYCLE_1)
	s_and_not1_b32 s1, s1, s2
	s_min_i32 s0, s0, s3
	s_cmp_lg_u32 s1, 0
	s_cbranch_scc1 .LBB38_79
; %bb.80:
	v_mbcnt_lo_u32_b32 v0, exec_lo, 0
	s_mov_b32 s1, exec_lo
	s_delay_alu instid0(VALU_DEP_1)
	v_cmpx_eq_u32_e32 0, v0
	s_xor_b32 s1, exec_lo, s1
	s_cbranch_execz .LBB38_82
; %bb.81:
	v_dual_mov_b32 v0, 0 :: v_dual_mov_b32 v1, s0
	global_atomic_min_i32 v0, v1, s[14:15] scope:SCOPE_DEV
.LBB38_82:
	s_wait_xcnt 0x0
	s_or_b32 exec_lo, exec_lo, s1
	v_lshl_add_u64 v[0:1], v[2:3], 2, s[10:11]
	v_mov_b32_e32 v2, 1
	global_wb scope:SCOPE_DEV
	s_wait_loadcnt 0x0
	s_wait_storecnt 0x0
	global_store_b32 v[0:1], v2, off scope:SCOPE_DEV
.LBB38_83:
	s_endpgm
	.section	.rodata,"a",@progbits
	.p2align	6, 0x0
	.amdhsa_kernel _ZN9rocsparseL23bsric0_binsearch_kernelILj32ELj32ELb0E21rocsparse_complex_numIfEEEv20rocsparse_direction_iiPKiS5_PT2_S5_PiS5_S8_21rocsparse_index_base_
		.amdhsa_group_segment_fixed_size 0
		.amdhsa_private_segment_fixed_size 0
		.amdhsa_kernarg_size 76
		.amdhsa_user_sgpr_count 2
		.amdhsa_user_sgpr_dispatch_ptr 0
		.amdhsa_user_sgpr_queue_ptr 0
		.amdhsa_user_sgpr_kernarg_segment_ptr 1
		.amdhsa_user_sgpr_dispatch_id 0
		.amdhsa_user_sgpr_kernarg_preload_length 0
		.amdhsa_user_sgpr_kernarg_preload_offset 0
		.amdhsa_user_sgpr_private_segment_size 0
		.amdhsa_wavefront_size32 1
		.amdhsa_uses_dynamic_stack 0
		.amdhsa_enable_private_segment 0
		.amdhsa_system_sgpr_workgroup_id_x 1
		.amdhsa_system_sgpr_workgroup_id_y 0
		.amdhsa_system_sgpr_workgroup_id_z 0
		.amdhsa_system_sgpr_workgroup_info 0
		.amdhsa_system_vgpr_workitem_id 0
		.amdhsa_next_free_vgpr 50
		.amdhsa_next_free_sgpr 37
		.amdhsa_named_barrier_count 0
		.amdhsa_reserve_vcc 1
		.amdhsa_float_round_mode_32 0
		.amdhsa_float_round_mode_16_64 0
		.amdhsa_float_denorm_mode_32 3
		.amdhsa_float_denorm_mode_16_64 3
		.amdhsa_fp16_overflow 0
		.amdhsa_memory_ordered 1
		.amdhsa_forward_progress 1
		.amdhsa_inst_pref_size 29
		.amdhsa_round_robin_scheduling 0
		.amdhsa_exception_fp_ieee_invalid_op 0
		.amdhsa_exception_fp_denorm_src 0
		.amdhsa_exception_fp_ieee_div_zero 0
		.amdhsa_exception_fp_ieee_overflow 0
		.amdhsa_exception_fp_ieee_underflow 0
		.amdhsa_exception_fp_ieee_inexact 0
		.amdhsa_exception_int_div_zero 0
	.end_amdhsa_kernel
	.section	.text._ZN9rocsparseL23bsric0_binsearch_kernelILj32ELj32ELb0E21rocsparse_complex_numIfEEEv20rocsparse_direction_iiPKiS5_PT2_S5_PiS5_S8_21rocsparse_index_base_,"axG",@progbits,_ZN9rocsparseL23bsric0_binsearch_kernelILj32ELj32ELb0E21rocsparse_complex_numIfEEEv20rocsparse_direction_iiPKiS5_PT2_S5_PiS5_S8_21rocsparse_index_base_,comdat
.Lfunc_end38:
	.size	_ZN9rocsparseL23bsric0_binsearch_kernelILj32ELj32ELb0E21rocsparse_complex_numIfEEEv20rocsparse_direction_iiPKiS5_PT2_S5_PiS5_S8_21rocsparse_index_base_, .Lfunc_end38-_ZN9rocsparseL23bsric0_binsearch_kernelILj32ELj32ELb0E21rocsparse_complex_numIfEEEv20rocsparse_direction_iiPKiS5_PT2_S5_PiS5_S8_21rocsparse_index_base_
                                        ; -- End function
	.set _ZN9rocsparseL23bsric0_binsearch_kernelILj32ELj32ELb0E21rocsparse_complex_numIfEEEv20rocsparse_direction_iiPKiS5_PT2_S5_PiS5_S8_21rocsparse_index_base_.num_vgpr, 50
	.set _ZN9rocsparseL23bsric0_binsearch_kernelILj32ELj32ELb0E21rocsparse_complex_numIfEEEv20rocsparse_direction_iiPKiS5_PT2_S5_PiS5_S8_21rocsparse_index_base_.num_agpr, 0
	.set _ZN9rocsparseL23bsric0_binsearch_kernelILj32ELj32ELb0E21rocsparse_complex_numIfEEEv20rocsparse_direction_iiPKiS5_PT2_S5_PiS5_S8_21rocsparse_index_base_.numbered_sgpr, 37
	.set _ZN9rocsparseL23bsric0_binsearch_kernelILj32ELj32ELb0E21rocsparse_complex_numIfEEEv20rocsparse_direction_iiPKiS5_PT2_S5_PiS5_S8_21rocsparse_index_base_.num_named_barrier, 0
	.set _ZN9rocsparseL23bsric0_binsearch_kernelILj32ELj32ELb0E21rocsparse_complex_numIfEEEv20rocsparse_direction_iiPKiS5_PT2_S5_PiS5_S8_21rocsparse_index_base_.private_seg_size, 0
	.set _ZN9rocsparseL23bsric0_binsearch_kernelILj32ELj32ELb0E21rocsparse_complex_numIfEEEv20rocsparse_direction_iiPKiS5_PT2_S5_PiS5_S8_21rocsparse_index_base_.uses_vcc, 1
	.set _ZN9rocsparseL23bsric0_binsearch_kernelILj32ELj32ELb0E21rocsparse_complex_numIfEEEv20rocsparse_direction_iiPKiS5_PT2_S5_PiS5_S8_21rocsparse_index_base_.uses_flat_scratch, 0
	.set _ZN9rocsparseL23bsric0_binsearch_kernelILj32ELj32ELb0E21rocsparse_complex_numIfEEEv20rocsparse_direction_iiPKiS5_PT2_S5_PiS5_S8_21rocsparse_index_base_.has_dyn_sized_stack, 0
	.set _ZN9rocsparseL23bsric0_binsearch_kernelILj32ELj32ELb0E21rocsparse_complex_numIfEEEv20rocsparse_direction_iiPKiS5_PT2_S5_PiS5_S8_21rocsparse_index_base_.has_recursion, 0
	.set _ZN9rocsparseL23bsric0_binsearch_kernelILj32ELj32ELb0E21rocsparse_complex_numIfEEEv20rocsparse_direction_iiPKiS5_PT2_S5_PiS5_S8_21rocsparse_index_base_.has_indirect_call, 0
	.section	.AMDGPU.csdata,"",@progbits
; Kernel info:
; codeLenInByte = 3684
; TotalNumSgprs: 39
; NumVgprs: 50
; ScratchSize: 0
; MemoryBound: 0
; FloatMode: 240
; IeeeMode: 1
; LDSByteSize: 0 bytes/workgroup (compile time only)
; SGPRBlocks: 0
; VGPRBlocks: 3
; NumSGPRsForWavesPerEU: 39
; NumVGPRsForWavesPerEU: 50
; NamedBarCnt: 0
; Occupancy: 16
; WaveLimiterHint : 1
; COMPUTE_PGM_RSRC2:SCRATCH_EN: 0
; COMPUTE_PGM_RSRC2:USER_SGPR: 2
; COMPUTE_PGM_RSRC2:TRAP_HANDLER: 0
; COMPUTE_PGM_RSRC2:TGID_X_EN: 1
; COMPUTE_PGM_RSRC2:TGID_Y_EN: 0
; COMPUTE_PGM_RSRC2:TGID_Z_EN: 0
; COMPUTE_PGM_RSRC2:TIDIG_COMP_CNT: 0
	.section	.text._ZN9rocsparseL23bsric0_binsearch_kernelILj64ELj64ELb1E21rocsparse_complex_numIfEEEv20rocsparse_direction_iiPKiS5_PT2_S5_PiS5_S8_21rocsparse_index_base_,"axG",@progbits,_ZN9rocsparseL23bsric0_binsearch_kernelILj64ELj64ELb1E21rocsparse_complex_numIfEEEv20rocsparse_direction_iiPKiS5_PT2_S5_PiS5_S8_21rocsparse_index_base_,comdat
	.globl	_ZN9rocsparseL23bsric0_binsearch_kernelILj64ELj64ELb1E21rocsparse_complex_numIfEEEv20rocsparse_direction_iiPKiS5_PT2_S5_PiS5_S8_21rocsparse_index_base_ ; -- Begin function _ZN9rocsparseL23bsric0_binsearch_kernelILj64ELj64ELb1E21rocsparse_complex_numIfEEEv20rocsparse_direction_iiPKiS5_PT2_S5_PiS5_S8_21rocsparse_index_base_
	.p2align	8
	.type	_ZN9rocsparseL23bsric0_binsearch_kernelILj64ELj64ELb1E21rocsparse_complex_numIfEEEv20rocsparse_direction_iiPKiS5_PT2_S5_PiS5_S8_21rocsparse_index_base_,@function
_ZN9rocsparseL23bsric0_binsearch_kernelILj64ELj64ELb1E21rocsparse_complex_numIfEEEv20rocsparse_direction_iiPKiS5_PT2_S5_PiS5_S8_21rocsparse_index_base_: ; @_ZN9rocsparseL23bsric0_binsearch_kernelILj64ELj64ELb1E21rocsparse_complex_numIfEEEv20rocsparse_direction_iiPKiS5_PT2_S5_PiS5_S8_21rocsparse_index_base_
; %bb.0:
	s_load_b256 s[8:15], s[0:1], 0x28
	s_bfe_u32 s2, ttmp6, 0x4000c
	s_and_b32 s3, ttmp6, 15
	s_add_co_i32 s2, s2, 1
	s_getreg_b32 s4, hwreg(HW_REG_IB_STS2, 6, 4)
	s_mul_i32 s2, ttmp9, s2
	s_load_b32 s7, s[0:1], 0x48
	s_add_co_i32 s3, s3, s2
	s_cmp_eq_u32 s4, 0
	s_cselect_b32 s2, ttmp9, s3
	s_delay_alu instid0(SALU_CYCLE_1)
	v_mov_b32_e32 v1, s2
	s_wait_kmcnt 0x0
	global_load_b32 v2, v1, s[12:13] scale_offset
	s_wait_loadcnt 0x0
	global_load_b32 v1, v2, s[8:9] scale_offset
	v_ashrrev_i32_e32 v3, 31, v2
	s_wait_loadcnt 0x0
	v_readfirstlane_b32 s2, v1
	s_cmp_lg_u32 s2, -1
	s_cselect_b32 s2, -1, 0
	s_delay_alu instid0(SALU_CYCLE_1) | instskip(NEXT) | instid1(SALU_CYCLE_1)
	s_and_saveexec_b32 s3, s2
	s_xor_b32 s20, exec_lo, s3
	s_cbranch_execz .LBB39_78
; %bb.1:
	s_load_b32 s21, s[0:1], 0x8
	s_mov_b32 s22, exec_lo
	s_wait_kmcnt 0x0
	v_cmpx_gt_i32_e64 s21, v0
	s_cbranch_execz .LBB39_75
; %bb.2:
	s_clause 0x2
	s_load_b128 s[16:19], s[0:1], 0x10
	s_load_b32 s5, s[0:1], 0x0
	s_load_b64 s[12:13], s[0:1], 0x20
	s_mul_i32 s23, s21, s21
	s_wait_xcnt 0x0
	v_cmp_ne_u32_e64 s0, 0, v0
	v_mul_lo_u32 v24, v1, s23
	s_mov_b32 s24, 0
	v_add_nc_u32_e32 v22, s7, v2
	s_wait_kmcnt 0x0
	v_lshl_add_u64 v[4:5], v[2:3], 2, s[16:17]
	s_cmp_eq_u32 s5, 0
	s_cselect_b32 s1, -1, 0
	s_cmp_lg_u32 s5, 0
	global_load_b64 v[4:5], v[4:5], off
	s_cselect_b32 s25, -1, 0
	s_wait_loadcnt 0x0
	v_subrev_nc_u32_e32 v20, s7, v4
	v_xad_u32 v21, s7, -1, v5
	s_delay_alu instid0(VALU_DEP_2) | instskip(NEXT) | instid1(VALU_DEP_2)
	v_mul_lo_u32 v23, s23, v20
	v_dual_mov_b32 v5, 0 :: v_dual_add_nc_u32 v4, v21, v20
	v_cmp_lt_i32_e64 s2, v20, v1
	v_cmp_ge_i32_e64 s3, v20, v1
	v_cmp_lt_i32_e64 s4, v20, v21
	s_delay_alu instid0(VALU_DEP_4) | instskip(NEXT) | instid1(VALU_DEP_1)
	v_ashrrev_i32_e32 v6, 1, v4
	v_dual_ashrrev_i32 v7, 31, v6 :: v_dual_add_nc_u32 v25, v23, v0
	s_delay_alu instid0(VALU_DEP_1)
	v_lshl_add_u64 v[8:9], v[6:7], 2, s[18:19]
	v_mov_b32_e32 v7, v0
	s_branch .LBB39_4
.LBB39_3:                               ;   in Loop: Header=BB39_4 Depth=1
	v_dual_add_nc_u32 v7, 64, v7 :: v_dual_add_nc_u32 v25, 64, v25
	s_delay_alu instid0(VALU_DEP_1) | instskip(SKIP_1) | instid1(SALU_CYCLE_1)
	v_cmp_le_i32_e32 vcc_lo, s21, v7
	s_or_b32 s24, vcc_lo, s24
	s_and_not1_b32 exec_lo, exec_lo, s24
	s_cbranch_execz .LBB39_75
.LBB39_4:                               ; =>This Loop Header: Depth=1
                                        ;     Child Loop BB39_10 Depth 2
                                        ;       Child Loop BB39_14 Depth 3
                                        ;         Child Loop BB39_15 Depth 4
                                        ;       Child Loop BB39_19 Depth 3
                                        ;         Child Loop BB39_21 Depth 4
                                        ;         Child Loop BB39_28 Depth 4
                                        ;           Child Loop BB39_30 Depth 5
                                        ;           Child Loop BB39_36 Depth 5
                                        ;     Child Loop BB39_43 Depth 2
                                        ;       Child Loop BB39_53 Depth 3
                                        ;       Child Loop BB39_61 Depth 3
                                        ;         Child Loop BB39_63 Depth 4
                                        ;       Child Loop BB39_71 Depth 3
	s_delay_alu instid0(VALU_DEP_1) | instskip(SKIP_1) | instid1(SALU_CYCLE_1)
	v_mul_lo_u32 v26, v7, s21
	s_and_saveexec_b32 s5, s3
	s_xor_b32 s5, exec_lo, s5
; %bb.5:                                ;   in Loop: Header=BB39_4 Depth=1
	v_mul_lo_u32 v26, v7, s21
; %bb.6:                                ;   in Loop: Header=BB39_4 Depth=1
	s_or_saveexec_b32 s26, s5
	v_mov_b64_e32 v[10:11], 0
	s_xor_b32 exec_lo, exec_lo, s26
	s_cbranch_execz .LBB39_40
; %bb.7:                                ;   in Loop: Header=BB39_4 Depth=1
	v_mov_b64_e32 v[10:11], 0
	v_mov_b32_e32 v27, v20
	s_mov_b32 s27, 0
                                        ; implicit-def: $sgpr28
	s_branch .LBB39_10
.LBB39_8:                               ;   in Loop: Header=BB39_10 Depth=2
	v_add_nc_u32_e32 v27, 1, v27
	s_and_not1_b32 s5, s28, exec_lo
	s_delay_alu instid0(VALU_DEP_1) | instskip(SKIP_1) | instid1(SALU_CYCLE_1)
	v_cmp_ge_i32_e32 vcc_lo, v27, v1
	s_and_b32 s6, vcc_lo, exec_lo
	s_or_b32 s28, s5, s6
.LBB39_9:                               ;   in Loop: Header=BB39_10 Depth=2
	s_wait_xcnt 0x0
	s_or_b32 exec_lo, exec_lo, s29
	s_delay_alu instid0(SALU_CYCLE_1) | instskip(NEXT) | instid1(SALU_CYCLE_1)
	s_and_b32 s5, exec_lo, s28
	s_or_b32 s27, s5, s27
	s_delay_alu instid0(SALU_CYCLE_1)
	s_and_not1_b32 exec_lo, exec_lo, s27
	s_cbranch_execz .LBB39_39
.LBB39_10:                              ;   Parent Loop BB39_4 Depth=1
                                        ; =>  This Loop Header: Depth=2
                                        ;       Child Loop BB39_14 Depth 3
                                        ;         Child Loop BB39_15 Depth 4
                                        ;       Child Loop BB39_19 Depth 3
                                        ;         Child Loop BB39_21 Depth 4
                                        ;         Child Loop BB39_28 Depth 4
                                        ;           Child Loop BB39_30 Depth 5
                                        ;           Child Loop BB39_36 Depth 5
	global_load_b32 v28, v27, s[18:19] scale_offset
	s_or_b32 s28, s28, exec_lo
	s_mov_b32 s29, exec_lo
	s_wait_loadcnt 0x0
	v_subrev_nc_u32_e32 v12, s7, v28
	global_load_b32 v29, v12, s[8:9] scale_offset
	s_wait_loadcnt 0x0
	s_wait_xcnt 0x0
	v_cmpx_ne_u32_e32 -1, v29
	s_cbranch_execz .LBB39_9
; %bb.11:                               ;   in Loop: Header=BB39_10 Depth=2
	v_ashrrev_i32_e32 v13, 31, v12
	s_mov_b32 s5, exec_lo
	s_delay_alu instid0(VALU_DEP_1) | instskip(NEXT) | instid1(VALU_DEP_1)
	v_lshlrev_b64_e32 v[14:15], 2, v[12:13]
	v_add_nc_u64_e32 v[16:17], s[16:17], v[14:15]
	v_add_nc_u64_e32 v[14:15], s[10:11], v[14:15]
	global_load_b32 v4, v[16:17], off
	global_load_b32 v13, v[14:15], off scope:SCOPE_DEV
	s_wait_loadcnt 0x0
	s_wait_xcnt 0x0
	v_cmpx_eq_u32_e32 0, v13
	s_cbranch_execz .LBB39_16
; %bb.12:                               ;   in Loop: Header=BB39_10 Depth=2
	s_mov_b32 s6, 0
	s_mov_b32 s30, 0
	s_branch .LBB39_14
.LBB39_13:                              ;   in Loop: Header=BB39_14 Depth=3
	global_load_b32 v13, v[14:15], off scope:SCOPE_DEV
	s_cmp_lt_u32 s30, 0xf43
	s_cselect_b32 s31, -1, 0
	s_delay_alu instid0(SALU_CYCLE_1)
	s_cmp_lg_u32 s31, 0
	s_add_co_ci_u32 s30, s30, 0
	s_wait_loadcnt 0x0
	v_cmp_ne_u32_e32 vcc_lo, 0, v13
	s_or_b32 s6, vcc_lo, s6
	s_wait_xcnt 0x0
	s_and_not1_b32 exec_lo, exec_lo, s6
	s_cbranch_execz .LBB39_16
.LBB39_14:                              ;   Parent Loop BB39_4 Depth=1
                                        ;     Parent Loop BB39_10 Depth=2
                                        ; =>    This Loop Header: Depth=3
                                        ;         Child Loop BB39_15 Depth 4
	s_cmp_eq_u32 s30, 0
	s_mov_b32 s31, s30
	s_cbranch_scc1 .LBB39_13
.LBB39_15:                              ;   Parent Loop BB39_4 Depth=1
                                        ;     Parent Loop BB39_10 Depth=2
                                        ;       Parent Loop BB39_14 Depth=3
                                        ; =>      This Inner Loop Header: Depth=4
	s_add_co_i32 s31, s31, -1
	s_sleep 1
	s_cmp_eq_u32 s31, 0
	s_cbranch_scc0 .LBB39_15
	s_branch .LBB39_13
.LBB39_16:                              ;   in Loop: Header=BB39_10 Depth=2
	s_or_b32 exec_lo, exec_lo, s5
	v_mul_lo_u32 v14, v27, s23
	v_subrev_nc_u32_e32 v13, s7, v4
	v_mul_lo_u32 v30, v12, s21
	v_mul_lo_u32 v31, v29, s23
	s_mov_b32 s30, 0
	global_inv scope:SCOPE_DEV
	v_mul_lo_u32 v32, s23, v13
	v_cmp_le_i32_e64 s5, v13, v29
	v_dual_add_nc_u32 v33, v14, v7 :: v_dual_add_nc_u32 v34, v14, v26
	s_branch .LBB39_19
.LBB39_17:                              ;   in Loop: Header=BB39_19 Depth=3
	s_or_b32 exec_lo, exec_lo, s33
.LBB39_18:                              ;   in Loop: Header=BB39_19 Depth=3
	s_delay_alu instid0(SALU_CYCLE_1)
	s_or_b32 exec_lo, exec_lo, s6
	v_dual_ashrrev_i32 v19, 31, v18 :: v_dual_mul_f32 v35, v12, v12
	s_wait_loadcnt 0x0
	v_pk_add_f32 v[14:15], v[14:15], v[16:17] neg_lo:[0,1] neg_hi:[0,1]
	s_add_co_i32 s30, s30, 1
	v_add_nc_u32_e32 v32, 1, v32
	v_lshl_add_u64 v[18:19], v[18:19], 3, s[12:13]
	v_fmac_f32_e32 v35, v4, v4
	v_pk_mul_f32 v[16:17], v[12:13], v[14:15] op_sel:[0,1] op_sel_hi:[0,0] neg_hi:[0,1]
	s_cmp_eq_u32 s30, s21
	s_delay_alu instid0(VALU_DEP_2) | instskip(NEXT) | instid1(VALU_DEP_2)
	v_div_scale_f32 v36, null, v35, v35, 1.0
	v_pk_fma_f32 v[14:15], v[14:15], v[4:5], v[16:17] op_sel_hi:[1,0,1]
	s_delay_alu instid0(VALU_DEP_2) | instskip(SKIP_1) | instid1(TRANS32_DEP_1)
	v_rcp_f32_e32 v37, v36
	v_nop
	v_fma_f32 v38, -v36, v37, 1.0
	s_delay_alu instid0(VALU_DEP_1) | instskip(SKIP_1) | instid1(VALU_DEP_1)
	v_fmac_f32_e32 v37, v38, v37
	v_div_scale_f32 v39, vcc_lo, 1.0, v35, 1.0
	v_mul_f32_e32 v38, v39, v37
	s_delay_alu instid0(VALU_DEP_1) | instskip(NEXT) | instid1(VALU_DEP_1)
	v_fma_f32 v40, -v36, v38, v39
	v_fmac_f32_e32 v38, v40, v37
	s_delay_alu instid0(VALU_DEP_1) | instskip(NEXT) | instid1(VALU_DEP_1)
	v_fma_f32 v36, -v36, v38, v39
	v_div_fmas_f32 v12, v36, v37, v38
	s_delay_alu instid0(VALU_DEP_1) | instskip(NEXT) | instid1(VALU_DEP_1)
	v_div_fixup_f32 v4, v12, v35, 1.0
	v_pk_mul_f32 v[14:15], v[4:5], v[14:15] op_sel_hi:[0,1]
	s_delay_alu instid0(VALU_DEP_1) | instskip(NEXT) | instid1(VALU_DEP_2)
	v_xor_b32_e32 v16, 0x80000000, v15
	v_pk_fma_f32 v[10:11], v[14:15], v[14:15], v[10:11] op_sel:[1,0,0] op_sel_hi:[0,0,1]
	v_mov_b32_e32 v17, v15
	global_store_b64 v[18:19], v[14:15], off
	v_pk_fma_f32 v[10:11], v[14:15], v[16:17], v[10:11]
	s_cbranch_scc1 .LBB39_8
.LBB39_19:                              ;   Parent Loop BB39_4 Depth=1
                                        ;     Parent Loop BB39_10 Depth=2
                                        ; =>    This Loop Header: Depth=3
                                        ;         Child Loop BB39_21 Depth 4
                                        ;         Child Loop BB39_28 Depth 4
                                        ;           Child Loop BB39_30 Depth 5
                                        ;           Child Loop BB39_36 Depth 5
	s_mul_i32 s31, s30, s21
	s_delay_alu instid0(SALU_CYCLE_1)
	v_add3_u32 v4, s31, s30, v31
	global_load_b64 v[14:15], v4, s[12:13] scale_offset
	s_wait_loadcnt 0x0
	v_cmp_neq_f32_e32 vcc_lo, 0, v14
	v_cmp_neq_f32_e64 s6, 0, v15
	s_or_b32 vcc_lo, vcc_lo, s6
	s_wait_xcnt 0x0
	v_dual_cndmask_b32 v4, 1.0, v14, vcc_lo :: v_dual_cndmask_b32 v12, 0, v15, vcc_lo
	s_nor_b32 s33, vcc_lo, s0
	s_delay_alu instid0(SALU_CYCLE_1)
	s_and_saveexec_b32 s6, s33
	s_cbranch_execz .LBB39_25
; %bb.20:                               ;   in Loop: Header=BB39_19 Depth=3
	s_mov_b32 s34, exec_lo
	s_brev_b32 s33, -2
.LBB39_21:                              ;   Parent Loop BB39_4 Depth=1
                                        ;     Parent Loop BB39_10 Depth=2
                                        ;       Parent Loop BB39_19 Depth=3
                                        ; =>      This Inner Loop Header: Depth=4
	s_ctz_i32_b32 s35, s34
	s_delay_alu instid0(SALU_CYCLE_1) | instskip(SKIP_1) | instid1(SALU_CYCLE_1)
	v_readlane_b32 s36, v28, s35
	s_lshl_b32 s35, 1, s35
	s_and_not1_b32 s34, s34, s35
	s_min_i32 s33, s33, s36
	s_cmp_lg_u32 s34, 0
	s_cbranch_scc1 .LBB39_21
; %bb.22:                               ;   in Loop: Header=BB39_19 Depth=3
	v_mbcnt_lo_u32_b32 v4, exec_lo, 0
	s_mov_b32 s34, exec_lo
	s_delay_alu instid0(VALU_DEP_1)
	v_cmpx_eq_u32_e32 0, v4
	s_xor_b32 s34, exec_lo, s34
	s_cbranch_execz .LBB39_24
; %bb.23:                               ;   in Loop: Header=BB39_19 Depth=3
	v_mov_b32_e32 v4, s33
	global_atomic_min_i32 v5, v4, s[14:15] scope:SCOPE_DEV
.LBB39_24:                              ;   in Loop: Header=BB39_19 Depth=3
	s_wait_xcnt 0x0
	s_or_b32 exec_lo, exec_lo, s34
	v_dual_mov_b32 v4, 1.0 :: v_dual_mov_b32 v12, 0
.LBB39_25:                              ;   in Loop: Header=BB39_19 Depth=3
	s_or_b32 exec_lo, exec_lo, s6
	v_dual_add_nc_u32 v14, s30, v34 :: v_dual_add_nc_u32 v15, s31, v33
	v_mov_b64_e32 v[16:17], 0
	s_delay_alu instid0(VALU_DEP_2)
	v_cndmask_b32_e64 v18, v15, v14, s1
	global_load_b64 v[14:15], v18, s[12:13] scale_offset
	s_wait_xcnt 0x0
	s_and_saveexec_b32 s6, s5
	s_cbranch_execz .LBB39_18
; %bb.26:                               ;   in Loop: Header=BB39_19 Depth=3
	global_load_b32 v19, v[8:9], off
	v_mov_b64_e32 v[16:17], 0
	v_dual_mov_b32 v36, v32 :: v_dual_add_nc_u32 v35, s30, v30
	v_mov_b32_e32 v37, v13
	s_mov_b32 s33, 0
	s_branch .LBB39_28
.LBB39_27:                              ;   in Loop: Header=BB39_28 Depth=4
	s_or_b32 exec_lo, exec_lo, s34
	v_dual_add_nc_u32 v38, 1, v37 :: v_dual_add_nc_u32 v36, s23, v36
	v_cmp_ge_i32_e32 vcc_lo, v37, v29
	s_delay_alu instid0(VALU_DEP_2) | instskip(SKIP_1) | instid1(SALU_CYCLE_1)
	v_mov_b32_e32 v37, v38
	s_or_b32 s33, vcc_lo, s33
	s_and_not1_b32 exec_lo, exec_lo, s33
	s_cbranch_execz .LBB39_17
.LBB39_28:                              ;   Parent Loop BB39_4 Depth=1
                                        ;     Parent Loop BB39_10 Depth=2
                                        ;       Parent Loop BB39_19 Depth=3
                                        ; =>      This Loop Header: Depth=4
                                        ;           Child Loop BB39_30 Depth 5
                                        ;           Child Loop BB39_36 Depth 5
	global_load_b32 v38, v37, s[18:19] scale_offset
	s_wait_loadcnt 0x1
	v_dual_mov_b32 v40, v19 :: v_dual_mov_b32 v39, v6
	s_wait_xcnt 0x0
	s_and_saveexec_b32 s34, s4
	s_cbranch_execz .LBB39_32
; %bb.29:                               ;   in Loop: Header=BB39_28 Depth=4
	v_dual_mov_b32 v40, v19 :: v_dual_mov_b32 v39, v6
	v_dual_mov_b32 v41, v20 :: v_dual_mov_b32 v42, v21
	s_mov_b32 s35, 0
.LBB39_30:                              ;   Parent Loop BB39_4 Depth=1
                                        ;     Parent Loop BB39_10 Depth=2
                                        ;       Parent Loop BB39_19 Depth=3
                                        ;         Parent Loop BB39_28 Depth=4
                                        ; =>        This Inner Loop Header: Depth=5
	s_wait_loadcnt 0x0
	s_delay_alu instid0(VALU_DEP_2) | instskip(NEXT) | instid1(VALU_DEP_2)
	v_cmp_lt_i32_e32 vcc_lo, v40, v38
	v_dual_cndmask_b32 v42, v39, v42 :: v_dual_add_nc_u32 v43, 1, v39
	s_delay_alu instid0(VALU_DEP_1) | instskip(NEXT) | instid1(VALU_DEP_1)
	v_cndmask_b32_e32 v41, v41, v43, vcc_lo
	v_add_nc_u32_e32 v39, v42, v41
	v_cmp_ge_i32_e32 vcc_lo, v41, v42
	s_delay_alu instid0(VALU_DEP_2)
	v_ashrrev_i32_e32 v39, 1, v39
	s_or_b32 s35, vcc_lo, s35
	global_load_b32 v40, v39, s[18:19] scale_offset
	s_wait_xcnt 0x0
	s_and_not1_b32 exec_lo, exec_lo, s35
	s_cbranch_execnz .LBB39_30
; %bb.31:                               ;   in Loop: Header=BB39_28 Depth=4
	s_or_b32 exec_lo, exec_lo, s35
.LBB39_32:                              ;   in Loop: Header=BB39_28 Depth=4
	s_delay_alu instid0(SALU_CYCLE_1) | instskip(NEXT) | instid1(SALU_CYCLE_1)
	s_or_b32 exec_lo, exec_lo, s34
	s_mov_b32 s34, exec_lo
	s_wait_loadcnt 0x0
	v_cmpx_eq_u32_e64 v40, v38
	s_cbranch_execz .LBB39_27
; %bb.33:                               ;   in Loop: Header=BB39_28 Depth=4
	v_mul_lo_u32 v41, v39, s23
	v_subrev_nc_u32_e32 v39, s7, v38
	v_mad_u32 v38, v37, s23, s31
	v_mov_b32_e32 v42, v36
	s_mov_b32 s35, 0
	s_delay_alu instid0(VALU_DEP_3)
	v_mul_lo_u32 v39, v39, s21
	v_dual_add_nc_u32 v40, v41, v26 :: v_dual_add_nc_u32 v41, v7, v41
	s_branch .LBB39_36
.LBB39_34:                              ;   in Loop: Header=BB39_36 Depth=5
	s_clause 0x1
	global_load_b64 v[46:47], v44, s[12:13] scale_offset
	global_load_b64 v[48:49], v43, s[12:13] scale_offset
	s_wait_loadcnt 0x0
	v_pk_fma_f32 v[16:17], v[48:49], v[46:47], v[16:17] op_sel_hi:[1,0,1]
	s_delay_alu instid0(VALU_DEP_1)
	v_pk_fma_f32 v[16:17], v[48:49], v[46:47], v[16:17] op_sel:[1,1,0] op_sel_hi:[0,1,1] neg_hi:[0,1,0]
.LBB39_35:                              ;   in Loop: Header=BB39_36 Depth=5
	s_wait_xcnt 0x0
	s_or_b32 exec_lo, exec_lo, s36
	v_dual_add_nc_u32 v41, s21, v41 :: v_dual_add_nc_u32 v42, s21, v42
	s_add_co_i32 s35, s35, 1
	s_delay_alu instid0(SALU_CYCLE_1)
	s_cmp_lg_u32 s21, s35
	s_cbranch_scc0 .LBB39_27
.LBB39_36:                              ;   Parent Loop BB39_4 Depth=1
                                        ;     Parent Loop BB39_10 Depth=2
                                        ;       Parent Loop BB39_19 Depth=3
                                        ;         Parent Loop BB39_28 Depth=4
                                        ; =>        This Inner Loop Header: Depth=5
	s_delay_alu instid0(VALU_DEP_2) | instskip(SKIP_1) | instid1(VALU_DEP_1)
	v_add_nc_u32_e32 v43, s35, v39
	s_mov_b32 s36, exec_lo
	v_cmpx_lt_i32_e64 v43, v35
	s_cbranch_execz .LBB39_35
; %bb.37:                               ;   in Loop: Header=BB39_36 Depth=5
	v_dual_mov_b32 v43, v42 :: v_dual_mov_b32 v44, v41
	s_and_not1_b32 vcc_lo, exec_lo, s1
	s_cbranch_vccnz .LBB39_34
; %bb.38:                               ;   in Loop: Header=BB39_36 Depth=5
	v_dual_add_nc_u32 v43, s35, v38 :: v_dual_add_nc_u32 v44, s35, v40
	s_branch .LBB39_34
.LBB39_39:                              ;   in Loop: Header=BB39_4 Depth=1
	s_or_b32 exec_lo, exec_lo, s27
.LBB39_40:                              ;   in Loop: Header=BB39_4 Depth=1
	s_delay_alu instid0(SALU_CYCLE_1) | instskip(NEXT) | instid1(VALU_DEP_2)
	s_or_b32 exec_lo, exec_lo, s26
	v_dual_mov_b32 v28, v23 :: v_dual_add_nc_u32 v27, v26, v24
	s_mov_b32 s6, 0
	s_branch .LBB39_43
.LBB39_41:                              ;   in Loop: Header=BB39_43 Depth=2
	v_mul_f32_e32 v29, v12, v12
	s_wait_loadcnt 0x0
	s_delay_alu instid0(VALU_DEP_2) | instskip(NEXT) | instid1(VALU_DEP_2)
	v_pk_add_f32 v[14:15], v[14:15], v[16:17] neg_lo:[0,1] neg_hi:[0,1]
	v_fmac_f32_e32 v29, v4, v4
	s_delay_alu instid0(VALU_DEP_1) | instskip(SKIP_2) | instid1(VALU_DEP_2)
	v_div_scale_f32 v13, null, v29, v29, 1.0
	v_div_scale_f32 v32, vcc_lo, 1.0, v29, 1.0
	s_wait_xcnt 0x0
	v_rcp_f32_e32 v30, v13
	v_nop
	s_delay_alu instid0(TRANS32_DEP_1) | instskip(NEXT) | instid1(VALU_DEP_1)
	v_fma_f32 v31, -v13, v30, 1.0
	v_fmac_f32_e32 v30, v31, v30
	s_delay_alu instid0(VALU_DEP_1) | instskip(NEXT) | instid1(VALU_DEP_1)
	v_mul_f32_e32 v31, v32, v30
	v_fma_f32 v33, -v13, v31, v32
	s_delay_alu instid0(VALU_DEP_1) | instskip(NEXT) | instid1(VALU_DEP_1)
	v_fmac_f32_e32 v31, v33, v30
	v_fma_f32 v16, -v13, v31, v32
	v_pk_mul_f32 v[12:13], v[12:13], v[14:15] op_sel:[0,1] op_sel_hi:[0,0] neg_hi:[0,1]
	s_delay_alu instid0(VALU_DEP_2) | instskip(NEXT) | instid1(VALU_DEP_2)
	v_div_fmas_f32 v16, v16, v30, v31
	v_pk_fma_f32 v[12:13], v[14:15], v[4:5], v[12:13] op_sel_hi:[1,0,1]
	s_delay_alu instid0(VALU_DEP_2) | instskip(NEXT) | instid1(VALU_DEP_1)
	v_div_fixup_f32 v4, v16, v29, 1.0
	v_pk_mul_f32 v[12:13], v[4:5], v[12:13] op_sel_hi:[0,1]
	s_delay_alu instid0(VALU_DEP_1) | instskip(NEXT) | instid1(VALU_DEP_2)
	v_xor_b32_e32 v14, 0x80000000, v13
	v_pk_fma_f32 v[10:11], v[12:13], v[12:13], v[10:11] op_sel:[1,0,0] op_sel_hi:[0,0,1]
	v_mov_b32_e32 v15, v13
	global_store_b64 v[18:19], v[12:13], off
	v_pk_fma_f32 v[10:11], v[12:13], v[14:15], v[10:11]
.LBB39_42:                              ;   in Loop: Header=BB39_43 Depth=2
	s_wait_xcnt 0x0
	s_or_b32 exec_lo, exec_lo, s5
	v_add_nc_u32_e32 v28, 1, v28
	s_add_co_i32 s6, s6, 1
	global_wb scope:SCOPE_DEV
	s_wait_storecnt 0x0
	global_inv scope:SCOPE_DEV
	s_cmp_eq_u32 s6, s21
	s_cbranch_scc1 .LBB39_3
.LBB39_43:                              ;   Parent Loop BB39_4 Depth=1
                                        ; =>  This Loop Header: Depth=2
                                        ;       Child Loop BB39_53 Depth 3
                                        ;       Child Loop BB39_61 Depth 3
                                        ;         Child Loop BB39_63 Depth 4
                                        ;       Child Loop BB39_71 Depth 3
	s_mul_i32 s26, s6, s21
	s_mov_b32 s27, exec_lo
	v_add_nc_u32_e32 v29, s26, v24
	s_delay_alu instid0(VALU_DEP_1) | instskip(NEXT) | instid1(VALU_DEP_1)
	v_add_nc_u32_e32 v12, s6, v29
	v_ashrrev_i32_e32 v13, 31, v12
	s_delay_alu instid0(VALU_DEP_1)
	v_lshl_add_u64 v[12:13], v[12:13], 3, s[12:13]
	v_cmpx_eq_u32_e64 s6, v7
	s_cbranch_execz .LBB39_51
; %bb.44:                               ;   in Loop: Header=BB39_43 Depth=2
	global_load_b64 v[14:15], v[12:13], off
	s_mov_b32 s5, exec_lo
	s_wait_loadcnt 0x0
	v_dual_sub_f32 v4, v14, v11 :: v_dual_sub_f32 v16, v15, v10
                                        ; implicit-def: $vgpr15
	s_delay_alu instid0(VALU_DEP_1) | instskip(SKIP_1) | instid1(VALU_DEP_3)
	v_cmp_gt_f32_e32 vcc_lo, 0, v4
	v_cndmask_b32_e64 v4, v4, -v4, vcc_lo
	v_cmp_gt_f32_e32 vcc_lo, 0, v16
	v_cndmask_b32_e64 v14, v16, -v16, vcc_lo
	s_wait_xcnt 0x0
	s_delay_alu instid0(VALU_DEP_1)
	v_cmpx_ngt_f32_e32 v4, v14
	s_xor_b32 s28, exec_lo, s5
	s_cbranch_execz .LBB39_48
; %bb.45:                               ;   in Loop: Header=BB39_43 Depth=2
	v_mov_b32_e32 v15, 0
	s_mov_b32 s29, exec_lo
	v_cmpx_neq_f32_e32 0, v16
	s_cbranch_execz .LBB39_47
; %bb.46:                               ;   in Loop: Header=BB39_43 Depth=2
	v_div_scale_f32 v15, null, v14, v14, v4
	v_div_scale_f32 v18, vcc_lo, v4, v14, v4
	s_delay_alu instid0(VALU_DEP_2) | instskip(SKIP_1) | instid1(TRANS32_DEP_1)
	v_rcp_f32_e32 v16, v15
	v_nop
	v_fma_f32 v17, -v15, v16, 1.0
	s_delay_alu instid0(VALU_DEP_1) | instskip(NEXT) | instid1(VALU_DEP_1)
	v_fmac_f32_e32 v16, v17, v16
	v_mul_f32_e32 v17, v18, v16
	s_delay_alu instid0(VALU_DEP_1) | instskip(NEXT) | instid1(VALU_DEP_1)
	v_fma_f32 v19, -v15, v17, v18
	v_fmac_f32_e32 v17, v19, v16
	s_delay_alu instid0(VALU_DEP_1) | instskip(NEXT) | instid1(VALU_DEP_1)
	v_fma_f32 v15, -v15, v17, v18
	v_div_fmas_f32 v15, v15, v16, v17
	s_delay_alu instid0(VALU_DEP_1) | instskip(NEXT) | instid1(VALU_DEP_1)
	v_div_fixup_f32 v4, v15, v14, v4
	v_fma_f32 v4, v4, v4, 1.0
	s_delay_alu instid0(VALU_DEP_1) | instskip(SKIP_1) | instid1(VALU_DEP_2)
	v_mul_f32_e32 v15, 0x4f800000, v4
	v_cmp_gt_f32_e32 vcc_lo, 0xf800000, v4
	v_cndmask_b32_e32 v4, v4, v15, vcc_lo
	s_delay_alu instid0(VALU_DEP_1) | instskip(SKIP_1) | instid1(TRANS32_DEP_1)
	v_sqrt_f32_e32 v15, v4
	v_nop
	v_dual_add_nc_u32 v16, -1, v15 :: v_dual_add_nc_u32 v17, 1, v15
	s_delay_alu instid0(VALU_DEP_1) | instskip(NEXT) | instid1(VALU_DEP_1)
	v_fma_f32 v18, -v16, v15, v4
	v_cmp_ge_f32_e64 s5, 0, v18
	s_delay_alu instid0(VALU_DEP_1) | instskip(NEXT) | instid1(VALU_DEP_1)
	v_dual_fma_f32 v19, -v17, v15, v4 :: v_dual_cndmask_b32 v15, v15, v16, s5
	v_cmp_lt_f32_e64 s5, 0, v19
	s_delay_alu instid0(VALU_DEP_1) | instskip(NEXT) | instid1(VALU_DEP_1)
	v_cndmask_b32_e64 v15, v15, v17, s5
	v_mul_f32_e32 v16, 0x37800000, v15
	s_delay_alu instid0(VALU_DEP_1) | instskip(SKIP_1) | instid1(VALU_DEP_2)
	v_cndmask_b32_e32 v15, v15, v16, vcc_lo
	v_cmp_class_f32_e64 vcc_lo, v4, 0x260
	v_cndmask_b32_e32 v4, v15, v4, vcc_lo
	s_delay_alu instid0(VALU_DEP_1)
	v_mul_f32_e32 v15, v14, v4
.LBB39_47:                              ;   in Loop: Header=BB39_43 Depth=2
	s_or_b32 exec_lo, exec_lo, s29
                                        ; implicit-def: $vgpr4
                                        ; implicit-def: $vgpr14
.LBB39_48:                              ;   in Loop: Header=BB39_43 Depth=2
	s_and_not1_saveexec_b32 s28, s28
	s_cbranch_execz .LBB39_50
; %bb.49:                               ;   in Loop: Header=BB39_43 Depth=2
	v_div_scale_f32 v15, null, v4, v4, v14
	v_div_scale_f32 v18, vcc_lo, v14, v4, v14
	s_delay_alu instid0(VALU_DEP_2) | instskip(SKIP_1) | instid1(TRANS32_DEP_1)
	v_rcp_f32_e32 v16, v15
	v_nop
	v_fma_f32 v17, -v15, v16, 1.0
	s_delay_alu instid0(VALU_DEP_1) | instskip(NEXT) | instid1(VALU_DEP_1)
	v_fmac_f32_e32 v16, v17, v16
	v_mul_f32_e32 v17, v18, v16
	s_delay_alu instid0(VALU_DEP_1) | instskip(NEXT) | instid1(VALU_DEP_1)
	v_fma_f32 v19, -v15, v17, v18
	v_fmac_f32_e32 v17, v19, v16
	s_delay_alu instid0(VALU_DEP_1) | instskip(NEXT) | instid1(VALU_DEP_1)
	v_fma_f32 v15, -v15, v17, v18
	v_div_fmas_f32 v15, v15, v16, v17
	s_delay_alu instid0(VALU_DEP_1) | instskip(NEXT) | instid1(VALU_DEP_1)
	v_div_fixup_f32 v14, v15, v4, v14
	v_fma_f32 v14, v14, v14, 1.0
	s_delay_alu instid0(VALU_DEP_1) | instskip(SKIP_1) | instid1(VALU_DEP_2)
	v_mul_f32_e32 v15, 0x4f800000, v14
	v_cmp_gt_f32_e32 vcc_lo, 0xf800000, v14
	v_cndmask_b32_e32 v14, v14, v15, vcc_lo
	s_delay_alu instid0(VALU_DEP_1) | instskip(SKIP_1) | instid1(TRANS32_DEP_1)
	v_sqrt_f32_e32 v15, v14
	v_nop
	v_dual_add_nc_u32 v16, -1, v15 :: v_dual_add_nc_u32 v17, 1, v15
	s_delay_alu instid0(VALU_DEP_1) | instskip(NEXT) | instid1(VALU_DEP_1)
	v_fma_f32 v18, -v16, v15, v14
	v_cmp_ge_f32_e64 s5, 0, v18
	s_delay_alu instid0(VALU_DEP_1) | instskip(NEXT) | instid1(VALU_DEP_1)
	v_dual_fma_f32 v19, -v17, v15, v14 :: v_dual_cndmask_b32 v15, v15, v16, s5
	v_cmp_lt_f32_e64 s5, 0, v19
	s_delay_alu instid0(VALU_DEP_1) | instskip(NEXT) | instid1(VALU_DEP_1)
	v_cndmask_b32_e64 v15, v15, v17, s5
	v_mul_f32_e32 v16, 0x37800000, v15
	s_delay_alu instid0(VALU_DEP_1) | instskip(SKIP_1) | instid1(VALU_DEP_2)
	v_cndmask_b32_e32 v15, v15, v16, vcc_lo
	v_cmp_class_f32_e64 vcc_lo, v14, 0x260
	v_cndmask_b32_e32 v14, v15, v14, vcc_lo
	s_delay_alu instid0(VALU_DEP_1)
	v_mul_f32_e32 v15, v4, v14
.LBB39_50:                              ;   in Loop: Header=BB39_43 Depth=2
	s_or_b32 exec_lo, exec_lo, s28
	s_delay_alu instid0(VALU_DEP_1) | instskip(SKIP_1) | instid1(VALU_DEP_2)
	v_mul_f32_e32 v4, 0x4f800000, v15
	v_cmp_gt_f32_e32 vcc_lo, 0xf800000, v15
	v_cndmask_b32_e32 v4, v15, v4, vcc_lo
	s_delay_alu instid0(VALU_DEP_1) | instskip(SKIP_1) | instid1(TRANS32_DEP_1)
	v_sqrt_f32_e32 v14, v4
	v_nop
	v_dual_add_nc_u32 v15, -1, v14 :: v_dual_add_nc_u32 v16, 1, v14
	s_delay_alu instid0(VALU_DEP_1) | instskip(NEXT) | instid1(VALU_DEP_1)
	v_dual_fma_f32 v17, -v15, v14, v4 :: v_dual_fma_f32 v18, -v16, v14, v4
	v_cmp_ge_f32_e64 s5, 0, v17
	s_delay_alu instid0(VALU_DEP_1) | instskip(NEXT) | instid1(VALU_DEP_3)
	v_cndmask_b32_e64 v14, v14, v15, s5
	v_cmp_lt_f32_e64 s5, 0, v18
	s_delay_alu instid0(VALU_DEP_1) | instskip(NEXT) | instid1(VALU_DEP_1)
	v_cndmask_b32_e64 v14, v14, v16, s5
	v_mul_f32_e32 v15, 0x37800000, v14
	s_delay_alu instid0(VALU_DEP_1) | instskip(SKIP_1) | instid1(VALU_DEP_2)
	v_cndmask_b32_e32 v14, v14, v15, vcc_lo
	v_cmp_class_f32_e64 vcc_lo, v4, 0x260
	v_cndmask_b32_e32 v4, v14, v4, vcc_lo
	global_store_b64 v[12:13], v[4:5], off
.LBB39_51:                              ;   in Loop: Header=BB39_43 Depth=2
	s_wait_xcnt 0x0
	s_or_b32 exec_lo, exec_lo, s27
	global_wb scope:SCOPE_DEV
	s_wait_storecnt 0x0
	global_inv scope:SCOPE_DEV
	global_load_b64 v[14:15], v[12:13], off
	s_wait_loadcnt 0x0
	v_cmp_neq_f32_e32 vcc_lo, 0, v14
	v_cmp_neq_f32_e64 s5, 0, v15
	s_or_b32 vcc_lo, vcc_lo, s5
	s_wait_xcnt 0x0
	v_dual_cndmask_b32 v12, 0, v15, vcc_lo :: v_dual_cndmask_b32 v4, 1.0, v14, vcc_lo
	s_nor_b32 s27, vcc_lo, s0
	s_delay_alu instid0(SALU_CYCLE_1)
	s_and_saveexec_b32 s5, s27
	s_cbranch_execz .LBB39_57
; %bb.52:                               ;   in Loop: Header=BB39_43 Depth=2
	s_mov_b32 s28, exec_lo
	s_brev_b32 s27, -2
.LBB39_53:                              ;   Parent Loop BB39_4 Depth=1
                                        ;     Parent Loop BB39_43 Depth=2
                                        ; =>    This Inner Loop Header: Depth=3
	s_ctz_i32_b32 s29, s28
	s_delay_alu instid0(SALU_CYCLE_1) | instskip(SKIP_1) | instid1(SALU_CYCLE_1)
	v_readlane_b32 s30, v22, s29
	s_lshl_b32 s29, 1, s29
	s_and_not1_b32 s28, s28, s29
	s_min_i32 s27, s27, s30
	s_cmp_lg_u32 s28, 0
	s_cbranch_scc1 .LBB39_53
; %bb.54:                               ;   in Loop: Header=BB39_43 Depth=2
	v_mbcnt_lo_u32_b32 v4, exec_lo, 0
	s_mov_b32 s28, exec_lo
	s_delay_alu instid0(VALU_DEP_1)
	v_cmpx_eq_u32_e32 0, v4
	s_xor_b32 s28, exec_lo, s28
	s_cbranch_execz .LBB39_56
; %bb.55:                               ;   in Loop: Header=BB39_43 Depth=2
	v_mov_b32_e32 v4, s27
	global_atomic_min_i32 v5, v4, s[14:15] scope:SCOPE_DEV
.LBB39_56:                              ;   in Loop: Header=BB39_43 Depth=2
	s_wait_xcnt 0x0
	s_or_b32 exec_lo, exec_lo, s28
	v_dual_mov_b32 v12, 0 :: v_dual_mov_b32 v4, 1.0
.LBB39_57:                              ;   in Loop: Header=BB39_43 Depth=2
	s_or_b32 exec_lo, exec_lo, s5
	s_delay_alu instid0(SALU_CYCLE_1)
	s_mov_b32 s5, exec_lo
	v_cmpx_lt_i32_e64 s6, v7
	s_cbranch_execz .LBB39_42
; %bb.58:                               ;   in Loop: Header=BB39_43 Depth=2
	v_add_nc_u32_e32 v13, s6, v27
	v_add_nc_u32_e32 v14, v29, v7
	v_mov_b64_e32 v[16:17], 0
	s_delay_alu instid0(VALU_DEP_2)
	v_cndmask_b32_e64 v18, v14, v13, s1
	global_load_b64 v[14:15], v18, s[12:13] scale_offset
	s_wait_xcnt 0x0
	s_and_saveexec_b32 s27, s2
	s_cbranch_execz .LBB39_68
; %bb.59:                               ;   in Loop: Header=BB39_43 Depth=2
	v_dual_mov_b32 v16, 0 :: v_dual_mov_b32 v13, v28
	v_dual_mov_b32 v19, v25 :: v_dual_mov_b32 v30, v20
	s_mov_b32 s28, 0
	s_delay_alu instid0(VALU_DEP_2)
	v_mov_b32_e32 v17, v16
	s_branch .LBB39_61
.LBB39_60:                              ;   in Loop: Header=BB39_61 Depth=3
	v_dual_add_nc_u32 v30, 1, v30 :: v_dual_add_nc_u32 v19, s23, v19
	v_add_nc_u32_e32 v13, s23, v13
	s_delay_alu instid0(VALU_DEP_2)
	v_cmp_ge_i32_e32 vcc_lo, v30, v1
	s_or_b32 s28, vcc_lo, s28
	s_wait_xcnt 0x0
	s_and_not1_b32 exec_lo, exec_lo, s28
	s_cbranch_execz .LBB39_67
.LBB39_61:                              ;   Parent Loop BB39_4 Depth=1
                                        ;     Parent Loop BB39_43 Depth=2
                                        ; =>    This Loop Header: Depth=3
                                        ;         Child Loop BB39_63 Depth 4
	s_delay_alu instid0(VALU_DEP_2) | instskip(SKIP_3) | instid1(VALU_DEP_1)
	v_mul_lo_u32 v32, v30, s23
	s_mov_b32 s29, s21
	s_mov_b32 s30, 0
	;; [unrolled: 1-line block ×3, first 2 shown]
	v_dual_add_nc_u32 v31, s26, v32 :: v_dual_add_nc_u32 v32, v32, v26
	s_branch .LBB39_63
.LBB39_62:                              ;   in Loop: Header=BB39_63 Depth=4
	s_clause 0x1
	global_load_b64 v[36:37], v34, s[12:13] scale_offset
	global_load_b64 v[38:39], v33, s[12:13] scale_offset
	s_add_co_i32 s29, s29, -1
	s_add_co_i32 s31, s31, 1
	s_add_co_i32 s30, s30, s21
	s_cmp_eq_u32 s29, 0
	s_wait_loadcnt 0x0
	v_pk_fma_f32 v[16:17], v[38:39], v[36:37], v[16:17] op_sel_hi:[1,0,1]
	s_delay_alu instid0(VALU_DEP_1)
	v_pk_fma_f32 v[16:17], v[38:39], v[36:37], v[16:17] op_sel:[1,1,0] op_sel_hi:[0,1,1] neg_hi:[0,1,0]
	s_cbranch_scc1 .LBB39_60
.LBB39_63:                              ;   Parent Loop BB39_4 Depth=1
                                        ;     Parent Loop BB39_43 Depth=2
                                        ;       Parent Loop BB39_61 Depth=3
                                        ; =>      This Inner Loop Header: Depth=4
	s_and_b32 vcc_lo, exec_lo, s25
	s_mov_b32 s33, -1
                                        ; implicit-def: $vgpr34
                                        ; implicit-def: $vgpr33
	s_cbranch_vccz .LBB39_65
; %bb.64:                               ;   in Loop: Header=BB39_63 Depth=4
	s_wait_xcnt 0x0
	v_dual_add_nc_u32 v33, s30, v13 :: v_dual_add_nc_u32 v34, s30, v19
	s_mov_b32 s33, 0
.LBB39_65:                              ;   in Loop: Header=BB39_63 Depth=4
	s_delay_alu instid0(SALU_CYCLE_1)
	s_and_not1_b32 vcc_lo, exec_lo, s33
	s_cbranch_vccnz .LBB39_62
; %bb.66:                               ;   in Loop: Header=BB39_63 Depth=4
	s_wait_xcnt 0x0
	v_dual_add_nc_u32 v33, s31, v31 :: v_dual_add_nc_u32 v34, s31, v32
	s_branch .LBB39_62
.LBB39_67:                              ;   in Loop: Header=BB39_43 Depth=2
	s_or_b32 exec_lo, exec_lo, s28
.LBB39_68:                              ;   in Loop: Header=BB39_43 Depth=2
	s_delay_alu instid0(SALU_CYCLE_1) | instskip(SKIP_2) | instid1(VALU_DEP_1)
	s_or_b32 exec_lo, exec_lo, s27
	v_ashrrev_i32_e32 v19, 31, v18
	s_cmp_eq_u32 s6, 0
	v_lshl_add_u64 v[18:19], v[18:19], 3, s[12:13]
	s_cbranch_scc1 .LBB39_41
; %bb.69:                               ;   in Loop: Header=BB39_43 Depth=2
	v_mov_b32_e32 v13, v24
	s_mov_b32 s26, 0
	s_branch .LBB39_71
.LBB39_70:                              ;   in Loop: Header=BB39_71 Depth=3
	s_clause 0x1
	global_load_b64 v[32:33], v31, s[12:13] scale_offset
	global_load_b64 v[34:35], v30, s[12:13] scale_offset
	v_add_nc_u32_e32 v13, s21, v13
	s_add_co_i32 s26, s26, 1
	s_delay_alu instid0(SALU_CYCLE_1) | instskip(SKIP_2) | instid1(VALU_DEP_1)
	s_cmp_eq_u32 s6, s26
	s_wait_loadcnt 0x0
	v_pk_fma_f32 v[16:17], v[34:35], v[32:33], v[16:17] op_sel_hi:[1,0,1]
	v_pk_fma_f32 v[16:17], v[34:35], v[32:33], v[16:17] op_sel:[1,1,0] op_sel_hi:[0,1,1] neg_hi:[0,1,0]
	s_cbranch_scc1 .LBB39_41
.LBB39_71:                              ;   Parent Loop BB39_4 Depth=1
                                        ;     Parent Loop BB39_43 Depth=2
                                        ; =>    This Inner Loop Header: Depth=3
	s_and_b32 vcc_lo, exec_lo, s25
	s_mov_b32 s27, -1
                                        ; implicit-def: $vgpr31
                                        ; implicit-def: $vgpr30
	s_cbranch_vccz .LBB39_73
; %bb.72:                               ;   in Loop: Header=BB39_71 Depth=3
	s_wait_xcnt 0x0
	v_dual_add_nc_u32 v30, s6, v13 :: v_dual_add_nc_u32 v31, v7, v13
	s_mov_b32 s27, 0
.LBB39_73:                              ;   in Loop: Header=BB39_71 Depth=3
	s_delay_alu instid0(SALU_CYCLE_1)
	s_and_not1_b32 vcc_lo, exec_lo, s27
	s_cbranch_vccnz .LBB39_70
; %bb.74:                               ;   in Loop: Header=BB39_71 Depth=3
	s_wait_xcnt 0x0
	v_dual_add_nc_u32 v30, s26, v29 :: v_dual_add_nc_u32 v31, s26, v27
	s_branch .LBB39_70
.LBB39_75:
	s_or_b32 exec_lo, exec_lo, s22
	s_delay_alu instid0(SALU_CYCLE_1)
	s_mov_b32 s0, exec_lo
	v_cmpx_eq_u32_e32 63, v0
	s_cbranch_execz .LBB39_77
; %bb.76:
	v_lshl_add_u64 v[0:1], v[2:3], 2, s[10:11]
	v_mov_b32_e32 v2, 1
	global_wb scope:SCOPE_DEV
	s_wait_loadcnt 0x0
	s_wait_storecnt 0x0
	global_store_b32 v[0:1], v2, off scope:SCOPE_DEV
.LBB39_77:
	s_wait_xcnt 0x0
	s_or_b32 exec_lo, exec_lo, s0
                                        ; implicit-def: $vgpr0
                                        ; implicit-def: $vgpr2_vgpr3
.LBB39_78:
	s_and_not1_saveexec_b32 s0, s20
	s_cbranch_execz .LBB39_85
; %bb.79:
	s_mov_b32 s0, exec_lo
	v_cmpx_eq_u32_e32 63, v0
	s_cbranch_execz .LBB39_85
; %bb.80:
	v_add_nc_u32_e32 v0, s7, v2
	s_mov_b32 s1, exec_lo
	s_brev_b32 s0, -2
.LBB39_81:                              ; =>This Inner Loop Header: Depth=1
	s_ctz_i32_b32 s2, s1
	s_delay_alu instid0(VALU_DEP_1) | instid1(SALU_CYCLE_1)
	v_readlane_b32 s3, v0, s2
	s_lshl_b32 s2, 1, s2
	s_delay_alu instid0(SALU_CYCLE_1)
	s_and_not1_b32 s1, s1, s2
	s_min_i32 s0, s0, s3
	s_cmp_lg_u32 s1, 0
	s_cbranch_scc1 .LBB39_81
; %bb.82:
	v_mbcnt_lo_u32_b32 v0, exec_lo, 0
	s_mov_b32 s1, exec_lo
	s_delay_alu instid0(VALU_DEP_1)
	v_cmpx_eq_u32_e32 0, v0
	s_xor_b32 s1, exec_lo, s1
	s_cbranch_execz .LBB39_84
; %bb.83:
	v_dual_mov_b32 v0, 0 :: v_dual_mov_b32 v1, s0
	global_atomic_min_i32 v0, v1, s[14:15] scope:SCOPE_DEV
.LBB39_84:
	s_wait_xcnt 0x0
	s_or_b32 exec_lo, exec_lo, s1
	v_lshl_add_u64 v[0:1], v[2:3], 2, s[10:11]
	v_mov_b32_e32 v2, 1
	global_wb scope:SCOPE_DEV
	s_wait_loadcnt 0x0
	s_wait_storecnt 0x0
	global_store_b32 v[0:1], v2, off scope:SCOPE_DEV
.LBB39_85:
	s_endpgm
	.section	.rodata,"a",@progbits
	.p2align	6, 0x0
	.amdhsa_kernel _ZN9rocsparseL23bsric0_binsearch_kernelILj64ELj64ELb1E21rocsparse_complex_numIfEEEv20rocsparse_direction_iiPKiS5_PT2_S5_PiS5_S8_21rocsparse_index_base_
		.amdhsa_group_segment_fixed_size 0
		.amdhsa_private_segment_fixed_size 0
		.amdhsa_kernarg_size 76
		.amdhsa_user_sgpr_count 2
		.amdhsa_user_sgpr_dispatch_ptr 0
		.amdhsa_user_sgpr_queue_ptr 0
		.amdhsa_user_sgpr_kernarg_segment_ptr 1
		.amdhsa_user_sgpr_dispatch_id 0
		.amdhsa_user_sgpr_kernarg_preload_length 0
		.amdhsa_user_sgpr_kernarg_preload_offset 0
		.amdhsa_user_sgpr_private_segment_size 0
		.amdhsa_wavefront_size32 1
		.amdhsa_uses_dynamic_stack 0
		.amdhsa_enable_private_segment 0
		.amdhsa_system_sgpr_workgroup_id_x 1
		.amdhsa_system_sgpr_workgroup_id_y 0
		.amdhsa_system_sgpr_workgroup_id_z 0
		.amdhsa_system_sgpr_workgroup_info 0
		.amdhsa_system_vgpr_workitem_id 0
		.amdhsa_next_free_vgpr 50
		.amdhsa_next_free_sgpr 37
		.amdhsa_named_barrier_count 0
		.amdhsa_reserve_vcc 1
		.amdhsa_float_round_mode_32 0
		.amdhsa_float_round_mode_16_64 0
		.amdhsa_float_denorm_mode_32 3
		.amdhsa_float_denorm_mode_16_64 3
		.amdhsa_fp16_overflow 0
		.amdhsa_memory_ordered 1
		.amdhsa_forward_progress 1
		.amdhsa_inst_pref_size 30
		.amdhsa_round_robin_scheduling 0
		.amdhsa_exception_fp_ieee_invalid_op 0
		.amdhsa_exception_fp_denorm_src 0
		.amdhsa_exception_fp_ieee_div_zero 0
		.amdhsa_exception_fp_ieee_overflow 0
		.amdhsa_exception_fp_ieee_underflow 0
		.amdhsa_exception_fp_ieee_inexact 0
		.amdhsa_exception_int_div_zero 0
	.end_amdhsa_kernel
	.section	.text._ZN9rocsparseL23bsric0_binsearch_kernelILj64ELj64ELb1E21rocsparse_complex_numIfEEEv20rocsparse_direction_iiPKiS5_PT2_S5_PiS5_S8_21rocsparse_index_base_,"axG",@progbits,_ZN9rocsparseL23bsric0_binsearch_kernelILj64ELj64ELb1E21rocsparse_complex_numIfEEEv20rocsparse_direction_iiPKiS5_PT2_S5_PiS5_S8_21rocsparse_index_base_,comdat
.Lfunc_end39:
	.size	_ZN9rocsparseL23bsric0_binsearch_kernelILj64ELj64ELb1E21rocsparse_complex_numIfEEEv20rocsparse_direction_iiPKiS5_PT2_S5_PiS5_S8_21rocsparse_index_base_, .Lfunc_end39-_ZN9rocsparseL23bsric0_binsearch_kernelILj64ELj64ELb1E21rocsparse_complex_numIfEEEv20rocsparse_direction_iiPKiS5_PT2_S5_PiS5_S8_21rocsparse_index_base_
                                        ; -- End function
	.set _ZN9rocsparseL23bsric0_binsearch_kernelILj64ELj64ELb1E21rocsparse_complex_numIfEEEv20rocsparse_direction_iiPKiS5_PT2_S5_PiS5_S8_21rocsparse_index_base_.num_vgpr, 50
	.set _ZN9rocsparseL23bsric0_binsearch_kernelILj64ELj64ELb1E21rocsparse_complex_numIfEEEv20rocsparse_direction_iiPKiS5_PT2_S5_PiS5_S8_21rocsparse_index_base_.num_agpr, 0
	.set _ZN9rocsparseL23bsric0_binsearch_kernelILj64ELj64ELb1E21rocsparse_complex_numIfEEEv20rocsparse_direction_iiPKiS5_PT2_S5_PiS5_S8_21rocsparse_index_base_.numbered_sgpr, 37
	.set _ZN9rocsparseL23bsric0_binsearch_kernelILj64ELj64ELb1E21rocsparse_complex_numIfEEEv20rocsparse_direction_iiPKiS5_PT2_S5_PiS5_S8_21rocsparse_index_base_.num_named_barrier, 0
	.set _ZN9rocsparseL23bsric0_binsearch_kernelILj64ELj64ELb1E21rocsparse_complex_numIfEEEv20rocsparse_direction_iiPKiS5_PT2_S5_PiS5_S8_21rocsparse_index_base_.private_seg_size, 0
	.set _ZN9rocsparseL23bsric0_binsearch_kernelILj64ELj64ELb1E21rocsparse_complex_numIfEEEv20rocsparse_direction_iiPKiS5_PT2_S5_PiS5_S8_21rocsparse_index_base_.uses_vcc, 1
	.set _ZN9rocsparseL23bsric0_binsearch_kernelILj64ELj64ELb1E21rocsparse_complex_numIfEEEv20rocsparse_direction_iiPKiS5_PT2_S5_PiS5_S8_21rocsparse_index_base_.uses_flat_scratch, 0
	.set _ZN9rocsparseL23bsric0_binsearch_kernelILj64ELj64ELb1E21rocsparse_complex_numIfEEEv20rocsparse_direction_iiPKiS5_PT2_S5_PiS5_S8_21rocsparse_index_base_.has_dyn_sized_stack, 0
	.set _ZN9rocsparseL23bsric0_binsearch_kernelILj64ELj64ELb1E21rocsparse_complex_numIfEEEv20rocsparse_direction_iiPKiS5_PT2_S5_PiS5_S8_21rocsparse_index_base_.has_recursion, 0
	.set _ZN9rocsparseL23bsric0_binsearch_kernelILj64ELj64ELb1E21rocsparse_complex_numIfEEEv20rocsparse_direction_iiPKiS5_PT2_S5_PiS5_S8_21rocsparse_index_base_.has_indirect_call, 0
	.section	.AMDGPU.csdata,"",@progbits
; Kernel info:
; codeLenInByte = 3752
; TotalNumSgprs: 39
; NumVgprs: 50
; ScratchSize: 0
; MemoryBound: 0
; FloatMode: 240
; IeeeMode: 1
; LDSByteSize: 0 bytes/workgroup (compile time only)
; SGPRBlocks: 0
; VGPRBlocks: 3
; NumSGPRsForWavesPerEU: 39
; NumVGPRsForWavesPerEU: 50
; NamedBarCnt: 0
; Occupancy: 16
; WaveLimiterHint : 1
; COMPUTE_PGM_RSRC2:SCRATCH_EN: 0
; COMPUTE_PGM_RSRC2:USER_SGPR: 2
; COMPUTE_PGM_RSRC2:TRAP_HANDLER: 0
; COMPUTE_PGM_RSRC2:TGID_X_EN: 1
; COMPUTE_PGM_RSRC2:TGID_Y_EN: 0
; COMPUTE_PGM_RSRC2:TGID_Z_EN: 0
; COMPUTE_PGM_RSRC2:TIDIG_COMP_CNT: 0
	.section	.text._ZN9rocsparseL26bsric0_2_8_unrolled_kernelILi1ELi32ELi1E21rocsparse_complex_numIfEEEv20rocsparse_direction_iiPKiS5_PT2_S5_PiS5_S8_21rocsparse_index_base_,"axG",@progbits,_ZN9rocsparseL26bsric0_2_8_unrolled_kernelILi1ELi32ELi1E21rocsparse_complex_numIfEEEv20rocsparse_direction_iiPKiS5_PT2_S5_PiS5_S8_21rocsparse_index_base_,comdat
	.globl	_ZN9rocsparseL26bsric0_2_8_unrolled_kernelILi1ELi32ELi1E21rocsparse_complex_numIfEEEv20rocsparse_direction_iiPKiS5_PT2_S5_PiS5_S8_21rocsparse_index_base_ ; -- Begin function _ZN9rocsparseL26bsric0_2_8_unrolled_kernelILi1ELi32ELi1E21rocsparse_complex_numIfEEEv20rocsparse_direction_iiPKiS5_PT2_S5_PiS5_S8_21rocsparse_index_base_
	.p2align	8
	.type	_ZN9rocsparseL26bsric0_2_8_unrolled_kernelILi1ELi32ELi1E21rocsparse_complex_numIfEEEv20rocsparse_direction_iiPKiS5_PT2_S5_PiS5_S8_21rocsparse_index_base_,@function
_ZN9rocsparseL26bsric0_2_8_unrolled_kernelILi1ELi32ELi1E21rocsparse_complex_numIfEEEv20rocsparse_direction_iiPKiS5_PT2_S5_PiS5_S8_21rocsparse_index_base_: ; @_ZN9rocsparseL26bsric0_2_8_unrolled_kernelILi1ELi32ELi1E21rocsparse_complex_numIfEEEv20rocsparse_direction_iiPKiS5_PT2_S5_PiS5_S8_21rocsparse_index_base_
; %bb.0:
	s_load_b256 s[4:11], s[0:1], 0x28
	s_bfe_u32 s2, ttmp6, 0x4000c
	s_and_b32 s3, ttmp6, 15
	s_add_co_i32 s2, s2, 1
	s_getreg_b32 s12, hwreg(HW_REG_IB_STS2, 6, 4)
	s_mul_i32 s2, ttmp9, s2
	s_delay_alu instid0(SALU_CYCLE_1)
	s_add_co_i32 s3, s3, s2
	s_cmp_eq_u32 s12, 0
	s_cselect_b32 s2, ttmp9, s3
	s_wait_kmcnt 0x0
	s_load_b32 s8, s[8:9], s2 offset:0x0 scale_offset
	s_wait_kmcnt 0x0
	s_ashr_i32 s9, s8, 31
	s_delay_alu instid0(SALU_CYCLE_1) | instskip(NEXT) | instid1(SALU_CYCLE_1)
	s_lshl_b64 s[2:3], s[8:9], 2
	s_add_nc_u64 s[12:13], s[4:5], s[2:3]
	s_load_b32 s16, s[12:13], 0x0
	s_load_b32 s9, s[0:1], 0x48
	s_wait_xcnt 0x0
	s_mov_b32 s12, 0
	s_wait_kmcnt 0x0
	s_cmp_lg_u32 s16, -1
	s_cbranch_scc0 .LBB40_15
; %bb.1:
	s_load_b128 s[12:15], s[0:1], 0x10
	s_wait_kmcnt 0x0
	s_add_nc_u64 s[18:19], s[12:13], s[2:3]
	s_load_b32 s20, s[18:19], 0x0
	s_wait_kmcnt 0x0
	s_sub_co_i32 s17, s20, s9
	s_delay_alu instid0(SALU_CYCLE_1)
	s_cmp_gt_i32 s17, s16
	s_cbranch_scc1 .LBB40_13
; %bb.2:
	s_add_co_i32 s18, s16, s9
	s_mov_b32 s19, -1
	s_sub_co_i32 s21, s18, s20
	s_mov_b32 s18, s17
	s_add_co_i32 s21, s21, 1
	s_delay_alu instid0(SALU_CYCLE_1)
	s_cmp_lt_u32 s21, 2
	s_cbranch_scc1 .LBB40_10
; %bb.3:
	s_add_co_i32 s18, s21, -2
	s_mov_b32 s22, 0
	s_lshr_b32 s23, s18, 1
	s_delay_alu instid0(SALU_CYCLE_1)
	s_add_co_i32 s23, s23, 1
	s_cmp_lt_u32 s18, 14
	s_cbranch_scc1 .LBB40_6
; %bb.4:
	s_and_b32 s24, s23, -8
	s_movk_i32 s25, 0x100
.LBB40_5:                               ; =>This Inner Loop Header: Depth=1
	s_add_co_i32 s18, s17, s22
	s_add_co_i32 s24, s24, -8
	s_ashr_i32 s19, s18, 31
	s_add_co_i32 s26, s18, 2
	s_add_co_i32 s28, s18, 4
	;; [unrolled: 1-line block ×7, first 2 shown]
	s_lshl_b64 s[18:19], s[18:19], 2
	s_ashr_i32 s27, s26, 31
	s_add_nc_u64 s[18:19], s[14:15], s[18:19]
	s_ashr_i32 s29, s28, 31
	s_load_b64 s[42:43], s[18:19], 0x0
	s_ashr_i32 s31, s30, 31
	s_ashr_i32 s35, s34, 31
	;; [unrolled: 1-line block ×5, first 2 shown]
	s_lshl_b64 s[26:27], s[26:27], 2
	s_lshl_b64 s[28:29], s[28:29], 2
	;; [unrolled: 1-line block ×7, first 2 shown]
	s_wait_xcnt 0x0
	s_add_nc_u64 s[18:19], s[14:15], s[26:27]
	s_add_nc_u64 s[26:27], s[14:15], s[28:29]
	;; [unrolled: 1-line block ×7, first 2 shown]
	s_clause 0x5
	s_load_b64 s[40:41], s[18:19], 0x0
	s_load_b64 s[44:45], s[26:27], 0x0
	;; [unrolled: 1-line block ×6, first 2 shown]
                                        ; kill: killed $sgpr26_sgpr27
                                        ; kill: killed $sgpr30_sgpr31
                                        ; kill: killed $sgpr36_sgpr37
                                        ; kill: killed $sgpr18_sgpr19
                                        ; kill: killed $sgpr28_sgpr29
                                        ; kill: killed $sgpr34_sgpr35
	s_wait_xcnt 0x0
	s_load_b64 s[18:19], s[38:39], 0x0
	s_wait_kmcnt 0x0
	s_sub_co_i32 s26, s42, s9
	s_sub_co_i32 s27, s43, s9
	v_dual_mov_b32 v0, s25 :: v_dual_mov_b32 v1, s26
	v_mov_b32_e32 v2, s27
	s_add_co_i32 s22, s22, 16
	s_add_co_i32 s25, s25, 64
	s_sub_co_i32 s26, s41, s9
	s_sub_co_i32 s27, s40, s9
	;; [unrolled: 1-line block ×6, first 2 shown]
	v_dual_mov_b32 v3, s27 :: v_dual_mov_b32 v4, s26
	v_mov_b32_e32 v5, s29
	s_sub_co_i32 s33, s49, s9
	s_sub_co_i32 s34, s48, s9
	;; [unrolled: 1-line block ×5, first 2 shown]
	s_wait_xcnt 0x0
	s_sub_co_i32 s38, s52, s9
	s_sub_co_i32 s19, s19, s9
	;; [unrolled: 1-line block ×3, first 2 shown]
	v_dual_mov_b32 v6, s28 :: v_dual_mov_b32 v7, s31
	s_cmp_lg_u32 s24, 0
	v_dual_mov_b32 v8, s30 :: v_dual_mov_b32 v9, s34
	v_dual_mov_b32 v10, s33 :: v_dual_mov_b32 v11, s36
	;; [unrolled: 1-line block ×4, first 2 shown]
	v_mov_b32_e32 v16, s19
	ds_store_2addr_b32 v0, v1, v2 offset1:1
	ds_store_2addr_b32 v0, v3, v4 offset0:2 offset1:3
	ds_store_2addr_b32 v0, v5, v6 offset0:4 offset1:5
	;; [unrolled: 1-line block ×7, first 2 shown]
	s_cbranch_scc1 .LBB40_5
.LBB40_6:
	s_and_b32 s23, s23, 7
	s_delay_alu instid0(SALU_CYCLE_1)
	s_cmp_eq_u32 s23, 0
	s_cbranch_scc1 .LBB40_9
; %bb.7:
	s_lshl_b32 s18, s22, 2
	s_add_co_i32 s19, s22, s20
	s_add_co_i32 s22, s18, 0x100
	s_sub_co_i32 s18, s19, s9
.LBB40_8:                               ; =>This Inner Loop Header: Depth=1
	s_delay_alu instid0(SALU_CYCLE_1)
	s_ashr_i32 s19, s18, 31
	s_add_co_i32 s23, s23, -1
	s_lshl_b64 s[24:25], s[18:19], 2
	s_add_co_i32 s18, s18, 2
	s_add_nc_u64 s[24:25], s[14:15], s[24:25]
	s_load_b64 s[26:27], s[24:25], 0x0
	s_wait_kmcnt 0x0
	s_sub_co_i32 s19, s26, s9
	s_sub_co_i32 s24, s27, s9
	v_dual_mov_b32 v0, s22 :: v_dual_mov_b32 v1, s19
	v_mov_b32_e32 v2, s24
	s_add_co_i32 s22, s22, 8
	s_cmp_lg_u32 s23, 0
	ds_store_2addr_b32 v0, v1, v2 offset1:1
	s_cbranch_scc1 .LBB40_8
.LBB40_9:
	s_and_b32 s19, s21, -2
	s_delay_alu instid0(SALU_CYCLE_1)
	s_add_co_i32 s18, s17, s19
	s_cmp_lg_u32 s21, s19
	s_cselect_b32 s19, -1, 0
.LBB40_10:
	s_delay_alu instid0(SALU_CYCLE_1)
	s_and_b32 vcc_lo, exec_lo, s19
	s_cbranch_vccz .LBB40_13
; %bb.11:
	s_add_co_i32 s19, s18, s9
	s_add_co_i32 s21, s18, -1
	s_sub_co_i32 s20, s19, s20
	s_ashr_i32 s19, s18, 31
	s_lshl_b32 s20, s20, 2
	s_lshl_b64 s[18:19], s[18:19], 2
	s_addk_co_i32 s20, 0x100
	s_add_nc_u64 s[18:19], s[14:15], s[18:19]
.LBB40_12:                              ; =>This Inner Loop Header: Depth=1
	s_load_b32 s22, s[18:19], 0x0
	s_add_co_i32 s21, s21, 1
	s_wait_xcnt 0x0
	s_add_nc_u64 s[18:19], s[18:19], 4
	s_wait_kmcnt 0x0
	s_sub_co_i32 s22, s22, s9
	s_delay_alu instid0(SALU_CYCLE_1)
	v_dual_mov_b32 v0, s20 :: v_dual_mov_b32 v1, s22
	s_add_co_i32 s20, s20, 4
	s_cmp_ge_i32 s21, s16
	ds_store_b32 v0, v1
	s_cbranch_scc0 .LBB40_12
.LBB40_13:
	s_load_b64 s[0:1], s[0:1], 0x20
	v_mov_b64_e32 v[0:1], 0
	v_mov_b32_e32 v2, 0
	s_cmp_lt_i32 s17, s16
	ds_store_b64 v2, v[0:1] offset:432
	s_wait_dscnt 0x0
	s_cbranch_scc1 .LBB40_16
; %bb.14:
	s_mov_b32 s26, 0
	s_cbranch_execz .LBB40_17
	s_branch .LBB40_48
.LBB40_15:
	s_cbranch_execnz .LBB40_63
	s_branch .LBB40_64
.LBB40_16:
                                        ; implicit-def: $sgpr26
.LBB40_17:
	v_dual_mov_b32 v2, 0 :: v_dual_mov_b32 v3, 0x1a0
	v_mov_b32_e32 v4, 0x190
	v_mov_b32_e32 v5, 0x180
	;; [unrolled: 1-line block ×3, first 2 shown]
	s_mov_b32 s26, 0
	s_mov_b32 s18, s17
	s_branch .LBB40_21
.LBB40_18:                              ;   in Loop: Header=BB40_21 Depth=1
	s_mov_b32 s24, 0
	s_mov_b32 s22, 1.0
.LBB40_19:                              ;   in Loop: Header=BB40_21 Depth=1
	s_mul_f32 s19, s24, s24
	ds_load_b64 v[8:9], v4
	s_add_co_i32 s18, s18, 1
	s_wait_dscnt 0x1
	v_mov_b32_e32 v11, v0
	s_fmac_f32 s19, s22, s22
	s_cmp_ge_i32 s18, s16
	s_wait_xcnt 0x0
	s_delay_alu instid0(SALU_CYCLE_1) | instskip(SKIP_1) | instid1(VALU_DEP_2)
	v_div_scale_f32 v7, null, s19, s19, 1.0
	v_div_scale_f32 v13, vcc_lo, 1.0, s19, 1.0
	v_rcp_f32_e32 v12, v7
	v_nop
	v_xor_b32_e32 v7, 0x80000000, v7
	s_delay_alu instid0(TRANS32_DEP_1) | instid1(VALU_DEP_1)
	v_fma_f32 v10, v7, v12, 1.0
	s_delay_alu instid0(VALU_DEP_1) | instskip(NEXT) | instid1(VALU_DEP_1)
	v_fmac_f32_e32 v12, v10, v12
	v_mul_f32_e32 v14, v13, v12
	s_delay_alu instid0(VALU_DEP_1) | instskip(NEXT) | instid1(VALU_DEP_1)
	v_dual_fma_f32 v15, v7, v14, v13 :: v_dual_mov_b32 v10, v1
	v_fmac_f32_e32 v14, v15, v12
	s_wait_dscnt 0x0
	s_delay_alu instid0(VALU_DEP_2) | instskip(NEXT) | instid1(VALU_DEP_2)
	v_pk_add_f32 v[0:1], v[10:11], v[8:9] op_sel:[0,1] op_sel_hi:[1,0] neg_lo:[0,1] neg_hi:[0,1]
	v_fmac_f32_e32 v13, v7, v14
	s_delay_alu instid0(VALU_DEP_2) | instskip(SKIP_1) | instid1(VALU_DEP_2)
	v_pk_mul_f32 v[8:9], s[24:25], v[0:1] op_sel:[0,1] op_sel_hi:[0,0] neg_lo:[0,1]
	s_cselect_b32 s24, -1, 0
	v_div_fmas_f32 v7, v13, v12, v14
	s_delay_alu instid0(VALU_DEP_2) | instskip(NEXT) | instid1(VALU_DEP_2)
	v_pk_fma_f32 v[0:1], v[0:1], s[22:23], v[8:9] op_sel_hi:[1,0,1]
	v_div_fixup_f32 v8, v7, s19, 1.0
	s_delay_alu instid0(VALU_DEP_1) | instskip(NEXT) | instid1(VALU_DEP_1)
	v_pk_mul_f32 v[0:1], v[8:9], v[0:1] op_sel_hi:[0,1]
	v_dual_mov_b32 v8, v1 :: v_dual_mov_b32 v9, v0
	ds_store_b64 v3, v[8:9]
	s_wait_storecnt_dscnt 0x0
	ds_load_b64 v[8:9], v3
	ds_load_b64 v[10:11], v6
	s_wait_dscnt 0x0
	v_pk_fma_f32 v[10:11], v[0:1], v[8:9], v[10:11] op_sel:[1,0,0] op_sel_hi:[0,0,1]
	s_delay_alu instid0(VALU_DEP_1)
	v_pk_fma_f32 v[0:1], v[0:1], v[8:9], v[10:11] op_sel:[0,1,0] neg_hi:[0,1,0]
	ds_store_b64 v6, v[0:1]
	s_wait_dscnt 0x0
	ds_load_b64 v[0:1], v3
	s_wait_dscnt 0x0
	global_store_b64 v2, v[0:1], s[20:21]
	global_wb scope:SCOPE_DEV
	s_wait_storecnt 0x0
	global_inv scope:SCOPE_DEV
.LBB40_20:                              ;   in Loop: Header=BB40_21 Depth=1
	s_and_b32 vcc_lo, exec_lo, s24
	s_cbranch_vccnz .LBB40_48
.LBB40_21:                              ; =>This Loop Header: Depth=1
                                        ;     Child Loop BB40_24 Depth 2
                                        ;     Child Loop BB40_35 Depth 2
	;; [unrolled: 1-line block ×4, first 2 shown]
	s_ashr_i32 s19, s18, 31
	s_wait_xcnt 0x0
	s_lshl_b64 s[20:21], s[18:19], 2
	s_delay_alu instid0(SALU_CYCLE_1) | instskip(SKIP_4) | instid1(SALU_CYCLE_1)
	s_add_nc_u64 s[20:21], s[14:15], s[20:21]
	s_load_b32 s27, s[20:21], 0x0
	s_wait_kmcnt 0x0
	s_wait_xcnt 0x0
	s_sub_co_i32 s20, s27, s9
	s_ashr_i32 s21, s20, 31
	s_delay_alu instid0(SALU_CYCLE_1) | instskip(NEXT) | instid1(SALU_CYCLE_1)
	s_lshl_b64 s[22:23], s[20:21], 2
	s_add_nc_u64 s[24:25], s[4:5], s[22:23]
	s_load_b32 s28, s[24:25], 0x0
	s_wait_xcnt 0x0
	s_mov_b32 s24, -1
	s_wait_kmcnt 0x0
	s_cmp_eq_u32 s28, -1
	s_cbranch_scc1 .LBB40_20
; %bb.22:                               ;   in Loop: Header=BB40_21 Depth=1
	v_mov_b32_e32 v0, s18
	s_add_nc_u64 s[24:25], s[12:13], s[22:23]
	ds_load_b32 v7, v2 offset:256
	s_load_b32 s21, s[24:25], 0x0
	s_wait_xcnt 0x0
	s_mov_b32 s25, 0
	global_load_b64 v[0:1], v0, s[0:1] scale_offset
	s_wait_dscnt 0x0
	v_cmp_ge_i32_e32 vcc_lo, s20, v7
	s_wait_kmcnt 0x0
	s_sub_co_i32 s24, s21, s9
	s_delay_alu instid0(SALU_CYCLE_1) | instskip(SKIP_1) | instid1(SALU_CYCLE_1)
	s_cmp_le_i32 s24, s28
	s_cselect_b32 s21, -1, 0
	s_and_b32 s21, s21, vcc_lo
	s_delay_alu instid0(SALU_CYCLE_1)
	s_and_not1_b32 vcc_lo, exec_lo, s21
	s_wait_loadcnt 0x0
	ds_store_b64 v3, v[0:1]
	s_cbranch_vccnz .LBB40_34
; %bb.23:                               ;   in Loop: Header=BB40_21 Depth=1
	s_mov_b32 s21, 0
	s_mov_b32 s29, 0
.LBB40_24:                              ;   Parent Loop BB40_21 Depth=1
                                        ; =>  This Inner Loop Header: Depth=2
	s_ashr_i32 s25, s24, 31
	s_lshl_b32 s33, s29, 2
	s_lshl_b64 s[30:31], s[24:25], 2
	s_wait_xcnt 0x0
	v_mov_b32_e32 v0, s33
	s_add_nc_u64 s[30:31], s[14:15], s[30:31]
	s_mov_b32 s34, -1
	s_load_b32 s25, s[30:31], 0x0
                                        ; implicit-def: $sgpr33
                                        ; implicit-def: $sgpr31
	ds_load_b32 v0, v0 offset:256
	s_wait_kmcnt 0x0
	s_sub_co_i32 s35, s25, s9
                                        ; implicit-def: $sgpr25
	s_wait_dscnt 0x0
	s_wait_xcnt 0x0
	v_readfirstlane_b32 s30, v0
	v_cmp_ge_i32_e32 vcc_lo, s35, v0
	s_cbranch_vccz .LBB40_30
; %bb.25:                               ;   in Loop: Header=BB40_24 Depth=2
	s_cmp_le_i32 s35, s30
                                        ; implicit-def: $sgpr25
                                        ; implicit-def: $sgpr33
                                        ; implicit-def: $sgpr31
	s_cbranch_scc0 .LBB40_27
; %bb.26:                               ;   in Loop: Header=BB40_24 Depth=2
	s_lshl_b32 s25, s21, 2
	s_add_co_i32 s31, s29, s17
	s_delay_alu instid0(SALU_CYCLE_1)
	v_dual_mov_b32 v0, s25 :: v_dual_mov_b32 v1, s31
	v_mov_b32_e32 v7, s24
	s_add_co_i32 s31, s29, 1
	s_add_co_i32 s33, s24, 1
	;; [unrolled: 1-line block ×3, first 2 shown]
	s_mov_b32 s34, 0
	ds_store_2addr_b32 v0, v7, v1 offset1:32
.LBB40_27:                              ;   in Loop: Header=BB40_24 Depth=2
	s_and_not1_b32 vcc_lo, exec_lo, s34
	s_cbranch_vccnz .LBB40_29
; %bb.28:                               ;   in Loop: Header=BB40_24 Depth=2
	s_add_co_i32 s31, s29, 1
	s_mov_b32 s25, s21
	s_mov_b32 s33, s24
.LBB40_29:                              ;   in Loop: Header=BB40_24 Depth=2
	s_mov_b32 s34, 0
.LBB40_30:                              ;   in Loop: Header=BB40_24 Depth=2
	s_delay_alu instid0(SALU_CYCLE_1)
	s_and_not1_b32 vcc_lo, exec_lo, s34
	s_cbranch_vccnz .LBB40_32
; %bb.31:                               ;   in Loop: Header=BB40_24 Depth=2
	s_add_co_i32 s33, s24, 1
	s_mov_b32 s31, s29
	s_mov_b32 s25, s21
.LBB40_32:                              ;   in Loop: Header=BB40_24 Depth=2
	s_cmp_le_i32 s33, s28
	s_cselect_b32 s21, -1, 0
	s_cmp_le_i32 s30, s20
	s_cselect_b32 s24, -1, 0
	s_delay_alu instid0(SALU_CYCLE_1) | instskip(NEXT) | instid1(SALU_CYCLE_1)
	s_and_b32 s21, s21, s24
	s_and_b32 vcc_lo, exec_lo, s21
	s_cbranch_vccz .LBB40_34
; %bb.33:                               ;   in Loop: Header=BB40_24 Depth=2
	s_mov_b32 s21, s25
	s_mov_b32 s24, s33
	;; [unrolled: 1-line block ×3, first 2 shown]
	s_branch .LBB40_24
.LBB40_34:                              ;   in Loop: Header=BB40_21 Depth=1
	s_lshl_b64 s[20:21], s[18:19], 3
	s_add_nc_u64 s[22:23], s[6:7], s[22:23]
	s_add_nc_u64 s[20:21], s[0:1], s[20:21]
	s_wait_dscnt 0x0
.LBB40_35:                              ;   Parent Loop BB40_21 Depth=1
                                        ; =>  This Inner Loop Header: Depth=2
	global_load_b32 v0, v2, s[22:23] scope:SCOPE_DEV
	s_wait_loadcnt 0x0
	v_cmp_eq_u32_e32 vcc_lo, 0, v0
	s_cbranch_vccnz .LBB40_35
; %bb.36:                               ;   in Loop: Header=BB40_21 Depth=1
	v_mov_b32_e32 v0, s28
	global_inv scope:SCOPE_DEV
	s_cmp_lt_i32 s25, 2
	global_load_b64 v[0:1], v0, s[0:1] scale_offset
	s_wait_loadcnt 0x0
	ds_store_b64 v5, v[0:1]
	s_wait_dscnt 0x0
	s_cbranch_scc1 .LBB40_41
; %bb.37:                               ;   in Loop: Header=BB40_21 Depth=1
	s_wait_xcnt 0x1
	s_add_co_i32 s22, s25, -2
	s_add_co_i32 s19, s25, -1
	s_cmp_lt_u32 s22, 7
	s_cbranch_scc1 .LBB40_42
; %bb.38:                               ;   in Loop: Header=BB40_21 Depth=1
	s_wait_xcnt 0x0
	v_dual_mov_b32 v1, 0 :: v_dual_mov_b32 v0, 0
	s_and_b32 s22, s19, -8
	s_mov_b32 s23, 0
	s_mov_b32 s24, 0
.LBB40_39:                              ;   Parent Loop BB40_21 Depth=1
                                        ; =>  This Inner Loop Header: Depth=2
	v_mov_b32_e32 v7, s23
	s_add_co_i32 s24, s24, 8
	s_add_co_i32 s23, s23, 32
	s_cmp_eq_u32 s22, s24
	ds_load_b128 v[8:11], v7
	ds_load_b128 v[12:15], v7 offset:128
	ds_load_b128 v[16:19], v7 offset:16
	;; [unrolled: 1-line block ×3, first 2 shown]
	s_wait_dscnt 0x3
	global_load_b64 v[24:25], v8, s[0:1] scale_offset
	s_wait_dscnt 0x2
	s_clause 0x6
	global_load_b64 v[26:27], v12, s[0:1] scale_offset
	global_load_b64 v[28:29], v13, s[0:1] scale_offset
	;; [unrolled: 1-line block ×7, first 2 shown]
	s_wait_dscnt 0x1
	global_load_b64 v[40:41], v16, s[0:1] scale_offset
	s_wait_dscnt 0x0
	s_clause 0x6
	global_load_b64 v[42:43], v20, s[0:1] scale_offset
	global_load_b64 v[44:45], v21, s[0:1] scale_offset
	;; [unrolled: 1-line block ×6, first 2 shown]
	; meta instruction
	; meta instruction
	;; [unrolled: 1-line block ×4, first 2 shown]
	global_load_b64 v[8:9], v19, s[0:1] scale_offset
	s_wait_loadcnt 0xe
	v_pk_fma_f32 v[0:1], v[24:25], v[26:27], v[0:1] op_sel_hi:[1,0,1]
	s_delay_alu instid0(VALU_DEP_1) | instskip(SKIP_1) | instid1(VALU_DEP_1)
	v_pk_fma_f32 v[0:1], v[24:25], v[26:27], v[0:1] op_sel:[1,1,0] op_sel_hi:[0,1,1] neg_hi:[0,1,0]
	s_wait_loadcnt 0xc
	v_pk_fma_f32 v[0:1], v[30:31], v[28:29], v[0:1] op_sel_hi:[1,0,1]
	s_delay_alu instid0(VALU_DEP_1) | instskip(SKIP_1) | instid1(VALU_DEP_1)
	v_pk_fma_f32 v[0:1], v[30:31], v[28:29], v[0:1] op_sel:[1,1,0] op_sel_hi:[0,1,1] neg_hi:[0,1,0]
	;; [unrolled: 4-line block ×7, first 2 shown]
	s_wait_loadcnt 0x0
	v_pk_fma_f32 v[0:1], v[8:9], v[52:53], v[0:1] op_sel_hi:[1,0,1]
	s_delay_alu instid0(VALU_DEP_1)
	v_pk_fma_f32 v[0:1], v[8:9], v[52:53], v[0:1] op_sel:[1,1,0] op_sel_hi:[0,1,1] neg_hi:[0,1,0]
	s_cbranch_scc0 .LBB40_39
; %bb.40:                               ;   in Loop: Header=BB40_21 Depth=1
	s_and_b32 s19, s19, 7
	s_delay_alu instid0(SALU_CYCLE_1)
	s_cmp_eq_u32 s19, 0
	s_cbranch_scc0 .LBB40_43
	s_branch .LBB40_45
.LBB40_41:                              ;   in Loop: Header=BB40_21 Depth=1
	s_wait_xcnt 0x0
	v_dual_mov_b32 v1, 0 :: v_dual_mov_b32 v0, 0
	s_branch .LBB40_45
.LBB40_42:                              ;   in Loop: Header=BB40_21 Depth=1
	s_wait_xcnt 0x0
	v_mov_b64_e32 v[0:1], 0
	s_mov_b32 s22, 0
	s_and_b32 s19, s19, 7
	s_delay_alu instid0(SALU_CYCLE_1)
	s_cmp_eq_u32 s19, 0
	s_cbranch_scc1 .LBB40_45
.LBB40_43:                              ;   in Loop: Header=BB40_21 Depth=1
	s_lshl_b32 s22, s22, 2
.LBB40_44:                              ;   Parent Loop BB40_21 Depth=1
                                        ; =>  This Inner Loop Header: Depth=2
	s_delay_alu instid0(SALU_CYCLE_1)
	v_mov_b32_e32 v7, s22
	s_add_co_i32 s19, s19, -1
	s_add_co_i32 s22, s22, 4
	s_cmp_lg_u32 s19, 0
	ds_load_2addr_b32 v[8:9], v7 offset1:32
	s_wait_dscnt 0x0
	s_clause 0x1
	global_load_b64 v[10:11], v9, s[0:1] scale_offset
	global_load_b64 v[12:13], v8, s[0:1] scale_offset
	s_wait_loadcnt 0x0
	v_pk_fma_f32 v[0:1], v[12:13], v[10:11], v[0:1] op_sel_hi:[1,0,1]
	s_delay_alu instid0(VALU_DEP_1)
	v_pk_fma_f32 v[0:1], v[12:13], v[10:11], v[0:1] op_sel:[1,1,0] op_sel_hi:[0,1,1] neg_hi:[0,1,0]
	s_cbranch_scc1 .LBB40_44
.LBB40_45:                              ;   in Loop: Header=BB40_21 Depth=1
	ds_store_b64 v4, v[0:1]
	s_wait_dscnt 0x0
	ds_load_b64 v[0:1], v2 offset:384
	s_wait_dscnt 0x0
	v_readfirstlane_b32 s19, v0
	v_readfirstlane_b32 s23, v1
	ds_load_b64 v[0:1], v3
	s_cmp_neq_f32 s19, 0
	s_cselect_b32 s22, -1, 0
	s_cmp_neq_f32 s23, 0
	s_cselect_b32 s24, -1, 0
	s_delay_alu instid0(SALU_CYCLE_1) | instskip(NEXT) | instid1(SALU_CYCLE_1)
	s_or_b32 s22, s22, s24
	v_cndmask_b32_e64 v7, 0, 1, s22
	s_and_b32 s22, s22, exec_lo
	s_cselect_b32 s22, s19, 1.0
	s_cselect_b32 s24, s23, 0
	s_delay_alu instid0(VALU_DEP_1)
	v_cmp_ne_u32_e32 vcc_lo, 1, v7
	s_cbranch_vccz .LBB40_19
; %bb.46:                               ;   in Loop: Header=BB40_21 Depth=1
	v_mbcnt_lo_u32_b32 v7, exec_lo, 0
	s_delay_alu instid0(VALU_DEP_1)
	v_cmp_ne_u32_e32 vcc_lo, 0, v7
	s_and_b32 s19, vcc_lo, exec_lo
	s_cbranch_scc1 .LBB40_18
; %bb.47:                               ;   in Loop: Header=BB40_21 Depth=1
	v_mov_b32_e32 v7, s27
	global_atomic_min_i32 v2, v7, s[10:11] scope:SCOPE_DEV
	s_branch .LBB40_18
.LBB40_48:
	s_wait_xcnt 0x0
	v_mov_b32_e32 v0, s16
	s_ashr_i32 s17, s16, 31
	s_mov_b32 vcc_lo, 0
	s_wait_kmcnt 0x0
	global_load_b64 v[2:3], v0, s[0:1] scale_offset
	s_wait_xcnt 0x0
	v_mov_b32_e32 v0, 0
	s_wait_loadcnt 0x0
	ds_store_b64 v0, v[2:3] offset:416
	s_wait_dscnt 0x0
	s_cbranch_vccnz .LBB40_56
; %bb.49:
	ds_load_2addr_b64 v[2:5], v0 offset0:52 offset1:54
	s_wait_dscnt 0x0
	v_readfirstlane_b32 s4, v4
	v_readfirstlane_b32 s5, v2
	;; [unrolled: 1-line block ×3, first 2 shown]
	s_sub_f32 s4, s5, s4
	v_readfirstlane_b32 s5, v5
	s_delay_alu instid0(SALU_CYCLE_2) | instskip(SKIP_3) | instid1(SALU_CYCLE_2)
	s_xor_b32 s13, s4, 0x80000000
	s_cmp_lt_f32 s4, 0
	s_sub_f32 s12, s12, s5
	s_cselect_b32 s4, s13, s4
	s_xor_b32 s5, s12, 0x80000000
	s_cmp_lt_f32 s12, 0
	s_cselect_b32 s5, s5, s12
	s_delay_alu instid0(SALU_CYCLE_1)
	s_cmp_ngt_f32 s4, s5
	s_cbranch_scc0 .LBB40_52
; %bb.50:
	s_cmp_eq_f32 s12, 0
	s_mov_b32 s12, 0
	s_mov_b32 s13, 0
	s_cbranch_scc1 .LBB40_53
; %bb.51:
	v_div_scale_f32 v1, null, s5, s5, s4
	v_div_scale_f32 v4, vcc_lo, s4, s5, s4
	s_delay_alu instid0(VALU_DEP_2)
	v_rcp_f32_e32 v2, v1
	v_nop
	v_xor_b32_e32 v1, 0x80000000, v1
	s_delay_alu instid0(TRANS32_DEP_1) | instid1(VALU_DEP_1)
	v_fma_f32 v3, v1, v2, 1.0
	s_delay_alu instid0(VALU_DEP_1) | instskip(NEXT) | instid1(VALU_DEP_1)
	v_fmac_f32_e32 v2, v3, v2
	v_mul_f32_e32 v3, v4, v2
	s_delay_alu instid0(VALU_DEP_1) | instskip(NEXT) | instid1(VALU_DEP_1)
	v_fma_f32 v5, v1, v3, v4
	v_fmac_f32_e32 v3, v5, v2
	s_delay_alu instid0(VALU_DEP_1) | instskip(NEXT) | instid1(VALU_DEP_1)
	v_fmac_f32_e32 v4, v1, v3
	v_div_fmas_f32 v1, v4, v2, v3
	s_delay_alu instid0(VALU_DEP_1) | instskip(NEXT) | instid1(VALU_DEP_1)
	v_div_fixup_f32 v1, v1, s5, s4
	v_readfirstlane_b32 s13, v1
	s_fmaak_f32 s13, s13, s13, 0x3f800000
	s_delay_alu instid0(SALU_CYCLE_3) | instskip(SKIP_1) | instid1(SALU_CYCLE_2)
	s_mul_f32 s14, s13, 0x4f800000
	s_cmp_lt_f32 s13, 0xf800000
	s_cselect_b32 s14, s14, s13
	s_delay_alu instid0(SALU_CYCLE_1) | instskip(SKIP_1) | instid1(TRANS32_DEP_1)
	v_s_sqrt_f32 s15, s14
	s_mov_b32 s19, s14
	s_add_co_i32 s18, s15, -1
	s_delay_alu instid0(SALU_CYCLE_1) | instskip(NEXT) | instid1(SALU_CYCLE_1)
	s_xor_b32 s20, s18, 0x80000000
	s_fmac_f32 s19, s20, s15
	s_mov_b32 s20, s14
	s_delay_alu instid0(SALU_CYCLE_2) | instskip(SKIP_2) | instid1(SALU_CYCLE_1)
	s_cmp_le_f32 s19, 0
	s_cselect_b32 s18, s18, s15
	s_add_co_i32 s19, s15, 1
	s_xor_b32 s21, s19, 0x80000000
	s_delay_alu instid0(SALU_CYCLE_1) | instskip(NEXT) | instid1(SALU_CYCLE_3)
	s_fmac_f32 s20, s21, s15
	s_cmp_gt_f32 s20, 0
	s_cselect_b32 s15, s19, s18
	s_cmp_lt_f32 s13, 0xf800000
	s_mul_f32 s13, s15, 0x37800000
	v_cmp_class_f32_e64 s18, s14, 0x260
	s_delay_alu instid0(SALU_CYCLE_2) | instskip(SKIP_2) | instid1(SALU_CYCLE_1)
	s_cselect_b32 s13, s13, s15
	s_and_b32 s15, s18, exec_lo
	s_cselect_b32 s13, s14, s13
	s_mul_f32 s13, s5, s13
	s_branch .LBB40_53
.LBB40_52:
	s_mov_b32 s12, -1
                                        ; implicit-def: $sgpr13
.LBB40_53:
	s_delay_alu instid0(SALU_CYCLE_1)
	s_and_not1_b32 vcc_lo, exec_lo, s12
	s_cbranch_vccnz .LBB40_55
; %bb.54:
	v_div_scale_f32 v1, null, s4, s4, s5
	v_div_scale_f32 v4, vcc_lo, s5, s4, s5
	s_delay_alu instid0(VALU_DEP_2)
	v_rcp_f32_e32 v2, v1
	v_nop
	v_xor_b32_e32 v1, 0x80000000, v1
	s_delay_alu instid0(TRANS32_DEP_1) | instid1(VALU_DEP_1)
	v_fma_f32 v3, v1, v2, 1.0
	s_delay_alu instid0(VALU_DEP_1) | instskip(NEXT) | instid1(VALU_DEP_1)
	v_fmac_f32_e32 v2, v3, v2
	v_mul_f32_e32 v3, v4, v2
	s_delay_alu instid0(VALU_DEP_1) | instskip(NEXT) | instid1(VALU_DEP_1)
	v_fma_f32 v5, v1, v3, v4
	v_fmac_f32_e32 v3, v5, v2
	s_delay_alu instid0(VALU_DEP_1) | instskip(NEXT) | instid1(VALU_DEP_1)
	v_fmac_f32_e32 v4, v1, v3
	v_div_fmas_f32 v1, v4, v2, v3
	s_delay_alu instid0(VALU_DEP_1) | instskip(NEXT) | instid1(VALU_DEP_1)
	v_div_fixup_f32 v1, v1, s4, s5
	v_readfirstlane_b32 s5, v1
	s_fmaak_f32 s5, s5, s5, 0x3f800000
	s_delay_alu instid0(SALU_CYCLE_3) | instskip(SKIP_1) | instid1(SALU_CYCLE_2)
	s_mul_f32 s12, s5, 0x4f800000
	s_cmp_lt_f32 s5, 0xf800000
	s_cselect_b32 s12, s12, s5
	s_delay_alu instid0(SALU_CYCLE_1) | instskip(SKIP_1) | instid1(TRANS32_DEP_1)
	v_s_sqrt_f32 s13, s12
	s_mov_b32 s15, s12
	s_add_co_i32 s14, s13, -1
	s_delay_alu instid0(SALU_CYCLE_1) | instskip(NEXT) | instid1(SALU_CYCLE_1)
	s_xor_b32 s18, s14, 0x80000000
	s_fmac_f32 s15, s18, s13
	s_mov_b32 s18, s12
	s_delay_alu instid0(SALU_CYCLE_2) | instskip(SKIP_2) | instid1(SALU_CYCLE_1)
	s_cmp_le_f32 s15, 0
	s_cselect_b32 s14, s14, s13
	s_add_co_i32 s15, s13, 1
	s_xor_b32 s19, s15, 0x80000000
	s_delay_alu instid0(SALU_CYCLE_1) | instskip(NEXT) | instid1(SALU_CYCLE_3)
	s_fmac_f32 s18, s19, s13
	s_cmp_gt_f32 s18, 0
	s_cselect_b32 s13, s15, s14
	s_cmp_lt_f32 s5, 0xf800000
	s_mul_f32 s5, s13, 0x37800000
	v_cmp_class_f32_e64 s14, s12, 0x260
	s_delay_alu instid0(SALU_CYCLE_2) | instskip(SKIP_2) | instid1(SALU_CYCLE_1)
	s_cselect_b32 s5, s5, s13
	s_and_b32 s13, s14, exec_lo
	s_cselect_b32 s5, s12, s5
	s_mul_f32 s13, s4, s5
.LBB40_55:
	s_delay_alu instid0(SALU_CYCLE_3) | instskip(SKIP_2) | instid1(SALU_CYCLE_1)
	s_mul_f32 s4, s13, 0x4f800000
	s_cmp_lt_f32 s13, 0xf800000
	v_mov_b32_e32 v3, 0
	s_cselect_b32 s4, s4, s13
	s_delay_alu instid0(SALU_CYCLE_1) | instskip(SKIP_1) | instid1(TRANS32_DEP_1)
	v_s_sqrt_f32 s5, s4
	s_mov_b32 s14, s4
	s_add_co_i32 s12, s5, -1
	s_delay_alu instid0(SALU_CYCLE_1) | instskip(NEXT) | instid1(SALU_CYCLE_1)
	s_xor_b32 s15, s12, 0x80000000
	s_fmac_f32 s14, s15, s5
	s_mov_b32 s15, s4
	s_delay_alu instid0(SALU_CYCLE_2) | instskip(SKIP_2) | instid1(SALU_CYCLE_1)
	s_cmp_le_f32 s14, 0
	s_cselect_b32 s12, s12, s5
	s_add_co_i32 s14, s5, 1
	s_xor_b32 s18, s14, 0x80000000
	s_delay_alu instid0(SALU_CYCLE_1) | instskip(SKIP_1) | instid1(SALU_CYCLE_2)
	s_fmac_f32 s15, s18, s5
	v_cmp_class_f32_e64 s5, s4, 0x260
	s_cmp_gt_f32 s15, 0
	s_cselect_b32 s12, s14, s12
	s_cmp_lt_f32 s13, 0xf800000
	s_mul_f32 s13, s12, 0x37800000
	s_delay_alu instid0(SALU_CYCLE_3) | instskip(SKIP_2) | instid1(SALU_CYCLE_1)
	s_cselect_b32 s12, s13, s12
	s_and_b32 s5, s5, exec_lo
	s_cselect_b32 s4, s4, s12
	v_mov_b32_e32 v2, s4
	ds_store_b64 v3, v[2:3] offset:416
.LBB40_56:
	s_wait_dscnt 0x0
	ds_load_b64 v[0:1], v0 offset:416
	s_lshl_b64 s[14:15], s[16:17], 3
	s_cmp_lg_u32 s26, 0
	s_cselect_b32 s5, -1, 0
	s_wait_dscnt 0x0
	v_readfirstlane_b32 s4, v0
	v_readfirstlane_b32 s13, v1
	s_cmp_neq_f32 s4, 0
	s_cselect_b32 s12, -1, 0
	s_cmp_neq_f32 s13, 0
	s_cselect_b32 s16, -1, 0
	s_delay_alu instid0(SALU_CYCLE_1) | instskip(NEXT) | instid1(SALU_CYCLE_1)
	s_or_b32 s12, s12, s16
	s_or_b32 s5, s12, s5
	s_and_b32 s12, s12, exec_lo
	s_cselect_b32 s12, s4, 1.0
	s_cselect_b32 s4, s13, 0
	s_and_b32 vcc_lo, exec_lo, s5
	s_cbranch_vccnz .LBB40_60
; %bb.57:
	v_mbcnt_lo_u32_b32 v0, exec_lo, 0
	s_mov_b32 s4, 0
	s_delay_alu instid0(VALU_DEP_1)
	v_cmp_ne_u32_e32 vcc_lo, 0, v0
	s_and_b32 s5, vcc_lo, exec_lo
	s_cbranch_scc1 .LBB40_59
; %bb.58:
	s_add_co_i32 s5, s8, s9
	s_delay_alu instid0(SALU_CYCLE_1)
	v_dual_mov_b32 v0, 0 :: v_dual_mov_b32 v1, s5
	global_atomic_min_i32 v0, v1, s[10:11] scope:SCOPE_DEV
.LBB40_59:
	s_mov_b32 s12, 1.0
.LBB40_60:
	s_add_nc_u64 s[0:1], s[0:1], s[14:15]
	s_mov_b32 vcc_lo, exec_lo
	s_cbranch_vccnz .LBB40_62
; %bb.61:
	s_mul_f32 s5, s4, s4
	s_delay_alu instid0(SALU_CYCLE_3) | instskip(SKIP_1) | instid1(SALU_CYCLE_2)
	s_fmac_f32 s5, s12, s12
	s_wait_xcnt 0x0
	v_div_scale_f32 v0, null, s5, s5, 1.0
	v_div_scale_f32 v9, vcc_lo, 1.0, s5, 1.0
	s_delay_alu instid0(VALU_DEP_2)
	v_rcp_f32_e32 v4, v0
	v_xor_b32_e32 v5, 0x80000000, v0
	s_delay_alu instid0(TRANS32_DEP_1) | instid1(VALU_DEP_1)
	v_fma_f32 v8, v5, v4, 1.0
	s_delay_alu instid0(VALU_DEP_1) | instskip(NEXT) | instid1(VALU_DEP_1)
	v_dual_mov_b32 v7, 0x1b0 :: v_dual_fmac_f32 v4, v8, v4
	v_mul_f32_e32 v8, v9, v4
	s_delay_alu instid0(VALU_DEP_1) | instskip(NEXT) | instid1(VALU_DEP_1)
	v_fma_f32 v10, v5, v8, v9
	v_fmac_f32_e32 v8, v10, v4
	s_delay_alu instid0(VALU_DEP_1)
	v_dual_mov_b32 v6, 0x1a0 :: v_dual_fmac_f32 v9, v5, v8
	ds_load_b64 v[0:1], v6
	ds_load_b64 v[2:3], v7
	v_div_fmas_f32 v4, v9, v4, v8
	s_wait_dscnt 0x0
	v_pk_add_f32 v[0:1], v[0:1], v[2:3] op_sel:[1,1] op_sel_hi:[0,0] neg_lo:[0,1] neg_hi:[0,1]
	s_delay_alu instid0(VALU_DEP_1) | instskip(NEXT) | instid1(VALU_DEP_1)
	v_pk_mul_f32 v[2:3], s[4:5], v[0:1] op_sel:[0,1] op_sel_hi:[0,0] neg_lo:[0,1]
	v_pk_fma_f32 v[0:1], v[0:1], s[12:13], v[2:3] op_sel_hi:[1,0,1]
	v_div_fixup_f32 v2, v4, s5, 1.0
	v_mov_b32_e32 v4, 0
	s_delay_alu instid0(VALU_DEP_2) | instskip(NEXT) | instid1(VALU_DEP_1)
	v_pk_mul_f32 v[0:1], v[2:3], v[0:1] op_sel_hi:[0,1]
	v_dual_mov_b32 v2, v1 :: v_dual_mov_b32 v3, v0
	ds_store_b64 v6, v[2:3]
	s_wait_storecnt_dscnt 0x0
	ds_load_b64 v[2:3], v4 offset:416
	ds_load_b64 v[4:5], v7
	s_wait_dscnt 0x0
	v_pk_fma_f32 v[4:5], v[0:1], v[2:3], v[4:5] op_sel:[1,0,0] op_sel_hi:[0,0,1]
	s_delay_alu instid0(VALU_DEP_1)
	v_pk_fma_f32 v[0:1], v[0:1], v[2:3], v[4:5] op_sel:[0,1,0] neg_hi:[0,1,0]
	ds_store_b64 v7, v[0:1]
.LBB40_62:
	s_wait_xcnt 0x0
	v_mov_b32_e32 v0, 0x1a0
	s_wait_storecnt_dscnt 0x0
	v_mov_b32_e32 v2, 0
	s_cmp_eq_u32 s26, 0
	ds_load_b64 v[0:1], v0
	s_cselect_b32 s12, -1, 0
	s_wait_dscnt 0x0
	global_store_b64 v2, v[0:1], s[0:1]
	s_branch .LBB40_64
.LBB40_63:
	s_mov_b32 vcc_lo, exec_lo
	s_cbranch_vccnz .LBB40_67
.LBB40_64:
	s_and_b32 vcc_lo, exec_lo, s12
	s_cbranch_vccz .LBB40_66
.LBB40_65:
	s_wait_xcnt 0x0
	v_dual_mov_b32 v0, 0 :: v_dual_mov_b32 v1, 1
	s_add_nc_u64 s[0:1], s[6:7], s[2:3]
	global_wb scope:SCOPE_DEV
	s_wait_storecnt 0x0
	global_store_b32 v0, v1, s[0:1] scope:SCOPE_DEV
.LBB40_66:
	s_endpgm
.LBB40_67:
	s_wait_xcnt 0x0
	v_mbcnt_lo_u32_b32 v0, exec_lo, 0
	s_delay_alu instid0(VALU_DEP_1)
	v_cmp_ne_u32_e32 vcc_lo, 0, v0
	s_and_b32 s0, vcc_lo, exec_lo
	s_cbranch_scc0 .LBB40_69
; %bb.68:
	s_cbranch_execnz .LBB40_65
	s_branch .LBB40_66
.LBB40_69:
	s_add_co_i32 s0, s8, s9
	s_delay_alu instid0(SALU_CYCLE_1)
	v_dual_mov_b32 v0, 0 :: v_dual_mov_b32 v1, s0
	global_atomic_min_i32 v0, v1, s[10:11] scope:SCOPE_DEV
	s_cbranch_execnz .LBB40_65
	s_branch .LBB40_66
	.section	.rodata,"a",@progbits
	.p2align	6, 0x0
	.amdhsa_kernel _ZN9rocsparseL26bsric0_2_8_unrolled_kernelILi1ELi32ELi1E21rocsparse_complex_numIfEEEv20rocsparse_direction_iiPKiS5_PT2_S5_PiS5_S8_21rocsparse_index_base_
		.amdhsa_group_segment_fixed_size 448
		.amdhsa_private_segment_fixed_size 0
		.amdhsa_kernarg_size 76
		.amdhsa_user_sgpr_count 2
		.amdhsa_user_sgpr_dispatch_ptr 0
		.amdhsa_user_sgpr_queue_ptr 0
		.amdhsa_user_sgpr_kernarg_segment_ptr 1
		.amdhsa_user_sgpr_dispatch_id 0
		.amdhsa_user_sgpr_kernarg_preload_length 0
		.amdhsa_user_sgpr_kernarg_preload_offset 0
		.amdhsa_user_sgpr_private_segment_size 0
		.amdhsa_wavefront_size32 1
		.amdhsa_uses_dynamic_stack 0
		.amdhsa_enable_private_segment 0
		.amdhsa_system_sgpr_workgroup_id_x 1
		.amdhsa_system_sgpr_workgroup_id_y 0
		.amdhsa_system_sgpr_workgroup_id_z 0
		.amdhsa_system_sgpr_workgroup_info 0
		.amdhsa_system_vgpr_workitem_id 0
		.amdhsa_next_free_vgpr 54
		.amdhsa_next_free_sgpr 54
		.amdhsa_named_barrier_count 0
		.amdhsa_reserve_vcc 1
		.amdhsa_float_round_mode_32 0
		.amdhsa_float_round_mode_16_64 0
		.amdhsa_float_denorm_mode_32 3
		.amdhsa_float_denorm_mode_16_64 3
		.amdhsa_fp16_overflow 0
		.amdhsa_memory_ordered 1
		.amdhsa_forward_progress 1
		.amdhsa_inst_pref_size 33
		.amdhsa_round_robin_scheduling 0
		.amdhsa_exception_fp_ieee_invalid_op 0
		.amdhsa_exception_fp_denorm_src 0
		.amdhsa_exception_fp_ieee_div_zero 0
		.amdhsa_exception_fp_ieee_overflow 0
		.amdhsa_exception_fp_ieee_underflow 0
		.amdhsa_exception_fp_ieee_inexact 0
		.amdhsa_exception_int_div_zero 0
	.end_amdhsa_kernel
	.section	.text._ZN9rocsparseL26bsric0_2_8_unrolled_kernelILi1ELi32ELi1E21rocsparse_complex_numIfEEEv20rocsparse_direction_iiPKiS5_PT2_S5_PiS5_S8_21rocsparse_index_base_,"axG",@progbits,_ZN9rocsparseL26bsric0_2_8_unrolled_kernelILi1ELi32ELi1E21rocsparse_complex_numIfEEEv20rocsparse_direction_iiPKiS5_PT2_S5_PiS5_S8_21rocsparse_index_base_,comdat
.Lfunc_end40:
	.size	_ZN9rocsparseL26bsric0_2_8_unrolled_kernelILi1ELi32ELi1E21rocsparse_complex_numIfEEEv20rocsparse_direction_iiPKiS5_PT2_S5_PiS5_S8_21rocsparse_index_base_, .Lfunc_end40-_ZN9rocsparseL26bsric0_2_8_unrolled_kernelILi1ELi32ELi1E21rocsparse_complex_numIfEEEv20rocsparse_direction_iiPKiS5_PT2_S5_PiS5_S8_21rocsparse_index_base_
                                        ; -- End function
	.set _ZN9rocsparseL26bsric0_2_8_unrolled_kernelILi1ELi32ELi1E21rocsparse_complex_numIfEEEv20rocsparse_direction_iiPKiS5_PT2_S5_PiS5_S8_21rocsparse_index_base_.num_vgpr, 54
	.set _ZN9rocsparseL26bsric0_2_8_unrolled_kernelILi1ELi32ELi1E21rocsparse_complex_numIfEEEv20rocsparse_direction_iiPKiS5_PT2_S5_PiS5_S8_21rocsparse_index_base_.num_agpr, 0
	.set _ZN9rocsparseL26bsric0_2_8_unrolled_kernelILi1ELi32ELi1E21rocsparse_complex_numIfEEEv20rocsparse_direction_iiPKiS5_PT2_S5_PiS5_S8_21rocsparse_index_base_.numbered_sgpr, 54
	.set _ZN9rocsparseL26bsric0_2_8_unrolled_kernelILi1ELi32ELi1E21rocsparse_complex_numIfEEEv20rocsparse_direction_iiPKiS5_PT2_S5_PiS5_S8_21rocsparse_index_base_.num_named_barrier, 0
	.set _ZN9rocsparseL26bsric0_2_8_unrolled_kernelILi1ELi32ELi1E21rocsparse_complex_numIfEEEv20rocsparse_direction_iiPKiS5_PT2_S5_PiS5_S8_21rocsparse_index_base_.private_seg_size, 0
	.set _ZN9rocsparseL26bsric0_2_8_unrolled_kernelILi1ELi32ELi1E21rocsparse_complex_numIfEEEv20rocsparse_direction_iiPKiS5_PT2_S5_PiS5_S8_21rocsparse_index_base_.uses_vcc, 1
	.set _ZN9rocsparseL26bsric0_2_8_unrolled_kernelILi1ELi32ELi1E21rocsparse_complex_numIfEEEv20rocsparse_direction_iiPKiS5_PT2_S5_PiS5_S8_21rocsparse_index_base_.uses_flat_scratch, 0
	.set _ZN9rocsparseL26bsric0_2_8_unrolled_kernelILi1ELi32ELi1E21rocsparse_complex_numIfEEEv20rocsparse_direction_iiPKiS5_PT2_S5_PiS5_S8_21rocsparse_index_base_.has_dyn_sized_stack, 0
	.set _ZN9rocsparseL26bsric0_2_8_unrolled_kernelILi1ELi32ELi1E21rocsparse_complex_numIfEEEv20rocsparse_direction_iiPKiS5_PT2_S5_PiS5_S8_21rocsparse_index_base_.has_recursion, 0
	.set _ZN9rocsparseL26bsric0_2_8_unrolled_kernelILi1ELi32ELi1E21rocsparse_complex_numIfEEEv20rocsparse_direction_iiPKiS5_PT2_S5_PiS5_S8_21rocsparse_index_base_.has_indirect_call, 0
	.section	.AMDGPU.csdata,"",@progbits
; Kernel info:
; codeLenInByte = 4124
; TotalNumSgprs: 56
; NumVgprs: 54
; ScratchSize: 0
; MemoryBound: 0
; FloatMode: 240
; IeeeMode: 1
; LDSByteSize: 448 bytes/workgroup (compile time only)
; SGPRBlocks: 0
; VGPRBlocks: 3
; NumSGPRsForWavesPerEU: 56
; NumVGPRsForWavesPerEU: 54
; NamedBarCnt: 0
; Occupancy: 16
; WaveLimiterHint : 1
; COMPUTE_PGM_RSRC2:SCRATCH_EN: 0
; COMPUTE_PGM_RSRC2:USER_SGPR: 2
; COMPUTE_PGM_RSRC2:TRAP_HANDLER: 0
; COMPUTE_PGM_RSRC2:TGID_X_EN: 1
; COMPUTE_PGM_RSRC2:TGID_Y_EN: 0
; COMPUTE_PGM_RSRC2:TGID_Z_EN: 0
; COMPUTE_PGM_RSRC2:TIDIG_COMP_CNT: 0
	.section	.text._ZN9rocsparseL26bsric0_2_8_unrolled_kernelILi4ELi32ELi2E21rocsparse_complex_numIfEEEv20rocsparse_direction_iiPKiS5_PT2_S5_PiS5_S8_21rocsparse_index_base_,"axG",@progbits,_ZN9rocsparseL26bsric0_2_8_unrolled_kernelILi4ELi32ELi2E21rocsparse_complex_numIfEEEv20rocsparse_direction_iiPKiS5_PT2_S5_PiS5_S8_21rocsparse_index_base_,comdat
	.globl	_ZN9rocsparseL26bsric0_2_8_unrolled_kernelILi4ELi32ELi2E21rocsparse_complex_numIfEEEv20rocsparse_direction_iiPKiS5_PT2_S5_PiS5_S8_21rocsparse_index_base_ ; -- Begin function _ZN9rocsparseL26bsric0_2_8_unrolled_kernelILi4ELi32ELi2E21rocsparse_complex_numIfEEEv20rocsparse_direction_iiPKiS5_PT2_S5_PiS5_S8_21rocsparse_index_base_
	.p2align	8
	.type	_ZN9rocsparseL26bsric0_2_8_unrolled_kernelILi4ELi32ELi2E21rocsparse_complex_numIfEEEv20rocsparse_direction_iiPKiS5_PT2_S5_PiS5_S8_21rocsparse_index_base_,@function
_ZN9rocsparseL26bsric0_2_8_unrolled_kernelILi4ELi32ELi2E21rocsparse_complex_numIfEEEv20rocsparse_direction_iiPKiS5_PT2_S5_PiS5_S8_21rocsparse_index_base_: ; @_ZN9rocsparseL26bsric0_2_8_unrolled_kernelILi4ELi32ELi2E21rocsparse_complex_numIfEEEv20rocsparse_direction_iiPKiS5_PT2_S5_PiS5_S8_21rocsparse_index_base_
; %bb.0:
	s_load_b256 s[4:11], s[0:1], 0x28
	s_bfe_u32 s2, ttmp6, 0x4000c
	s_and_b32 s3, ttmp6, 15
	s_add_co_i32 s2, s2, 1
	s_getreg_b32 s12, hwreg(HW_REG_IB_STS2, 6, 4)
	s_mul_i32 s2, ttmp9, s2
	v_and_b32_e32 v8, 0x3ff, v0
	s_add_co_i32 s3, s3, s2
	s_cmp_eq_u32 s12, 0
	v_bfe_u32 v9, v0, 10, 10
	s_cselect_b32 s2, ttmp9, s3
	s_wait_kmcnt 0x0
	s_load_b32 s8, s[8:9], s2 offset:0x0 scale_offset
	s_wait_kmcnt 0x0
	s_ashr_i32 s9, s8, 31
	s_delay_alu instid0(SALU_CYCLE_1) | instskip(NEXT) | instid1(SALU_CYCLE_1)
	s_lshl_b64 s[2:3], s[8:9], 2
	s_add_nc_u64 s[12:13], s[4:5], s[2:3]
	s_load_b32 s26, s[12:13], 0x0
	s_load_b32 s9, s[0:1], 0x48
	s_wait_kmcnt 0x0
	s_cmp_lg_u32 s26, -1
	s_cbranch_scc0 .LBB41_15
; %bb.1:
	s_load_b128 s[12:15], s[0:1], 0x10
	s_wait_kmcnt 0x0
	s_add_nc_u64 s[16:17], s[12:13], s[2:3]
	s_load_b32 s17, s[16:17], 0x0
	s_wait_xcnt 0x0
	s_mov_b32 s16, exec_lo
	s_wait_kmcnt 0x0
	s_sub_co_i32 s27, s17, s9
	v_lshlrev_b32_e32 v16, 1, v9
	s_delay_alu instid0(VALU_DEP_1) | instskip(NEXT) | instid1(VALU_DEP_1)
	v_add_nc_u32_e32 v15, v16, v8
	v_add_nc_u32_e32 v0, s27, v15
	s_delay_alu instid0(VALU_DEP_1)
	v_cmpx_ge_i32_e64 s26, v0
	s_cbranch_execz .LBB41_13
; %bb.2:
	v_add_nc_u32_e32 v1, s17, v15
	s_add_co_i32 s18, s26, 1
	v_not_b32_e32 v2, v8
	s_mov_b32 s19, -1
	s_delay_alu instid0(VALU_DEP_2) | instskip(NEXT) | instid1(VALU_DEP_1)
	v_subrev_nc_u32_e32 v1, s9, v1
	v_add_max_i32_e64 v1, v1, 4, s18
	s_mov_b32 s18, exec_lo
	s_delay_alu instid0(VALU_DEP_1) | instskip(SKIP_1) | instid1(VALU_DEP_1)
	v_add3_u32 v1, s9, v1, v2
	v_add_nc_u32_e32 v2, s17, v16
	v_sub_nc_u32_e32 v1, v1, v2
	s_delay_alu instid0(VALU_DEP_1)
	v_cmpx_lt_u32_e32 3, v1
	s_cbranch_execz .LBB41_10
; %bb.3:
	v_dual_lshrrev_b32 v4, 2, v1 :: v_dual_add_nc_u32 v1, 4, v0
	s_delay_alu instid0(VALU_DEP_1) | instskip(NEXT) | instid1(VALU_DEP_1)
	v_add_nc_u32_e32 v2, -1, v4
	v_lshrrev_b32_e32 v3, 1, v2
	s_delay_alu instid0(VALU_DEP_1)
	v_add_nc_u32_e32 v5, 1, v3
	v_cmp_lt_u32_e32 vcc_lo, 13, v2
	v_mov_b64_e32 v[2:3], v[0:1]
	s_and_saveexec_b32 s19, vcc_lo
	s_cbranch_execz .LBB41_7
; %bb.4:
	v_mov_b64_e32 v[2:3], v[0:1]
	v_and_b32_e32 v6, -8, v5
	s_mov_b32 s20, 0
.LBB41_5:                               ; =>This Inner Loop Header: Depth=1
	s_clause 0x1
	global_load_b32 v1, v2, s[14:15] scale_offset
	global_load_b32 v7, v3, s[14:15] scale_offset
	v_dual_add_nc_u32 v18, 32, v3 :: v_dual_add_nc_u32 v19, 32, v2
	v_dual_add_nc_u32 v14, 24, v3 :: v_dual_add_nc_u32 v17, 24, v2
	;; [unrolled: 1-line block ×7, first 2 shown]
	s_clause 0xd
	global_load_b32 v26, v18, s[14:15] scale_offset
	global_load_b32 v27, v14, s[14:15] scale_offset
	;; [unrolled: 1-line block ×14, first 2 shown]
	v_subrev_nc_u32_e32 v40, s27, v2
	v_subrev_nc_u32_e32 v41, s27, v3
	s_wait_xcnt 0xe
	v_dual_add_nc_u32 v3, 64, v3 :: v_dual_add_nc_u32 v6, -8, v6
	s_wait_xcnt 0x9
	v_subrev_nc_u32_e32 v11, s27, v11
	v_dual_lshlrev_b32 v40, 2, v40 :: v_dual_lshlrev_b32 v41, 2, v41
	v_subrev_nc_u32_e32 v10, s27, v10
	s_wait_xcnt 0x8
	v_subrev_nc_u32_e32 v13, s27, v13
	v_subrev_nc_u32_e32 v12, s27, v12
	v_cmp_eq_u32_e32 vcc_lo, 0, v6
	s_wait_xcnt 0x7
	v_subrev_nc_u32_e32 v17, s27, v17
	v_subrev_nc_u32_e32 v14, s27, v14
	;; [unrolled: 1-line block ×3, first 2 shown]
	s_wait_xcnt 0x6
	v_subrev_nc_u32_e32 v19, s27, v19
	s_wait_xcnt 0x3
	v_subrev_nc_u32_e32 v20, s27, v20
	;; [unrolled: 2-line block ×3, first 2 shown]
	v_subrev_nc_u32_e32 v22, s27, v22
	s_wait_xcnt 0x1
	v_subrev_nc_u32_e32 v23, s27, v23
	v_subrev_nc_u32_e32 v24, s27, v24
	s_wait_xcnt 0x0
	v_subrev_nc_u32_e32 v25, s27, v25
	v_dual_add_nc_u32 v2, 64, v2 :: v_dual_lshlrev_b32 v11, 2, v11
	v_dual_lshlrev_b32 v10, 2, v10 :: v_dual_lshlrev_b32 v13, 2, v13
	v_dual_lshlrev_b32 v12, 2, v12 :: v_dual_lshlrev_b32 v17, 2, v17
	s_or_b32 s20, vcc_lo, s20
	v_dual_lshlrev_b32 v14, 2, v14 :: v_dual_lshlrev_b32 v19, 2, v19
	v_dual_lshlrev_b32 v18, 2, v18 :: v_dual_lshlrev_b32 v21, 2, v21
	;; [unrolled: 1-line block ×4, first 2 shown]
	v_lshlrev_b32_e32 v24, 2, v24
	s_wait_loadcnt 0xf
	v_subrev_nc_u32_e32 v1, s9, v1
	s_wait_loadcnt 0xe
	v_subrev_nc_u32_e32 v7, s9, v7
	ds_store_b32 v40, v1 offset:256
	ds_store_b32 v41, v7 offset:256
	s_wait_loadcnt 0xa
	v_subrev_nc_u32_e32 v1, s9, v29
	s_wait_loadcnt 0x9
	v_subrev_nc_u32_e32 v7, s9, v30
	;; [unrolled: 2-line block ×3, first 2 shown]
	v_subrev_nc_u32_e32 v28, s9, v28
	s_wait_loadcnt 0x7
	v_subrev_nc_u32_e32 v30, s9, v32
	v_subrev_nc_u32_e32 v27, s9, v27
	;; [unrolled: 1-line block ×3, first 2 shown]
	s_wait_loadcnt 0x6
	v_subrev_nc_u32_e32 v31, s9, v33
	s_wait_loadcnt 0x3
	v_subrev_nc_u32_e32 v32, s9, v36
	;; [unrolled: 2-line block ×3, first 2 shown]
	v_subrev_nc_u32_e32 v35, s9, v35
	s_wait_loadcnt 0x1
	v_subrev_nc_u32_e32 v36, s9, v38
	v_subrev_nc_u32_e32 v34, s9, v34
	s_wait_loadcnt 0x0
	v_subrev_nc_u32_e32 v37, s9, v39
	ds_store_b32 v11, v7 offset:256
	ds_store_b32 v10, v1 offset:256
	;; [unrolled: 1-line block ×14, first 2 shown]
	s_and_not1_b32 exec_lo, exec_lo, s20
	s_cbranch_execnz .LBB41_5
; %bb.6:
	s_or_b32 exec_lo, exec_lo, s20
.LBB41_7:
	s_delay_alu instid0(SALU_CYCLE_1) | instskip(SKIP_3) | instid1(VALU_DEP_1)
	s_or_b32 exec_lo, exec_lo, s19
	v_and_b32_e32 v1, 7, v5
	s_mov_b32 s20, 0
	s_mov_b32 s19, exec_lo
	v_cmpx_ne_u32_e32 0, v1
	s_cbranch_execz .LBB41_9
.LBB41_8:                               ; =>This Inner Loop Header: Depth=1
	s_clause 0x1
	global_load_b32 v5, v2, s[14:15] scale_offset
	global_load_b32 v6, v3, s[14:15] scale_offset
	v_add_nc_u32_e32 v1, -1, v1
	v_subrev_nc_u32_e32 v7, s27, v2
	v_subrev_nc_u32_e32 v10, s27, v3
	s_wait_xcnt 0x0
	v_dual_add_nc_u32 v3, 8, v3 :: v_dual_add_nc_u32 v2, 8, v2
	v_cmp_eq_u32_e32 vcc_lo, 0, v1
	s_delay_alu instid0(VALU_DEP_3)
	v_dual_lshlrev_b32 v7, 2, v7 :: v_dual_lshlrev_b32 v10, 2, v10
	s_or_b32 s20, vcc_lo, s20
	s_wait_loadcnt 0x1
	v_subrev_nc_u32_e32 v5, s9, v5
	s_wait_loadcnt 0x0
	v_subrev_nc_u32_e32 v6, s9, v6
	ds_store_b32 v7, v5 offset:256
	ds_store_b32 v10, v6 offset:256
	s_and_not1_b32 exec_lo, exec_lo, s20
	s_cbranch_execnz .LBB41_8
.LBB41_9:
	s_or_b32 exec_lo, exec_lo, s19
	v_add_nc_u32_e32 v1, 1, v4
	s_delay_alu instid0(VALU_DEP_1) | instskip(NEXT) | instid1(VALU_DEP_1)
	v_and_b32_e32 v2, 0x7ffffffe, v1
	v_cmp_ne_u32_e32 vcc_lo, v1, v2
	v_lshl_add_u32 v0, v2, 2, v0
	s_or_not1_b32 s19, vcc_lo, exec_lo
.LBB41_10:
	s_or_b32 exec_lo, exec_lo, s18
	s_delay_alu instid0(SALU_CYCLE_1)
	s_and_b32 exec_lo, exec_lo, s19
	s_cbranch_execz .LBB41_13
; %bb.11:
	v_add_nc_u32_e32 v1, s9, v0
	s_delay_alu instid0(VALU_DEP_1) | instskip(SKIP_2) | instid1(VALU_DEP_2)
	v_subrev_nc_u32_e32 v2, s17, v1
	v_ashrrev_i32_e32 v1, 31, v0
	s_mov_b32 s17, 0
	v_lshl_add_u32 v4, v2, 2, 0x100
	s_delay_alu instid0(VALU_DEP_2)
	v_lshl_add_u64 v[2:3], v[0:1], 2, s[14:15]
.LBB41_12:                              ; =>This Inner Loop Header: Depth=1
	global_load_b32 v1, v[2:3], off
	v_add_nc_u32_e32 v0, 4, v0
	s_wait_xcnt 0x0
	v_add_nc_u64_e32 v[2:3], 16, v[2:3]
	s_delay_alu instid0(VALU_DEP_2)
	v_cmp_lt_i32_e32 vcc_lo, s26, v0
	s_or_b32 s17, vcc_lo, s17
	s_wait_loadcnt 0x0
	v_subrev_nc_u32_e32 v1, s9, v1
	ds_store_b32 v4, v1
	v_add_nc_u32_e32 v4, 16, v4
	s_and_not1_b32 exec_lo, exec_lo, s17
	s_cbranch_execnz .LBB41_12
.LBB41_13:
	s_or_b32 exec_lo, exec_lo, s16
	s_load_b64 s[16:17], s[0:1], 0x20
	v_mad_u32_u24 v11, v9, 24, 0x210
	v_mov_b64_e32 v[0:1], 0
	s_cmp_lt_i32 s27, s26
	s_delay_alu instid0(VALU_DEP_2)
	v_lshl_add_u32 v10, v8, 3, v11
	ds_store_b64 v10, v[0:1]
	s_wait_dscnt 0x0
	s_cbranch_scc1 .LBB41_17
; %bb.14:
	v_lshl_add_u32 v17, v8, 1, v9
	v_or_b32_e32 v12, v8, v9
	s_mov_b32 s18, 0
	s_branch .LBB41_18
.LBB41_15:
	s_cbranch_execnz .LBB41_95
.LBB41_16:
	s_endpgm
.LBB41_17:
	s_mov_b32 s18, -1
                                        ; implicit-def: $vgpr17
                                        ; implicit-def: $vgpr12
.LBB41_18:
	s_wait_xcnt 0x0
	s_load_b32 s1, s[0:1], 0x0
	v_mad_u32_u24 v14, v9, 24, 0x1e0
	v_mad_u32_u24 v13, v8, 24, 0x1e0
	s_and_not1_b32 vcc_lo, exec_lo, s18
	s_cbranch_vccnz .LBB41_64
; %bb.19:
	v_dual_lshlrev_b32 v18, 1, v8 :: v_dual_lshlrev_b32 v0, 3, v8
	s_wait_kmcnt 0x0
	s_cmp_lg_u32 s1, 0
	v_mul_u32_u24_e32 v1, 24, v9
	v_mad_u32_u24 v20, v9, 24, 0x1b0
	v_dual_add_nc_u32 v17, v18, v9 :: v_dual_bitop2_b32 v12, v8, v9 bitop3:0x54
	s_cselect_b32 s28, -1, 0
	s_cmp_eq_u32 s1, 0
	v_dual_add_nc_u32 v19, v14, v0 :: v_dual_add_nc_u32 v23, 2, v9
	s_cselect_b32 vcc_lo, -1, 0
	v_add3_u32 v21, v1, v0, 0x180
	v_dual_cndmask_b32 v25, v17, v15 :: v_dual_add_nc_u32 v22, 2, v8
	v_dual_add_nc_u32 v24, v20, v0 :: v_dual_mov_b32 v26, 0
	v_cmp_ne_u32_e64 s0, 0, v12
	s_mov_b32 s18, s27
	s_branch .LBB41_23
.LBB41_20:                              ;   in Loop: Header=BB41_23 Depth=1
	s_wait_xcnt 0x0
	s_or_b32 exec_lo, exec_lo, s21
	v_dual_mov_b32 v6, 0 :: v_dual_mov_b32 v4, 1.0
.LBB41_21:                              ;   in Loop: Header=BB41_23 Depth=1
	s_or_b32 exec_lo, exec_lo, s20
	s_delay_alu instid0(VALU_DEP_1)
	v_mul_f32_e32 v5, v6, v6
	ds_load_b64 v[28:29], v14
	ds_load_b64 v[30:31], v26 offset:408
	ds_load_b64 v[32:33], v20 offset:8
	s_add_co_i32 s18, s18, 1
	s_wait_dscnt 0x3
	v_mov_b32_e32 v35, v2
	s_cmp_ge_i32 s18, s26
	v_fmac_f32_e32 v5, v4, v4
	s_cselect_b32 s24, -1, 0
	s_delay_alu instid0(VALU_DEP_1) | instskip(NEXT) | instid1(VALU_DEP_1)
	v_div_scale_f32 v7, null, v5, v5, 1.0
	v_rcp_f32_e32 v27, v7
	s_wait_dscnt 0x0
	v_pk_fma_f32 v[32:33], v[30:31], v[28:29], v[32:33] op_sel_hi:[1,0,1]
	s_delay_alu instid0(TRANS32_DEP_1) | instskip(NEXT) | instid1(VALU_DEP_1)
	v_fma_f32 v34, -v7, v27, 1.0
	v_fmac_f32_e32 v27, v34, v27
	v_div_scale_f32 v36, vcc_lo, 1.0, v5, 1.0
	v_mov_b32_e32 v34, v3
	v_pk_fma_f32 v[2:3], v[30:31], v[28:29], v[32:33] op_sel:[0,1,1] op_sel_hi:[1,1,0] neg_lo:[0,1,0]
	s_delay_alu instid0(VALU_DEP_3) | instskip(NEXT) | instid1(VALU_DEP_2)
	v_mul_f32_e32 v37, v36, v27
	v_pk_add_f32 v[2:3], v[34:35], v[2:3] neg_lo:[0,1] neg_hi:[0,1]
	s_delay_alu instid0(VALU_DEP_2) | instskip(NEXT) | instid1(VALU_DEP_1)
	v_fma_f32 v38, -v7, v37, v36
	v_fmac_f32_e32 v37, v38, v27
	s_delay_alu instid0(VALU_DEP_1) | instskip(NEXT) | instid1(VALU_DEP_4)
	v_fma_f32 v28, -v7, v37, v36
	v_pk_mul_f32 v[6:7], v[6:7], v[2:3] op_sel:[0,1] op_sel_hi:[0,0] neg_lo:[0,1]
	s_delay_alu instid0(VALU_DEP_2) | instskip(NEXT) | instid1(VALU_DEP_2)
	v_div_fmas_f32 v27, v28, v27, v37
	v_pk_fma_f32 v[2:3], v[2:3], v[4:5], v[6:7] op_sel_hi:[1,0,1]
	s_delay_alu instid0(VALU_DEP_2) | instskip(NEXT) | instid1(VALU_DEP_1)
	v_div_fixup_f32 v4, v27, v5, 1.0
	v_pk_mul_f32 v[2:3], v[4:5], v[2:3] op_sel_hi:[0,1]
	s_delay_alu instid0(VALU_DEP_1)
	v_dual_mov_b32 v4, v3 :: v_dual_mov_b32 v5, v2
	ds_store_b64 v14, v[4:5] offset:8
	s_wait_storecnt_dscnt 0x0
	ds_load_b64 v[4:5], v13 offset:8
	ds_load_b64 v[6:7], v10
	s_wait_dscnt 0x0
	v_pk_fma_f32 v[6:7], v[2:3], v[4:5], v[6:7] op_sel:[1,0,0] op_sel_hi:[0,0,1]
	s_delay_alu instid0(VALU_DEP_1)
	v_pk_fma_f32 v[2:3], v[2:3], v[4:5], v[6:7] op_sel:[0,1,0] neg_hi:[0,1,0]
	ds_store_b64 v10, v[2:3]
	s_wait_dscnt 0x0
	ds_load_b64 v[2:3], v19
	s_wait_dscnt 0x0
	global_store_b64 v[0:1], v[2:3], off
	global_wb scope:SCOPE_DEV
	s_wait_storecnt 0x0
	global_inv scope:SCOPE_DEV
.LBB41_22:                              ;   in Loop: Header=BB41_23 Depth=1
	s_and_b32 vcc_lo, exec_lo, s24
	s_cbranch_vccnz .LBB41_64
.LBB41_23:                              ; =>This Loop Header: Depth=1
                                        ;     Child Loop BB41_26 Depth 2
                                        ;     Child Loop BB41_37 Depth 2
	;; [unrolled: 1-line block ×3, first 2 shown]
	s_ashr_i32 s19, s18, 31
	s_delay_alu instid0(SALU_CYCLE_1) | instskip(NEXT) | instid1(SALU_CYCLE_1)
	s_lshl_b64 s[20:21], s[18:19], 2
	s_add_nc_u64 s[20:21], s[14:15], s[20:21]
	s_load_b32 s19, s[20:21], 0x0
	s_wait_kmcnt 0x0
	s_sub_co_i32 s22, s19, s9
	s_delay_alu instid0(SALU_CYCLE_1) | instskip(SKIP_2) | instid1(SALU_CYCLE_1)
	s_ashr_i32 s23, s22, 31
	s_wait_xcnt 0x0
	s_lshl_b64 s[20:21], s[22:23], 2
	s_add_nc_u64 s[24:25], s[4:5], s[20:21]
	s_load_b32 s23, s[24:25], 0x0
	s_wait_xcnt 0x0
	s_mov_b32 s24, -1
	s_wait_kmcnt 0x0
	s_cmp_eq_u32 s23, -1
	s_cbranch_scc1 .LBB41_22
; %bb.24:                               ;   in Loop: Header=BB41_23 Depth=1
	v_lshl_add_u32 v0, s18, 2, v25
	s_add_nc_u64 s[24:25], s[12:13], s[20:21]
	ds_load_b32 v1, v26 offset:256
	s_load_b32 s24, s[24:25], 0x0
	global_load_b64 v[2:3], v0, s[16:17] scale_offset
	s_wait_dscnt 0x0
	v_cmp_ge_i32_e32 vcc_lo, s22, v1
	s_wait_kmcnt 0x0
	s_sub_co_i32 s24, s24, s9
	s_delay_alu instid0(SALU_CYCLE_1) | instskip(SKIP_1) | instid1(SALU_CYCLE_1)
	s_cmp_le_i32 s24, s23
	s_cselect_b32 s25, -1, 0
	s_and_b32 s25, s25, vcc_lo
	s_delay_alu instid0(SALU_CYCLE_1)
	s_and_not1_b32 vcc_lo, exec_lo, s25
	s_mov_b32 s25, 0
	s_wait_loadcnt 0x0
	ds_store_b64 v19, v[2:3]
	s_cbranch_vccnz .LBB41_36
; %bb.25:                               ;   in Loop: Header=BB41_23 Depth=1
	s_mov_b32 s29, 0
	s_mov_b32 s30, 0
.LBB41_26:                              ;   Parent Loop BB41_23 Depth=1
                                        ; =>  This Inner Loop Header: Depth=2
	s_ashr_i32 s25, s24, 31
	s_lshl_b32 s31, s30, 2
	s_lshl_b64 s[34:35], s[24:25], 2
	v_mov_b32_e32 v1, s31
	s_add_nc_u64 s[34:35], s[14:15], s[34:35]
                                        ; implicit-def: $sgpr33
	s_load_b32 s25, s[34:35], 0x0
	s_wait_xcnt 0x0
	s_mov_b32 s35, -1
	ds_load_b32 v1, v1 offset:256
                                        ; implicit-def: $sgpr34
	s_wait_kmcnt 0x0
	s_sub_co_i32 s36, s25, s9
                                        ; implicit-def: $sgpr25
	s_wait_dscnt 0x0
	v_readfirstlane_b32 s31, v1
	v_cmp_ge_i32_e32 vcc_lo, s36, v1
	s_cbranch_vccz .LBB41_32
; %bb.27:                               ;   in Loop: Header=BB41_26 Depth=2
	s_cmp_le_i32 s36, s31
                                        ; implicit-def: $sgpr25
                                        ; implicit-def: $sgpr34
                                        ; implicit-def: $sgpr33
	s_cbranch_scc0 .LBB41_29
; %bb.28:                               ;   in Loop: Header=BB41_26 Depth=2
	s_add_co_i32 s25, s30, s27
	s_lshl_b32 s33, s29, 2
	s_lshl_b32 s25, s25, 2
	s_delay_alu instid0(SALU_CYCLE_1)
	v_dual_mov_b32 v1, s33 :: v_dual_mov_b32 v2, s25
	s_lshl_b32 s33, s24, 2
	s_add_co_i32 s34, s24, 1
	v_mov_b32_e32 v3, s33
	s_add_co_i32 s33, s30, 1
	s_add_co_i32 s25, s29, 1
	s_mov_b32 s35, 0
	ds_store_2addr_b32 v1, v3, v2 offset1:32
.LBB41_29:                              ;   in Loop: Header=BB41_26 Depth=2
	s_and_not1_b32 vcc_lo, exec_lo, s35
	s_cbranch_vccnz .LBB41_31
; %bb.30:                               ;   in Loop: Header=BB41_26 Depth=2
	s_add_co_i32 s33, s30, 1
	s_mov_b32 s25, s29
	s_mov_b32 s34, s24
.LBB41_31:                              ;   in Loop: Header=BB41_26 Depth=2
	s_mov_b32 s35, 0
.LBB41_32:                              ;   in Loop: Header=BB41_26 Depth=2
	s_delay_alu instid0(SALU_CYCLE_1)
	s_and_not1_b32 vcc_lo, exec_lo, s35
	s_cbranch_vccnz .LBB41_34
; %bb.33:                               ;   in Loop: Header=BB41_26 Depth=2
	s_add_co_i32 s34, s24, 1
	s_mov_b32 s33, s30
	s_mov_b32 s25, s29
.LBB41_34:                              ;   in Loop: Header=BB41_26 Depth=2
	s_cmp_le_i32 s34, s23
	s_cselect_b32 s24, -1, 0
	s_cmp_le_i32 s31, s22
	s_cselect_b32 s29, -1, 0
	s_delay_alu instid0(SALU_CYCLE_1) | instskip(NEXT) | instid1(SALU_CYCLE_1)
	s_and_b32 s24, s24, s29
	s_and_b32 vcc_lo, exec_lo, s24
	s_cbranch_vccz .LBB41_36
; %bb.35:                               ;   in Loop: Header=BB41_26 Depth=2
	s_mov_b32 s29, s25
	s_mov_b32 s24, s34
	;; [unrolled: 1-line block ×3, first 2 shown]
	s_branch .LBB41_26
.LBB41_36:                              ;   in Loop: Header=BB41_23 Depth=1
	v_ashrrev_i32_e32 v1, 31, v0
	s_add_nc_u64 s[20:21], s[6:7], s[20:21]
	s_wait_dscnt 0x0
	s_wait_xcnt 0x0
	s_delay_alu instid0(VALU_DEP_1)
	v_lshl_add_u64 v[0:1], v[0:1], 3, s[16:17]
.LBB41_37:                              ;   Parent Loop BB41_23 Depth=1
                                        ; =>  This Inner Loop Header: Depth=2
	global_load_b32 v2, v26, s[20:21] scope:SCOPE_DEV
	s_wait_loadcnt 0x0
	v_cmp_eq_u32_e32 vcc_lo, 0, v2
	s_cbranch_vccnz .LBB41_37
; %bb.38:                               ;   in Loop: Header=BB41_23 Depth=1
	v_lshl_add_u32 v2, s23, 2, v25
	global_inv scope:SCOPE_DEV
	v_mov_b32_e32 v3, 0
	s_cmp_lt_i32 s25, 2
	global_load_b64 v[4:5], v2, s[16:17] scale_offset
	s_wait_xcnt 0x0
	v_mov_b32_e32 v2, 0
	s_wait_loadcnt 0x0
	ds_store_b64 v21, v[4:5]
	s_wait_dscnt 0x0
	s_cbranch_scc1 .LBB41_57
; %bb.39:                               ;   in Loop: Header=BB41_23 Depth=1
	s_add_co_i32 s20, s25, -1
	s_cmp_eq_u32 s25, 2
	s_cbranch_scc1 .LBB41_50
; %bb.40:                               ;   in Loop: Header=BB41_23 Depth=1
	v_mov_b32_e32 v2, 0
	s_and_b32 s21, s20, -2
	s_mov_b32 s22, 0
	s_mov_b32 s23, 0
	s_delay_alu instid0(VALU_DEP_1)
	v_mov_b32_e32 v3, v2
	s_branch .LBB41_42
.LBB41_41:                              ;   in Loop: Header=BB41_42 Depth=2
	s_add_co_i32 s23, s23, 2
	s_add_co_i32 s22, s22, 8
	s_cmp_eq_u32 s21, s23
	s_cbranch_scc1 .LBB41_51
.LBB41_42:                              ;   Parent Loop BB41_23 Depth=1
                                        ; =>  This Inner Loop Header: Depth=2
	v_mov_b32_e32 v4, s22
	s_and_b32 vcc_lo, exec_lo, s28
	s_mov_b32 s24, -1
	s_wait_dscnt 0x0
	ds_load_2addr_b32 v[6:7], v4 offset1:32
                                        ; implicit-def: $vgpr4_vgpr5
	s_cbranch_vccz .LBB41_44
; %bb.43:                               ;   in Loop: Header=BB41_42 Depth=2
	s_wait_dscnt 0x0
	v_dual_add_nc_u32 v27, v7, v9 :: v_dual_add_nc_u32 v32, v22, v6
	v_add_nc_u32_e32 v33, v6, v8
	s_mov_b32 s24, 0
	s_clause 0x2
	global_load_b64 v[4:5], v27, s[16:17] scale_offset
	global_load_b64 v[28:29], v32, s[16:17] scale_offset
	;; [unrolled: 1-line block ×3, first 2 shown]
	s_wait_xcnt 0x2
	v_add_nc_u32_e32 v27, v23, v7
	global_load_b64 v[32:33], v27, s[16:17] scale_offset
	s_wait_loadcnt 0x1
	v_pk_fma_f32 v[34:35], v[30:31], v[4:5], v[2:3] op_sel_hi:[1,0,1]
	s_delay_alu instid0(VALU_DEP_1) | instskip(SKIP_1) | instid1(VALU_DEP_1)
	v_pk_fma_f32 v[4:5], v[30:31], v[4:5], v[34:35] op_sel:[1,1,0] op_sel_hi:[0,1,1] neg_hi:[0,1,0]
	s_wait_loadcnt 0x0
	v_pk_fma_f32 v[4:5], v[28:29], v[32:33], v[4:5] op_sel_hi:[1,0,1]
	s_delay_alu instid0(VALU_DEP_1)
	v_pk_fma_f32 v[4:5], v[28:29], v[32:33], v[4:5] op_sel:[1,1,0] op_sel_hi:[0,1,1] neg_hi:[0,1,0]
.LBB41_44:                              ;   in Loop: Header=BB41_42 Depth=2
	s_and_not1_b32 vcc_lo, exec_lo, s24
	s_cbranch_vccnz .LBB41_46
; %bb.45:                               ;   in Loop: Header=BB41_42 Depth=2
	s_wait_dscnt 0x0
	v_dual_add_nc_u32 v4, v7, v16 :: v_dual_add_nc_u32 v6, v6, v18
	s_delay_alu instid0(VALU_DEP_1) | instskip(NEXT) | instid1(VALU_DEP_1)
	v_dual_ashrrev_i32 v5, 31, v4 :: v_dual_ashrrev_i32 v7, 31, v6
	v_lshl_add_u64 v[32:33], v[4:5], 3, s[16:17]
	s_delay_alu instid0(VALU_DEP_2)
	v_lshl_add_u64 v[34:35], v[6:7], 3, s[16:17]
	s_clause 0x1
	global_load_b128 v[4:7], v[32:33], off
	global_load_b128 v[28:31], v[34:35], off
	s_wait_loadcnt 0x0
	v_pk_fma_f32 v[2:3], v[28:29], v[4:5], v[2:3] op_sel_hi:[1,0,1]
	s_delay_alu instid0(VALU_DEP_1) | instskip(SKIP_1) | instid1(VALU_DEP_2)
	v_pk_fma_f32 v[2:3], v[28:29], v[4:5], v[2:3] op_sel:[1,1,0] op_sel_hi:[0,1,1] neg_hi:[0,1,0]
	v_dual_mov_b32 v4, v31 :: v_dual_mov_b32 v5, v30
	v_pk_fma_f32 v[2:3], v[30:31], v[6:7], v[2:3] op_sel_hi:[1,0,1]
	v_mov_b32_e32 v6, v7
	s_delay_alu instid0(VALU_DEP_1)
	v_pk_fma_f32 v[4:5], v[4:5], v[6:7], v[2:3] op_sel_hi:[1,0,1] neg_hi:[0,1,0]
.LBB41_46:                              ;   in Loop: Header=BB41_42 Depth=2
	v_mov_b32_e32 v2, s22
	s_and_not1_b32 vcc_lo, exec_lo, s28
	s_mov_b32 s24, -1
	s_wait_dscnt 0x0
	ds_load_2addr_b32 v[6:7], v2 offset0:1 offset1:33
                                        ; implicit-def: $vgpr3
	s_cbranch_vccnz .LBB41_48
; %bb.47:                               ;   in Loop: Header=BB41_42 Depth=2
	s_wait_dscnt 0x0
	v_dual_add_nc_u32 v27, v7, v9 :: v_dual_add_nc_u32 v32, v22, v6
	v_add_nc_u32_e32 v33, v6, v8
	s_mov_b32 s24, 0
	s_clause 0x2
	global_load_b64 v[2:3], v27, s[16:17] scale_offset
	global_load_b64 v[28:29], v32, s[16:17] scale_offset
	;; [unrolled: 1-line block ×3, first 2 shown]
	s_wait_xcnt 0x2
	v_add_nc_u32_e32 v27, v23, v7
	global_load_b64 v[32:33], v27, s[16:17] scale_offset
	s_wait_loadcnt 0x1
	v_pk_fma_f32 v[34:35], v[30:31], v[2:3], v[4:5] op_sel_hi:[1,0,1]
	s_delay_alu instid0(VALU_DEP_1) | instskip(SKIP_1) | instid1(VALU_DEP_1)
	v_pk_fma_f32 v[2:3], v[30:31], v[2:3], v[34:35] op_sel:[1,1,0] op_sel_hi:[0,1,1] neg_hi:[0,1,0]
	s_wait_loadcnt 0x0
	v_pk_fma_f32 v[2:3], v[28:29], v[32:33], v[2:3] op_sel_hi:[1,0,1]
	s_delay_alu instid0(VALU_DEP_1)
	v_pk_fma_f32 v[2:3], v[28:29], v[32:33], v[2:3] op_sel:[1,1,0] op_sel_hi:[0,1,1] neg_hi:[0,1,0]
.LBB41_48:                              ;   in Loop: Header=BB41_42 Depth=2
	s_and_not1_b32 vcc_lo, exec_lo, s24
	s_cbranch_vccnz .LBB41_41
; %bb.49:                               ;   in Loop: Header=BB41_42 Depth=2
	s_wait_dscnt 0x0
	v_dual_add_nc_u32 v2, v7, v16 :: v_dual_add_nc_u32 v6, v6, v18
	s_delay_alu instid0(VALU_DEP_1) | instskip(NEXT) | instid1(VALU_DEP_2)
	v_ashrrev_i32_e32 v3, 31, v2
	v_ashrrev_i32_e32 v7, 31, v6
	s_delay_alu instid0(VALU_DEP_2) | instskip(NEXT) | instid1(VALU_DEP_2)
	v_lshl_add_u64 v[2:3], v[2:3], 3, s[16:17]
	v_lshl_add_u64 v[6:7], v[6:7], 3, s[16:17]
	s_clause 0x1
	global_load_b128 v[28:31], v[2:3], off
	global_load_b128 v[32:35], v[6:7], off
	s_wait_loadcnt 0x1
	s_wait_xcnt 0x0
	v_mov_b32_e32 v6, v31
	s_wait_loadcnt 0x0
	v_pk_fma_f32 v[2:3], v[32:33], v[28:29], v[4:5] op_sel_hi:[1,0,1]
	v_dual_mov_b32 v4, v35 :: v_dual_mov_b32 v5, v34
	s_delay_alu instid0(VALU_DEP_2) | instskip(NEXT) | instid1(VALU_DEP_1)
	v_pk_fma_f32 v[2:3], v[32:33], v[28:29], v[2:3] op_sel:[1,1,0] op_sel_hi:[0,1,1] neg_hi:[0,1,0]
	v_pk_fma_f32 v[2:3], v[34:35], v[30:31], v[2:3] op_sel_hi:[1,0,1]
	s_delay_alu instid0(VALU_DEP_1)
	v_pk_fma_f32 v[2:3], v[4:5], v[6:7], v[2:3] op_sel_hi:[1,0,1] neg_hi:[0,1,0]
	s_branch .LBB41_41
.LBB41_50:                              ;   in Loop: Header=BB41_23 Depth=1
	v_mov_b32_e32 v3, 0
	s_mov_b32 s21, 0
	s_delay_alu instid0(VALU_DEP_1)
	v_mov_b32_e32 v2, v3
.LBB41_51:                              ;   in Loop: Header=BB41_23 Depth=1
	s_bitcmp0_b32 s20, 0
	s_cbranch_scc1 .LBB41_57
; %bb.52:                               ;   in Loop: Header=BB41_23 Depth=1
	s_lshl_b32 s20, s21, 2
	s_and_not1_b32 vcc_lo, exec_lo, s28
	v_mov_b32_e32 v4, s20
	s_mov_b32 s20, -1
                                        ; implicit-def: $vgpr7
	ds_load_2addr_b32 v[4:5], v4 offset1:32
	s_cbranch_vccnz .LBB41_54
; %bb.53:                               ;   in Loop: Header=BB41_23 Depth=1
	s_wait_dscnt 0x0
	v_dual_add_nc_u32 v27, v5, v9 :: v_dual_add_nc_u32 v32, v22, v4
	v_add_nc_u32_e32 v33, v4, v8
	s_mov_b32 s20, 0
	s_clause 0x2
	global_load_b64 v[6:7], v27, s[16:17] scale_offset
	global_load_b64 v[28:29], v32, s[16:17] scale_offset
	global_load_b64 v[30:31], v33, s[16:17] scale_offset
	s_wait_xcnt 0x2
	v_add_nc_u32_e32 v27, v23, v5
	global_load_b64 v[32:33], v27, s[16:17] scale_offset
	s_wait_loadcnt 0x1
	v_pk_fma_f32 v[34:35], v[30:31], v[6:7], v[2:3] op_sel_hi:[1,0,1]
	s_delay_alu instid0(VALU_DEP_1) | instskip(SKIP_1) | instid1(VALU_DEP_1)
	v_pk_fma_f32 v[6:7], v[30:31], v[6:7], v[34:35] op_sel:[1,1,0] op_sel_hi:[0,1,1] neg_hi:[0,1,0]
	s_wait_loadcnt 0x0
	v_pk_fma_f32 v[6:7], v[28:29], v[32:33], v[6:7] op_sel_hi:[1,0,1]
	s_delay_alu instid0(VALU_DEP_1)
	v_pk_fma_f32 v[6:7], v[28:29], v[32:33], v[6:7] op_sel:[1,1,0] op_sel_hi:[0,1,1] neg_hi:[0,1,0]
.LBB41_54:                              ;   in Loop: Header=BB41_23 Depth=1
	s_and_not1_b32 vcc_lo, exec_lo, s20
	s_cbranch_vccnz .LBB41_56
; %bb.55:                               ;   in Loop: Header=BB41_23 Depth=1
	s_wait_dscnt 0x0
	v_dual_add_nc_u32 v6, v5, v16 :: v_dual_add_nc_u32 v4, v4, v18
	s_delay_alu instid0(VALU_DEP_1) | instskip(NEXT) | instid1(VALU_DEP_1)
	v_dual_ashrrev_i32 v7, 31, v6 :: v_dual_ashrrev_i32 v5, 31, v4
	v_lshl_add_u64 v[32:33], v[6:7], 3, s[16:17]
	s_delay_alu instid0(VALU_DEP_2)
	v_lshl_add_u64 v[34:35], v[4:5], 3, s[16:17]
	s_clause 0x1
	global_load_b128 v[4:7], v[32:33], off
	global_load_b128 v[28:31], v[34:35], off
	s_wait_loadcnt 0x0
	v_pk_fma_f32 v[2:3], v[28:29], v[4:5], v[2:3] op_sel_hi:[1,0,1]
	s_delay_alu instid0(VALU_DEP_1) | instskip(SKIP_1) | instid1(VALU_DEP_2)
	v_pk_fma_f32 v[2:3], v[28:29], v[4:5], v[2:3] op_sel:[1,1,0] op_sel_hi:[0,1,1] neg_hi:[0,1,0]
	v_dual_mov_b32 v4, v31 :: v_dual_mov_b32 v5, v30
	v_pk_fma_f32 v[2:3], v[30:31], v[6:7], v[2:3] op_sel_hi:[1,0,1]
	v_mov_b32_e32 v6, v7
	s_delay_alu instid0(VALU_DEP_1)
	v_pk_fma_f32 v[6:7], v[4:5], v[6:7], v[2:3] op_sel_hi:[1,0,1] neg_hi:[0,1,0]
.LBB41_56:                              ;   in Loop: Header=BB41_23 Depth=1
	s_wait_dscnt 0x1
	s_delay_alu instid0(VALU_DEP_1)
	v_dual_mov_b32 v3, v7 :: v_dual_mov_b32 v2, v6
.LBB41_57:                              ;   in Loop: Header=BB41_23 Depth=1
	ds_store_b64 v24, v[2:3]
	s_wait_dscnt 0x0
	ds_load_b64 v[2:3], v26 offset:384
	s_wait_dscnt 0x0
	v_readfirstlane_b32 s20, v2
	v_readfirstlane_b32 s21, v3
	ds_load_b64 v[2:3], v14
	s_cmp_neq_f32 s20, 0
	s_cselect_b32 s22, -1, 0
	s_cmp_neq_f32 s21, 0
	s_cselect_b32 s23, -1, 0
	s_delay_alu instid0(SALU_CYCLE_1) | instskip(NEXT) | instid1(SALU_CYCLE_1)
	s_or_b32 s22, s22, s23
	s_nor_b32 s23, s22, s0
	s_and_b32 s22, s22, exec_lo
	s_cselect_b32 s20, s20, 1.0
	s_cselect_b32 s21, s21, 0
	s_delay_alu instid0(SALU_CYCLE_1)
	v_dual_mov_b32 v4, s20 :: v_dual_mov_b32 v6, s21
	s_and_saveexec_b32 s20, s23
	s_cbranch_execz .LBB41_61
; %bb.58:                               ;   in Loop: Header=BB41_23 Depth=1
	v_mbcnt_lo_u32_b32 v4, exec_lo, 0
	s_mov_b32 s21, exec_lo
	s_delay_alu instid0(VALU_DEP_1)
	v_cmpx_eq_u32_e32 0, v4
	s_cbranch_execz .LBB41_60
; %bb.59:                               ;   in Loop: Header=BB41_23 Depth=1
	v_mov_b32_e32 v4, s19
	global_atomic_min_i32 v26, v4, s[10:11] scope:SCOPE_DEV
.LBB41_60:                              ;   in Loop: Header=BB41_23 Depth=1
	s_wait_xcnt 0x0
	s_or_b32 exec_lo, exec_lo, s21
	v_dual_mov_b32 v6, 0 :: v_dual_mov_b32 v4, 1.0
.LBB41_61:                              ;   in Loop: Header=BB41_23 Depth=1
	s_or_b32 exec_lo, exec_lo, s20
	s_delay_alu instid0(VALU_DEP_1) | instskip(SKIP_3) | instid1(VALU_DEP_1)
	v_mul_f32_e32 v5, v6, v6
	ds_load_b64 v[28:29], v20
	s_wait_dscnt 0x1
	v_dual_mov_b32 v31, v2 :: v_dual_fmac_f32 v5, v4, v4
	v_div_scale_f32 v7, null, v5, v5, 1.0
	s_delay_alu instid0(VALU_DEP_1) | instskip(SKIP_1) | instid1(TRANS32_DEP_1)
	v_rcp_f32_e32 v27, v7
	v_nop
	v_fma_f32 v30, -v7, v27, 1.0
	s_delay_alu instid0(VALU_DEP_1) | instskip(SKIP_1) | instid1(VALU_DEP_1)
	v_fmac_f32_e32 v27, v30, v27
	v_div_scale_f32 v32, vcc_lo, 1.0, v5, 1.0
	v_mul_f32_e32 v33, v32, v27
	s_delay_alu instid0(VALU_DEP_1) | instskip(NEXT) | instid1(VALU_DEP_1)
	v_fma_f32 v34, -v7, v33, v32
	v_dual_mov_b32 v30, v3 :: v_dual_fmac_f32 v33, v34, v27
	s_wait_dscnt 0x0
	s_delay_alu instid0(VALU_DEP_1) | instskip(NEXT) | instid1(VALU_DEP_2)
	v_pk_add_f32 v[2:3], v[30:31], v[28:29] op_sel:[0,1] op_sel_hi:[1,0] neg_lo:[0,1] neg_hi:[0,1]
	v_fma_f32 v28, -v7, v33, v32
	s_delay_alu instid0(VALU_DEP_2) | instskip(NEXT) | instid1(VALU_DEP_2)
	v_pk_mul_f32 v[6:7], v[6:7], v[2:3] op_sel:[0,1] op_sel_hi:[0,0] neg_lo:[0,1]
	v_div_fmas_f32 v27, v28, v27, v33
	s_delay_alu instid0(VALU_DEP_2) | instskip(NEXT) | instid1(VALU_DEP_2)
	v_pk_fma_f32 v[2:3], v[2:3], v[4:5], v[6:7] op_sel_hi:[1,0,1]
	v_div_fixup_f32 v4, v27, v5, 1.0
	s_delay_alu instid0(VALU_DEP_1) | instskip(NEXT) | instid1(VALU_DEP_1)
	v_pk_mul_f32 v[2:3], v[4:5], v[2:3] op_sel_hi:[0,1]
	v_dual_mov_b32 v4, v3 :: v_dual_mov_b32 v5, v2
	ds_store_b64 v14, v[4:5]
	s_wait_storecnt_dscnt 0x0
	ds_load_b64 v[4:5], v13
	ds_load_b64 v[6:7], v10
	s_wait_dscnt 0x0
	v_pk_fma_f32 v[6:7], v[2:3], v[4:5], v[6:7] op_sel:[1,0,0] op_sel_hi:[0,0,1]
	s_delay_alu instid0(VALU_DEP_1)
	v_pk_fma_f32 v[2:3], v[2:3], v[4:5], v[6:7] op_sel:[0,1,0] neg_hi:[0,1,0]
	ds_store_b64 v10, v[2:3]
	s_wait_dscnt 0x0
	ds_load_b64 v[2:3], v26 offset:416
	s_wait_dscnt 0x0
	v_readfirstlane_b32 s20, v2
	v_readfirstlane_b32 s21, v3
	ds_load_b64 v[2:3], v14 offset:8
	s_cmp_neq_f32 s20, 0
	s_cselect_b32 s22, -1, 0
	s_cmp_neq_f32 s21, 0
	s_cselect_b32 s23, -1, 0
	s_delay_alu instid0(SALU_CYCLE_1) | instskip(NEXT) | instid1(SALU_CYCLE_1)
	s_or_b32 s22, s22, s23
	s_nor_b32 s23, s22, s0
	s_and_b32 s22, s22, exec_lo
	s_cselect_b32 s20, s20, 1.0
	s_cselect_b32 s21, s21, 0
	s_delay_alu instid0(SALU_CYCLE_1)
	v_dual_mov_b32 v4, s20 :: v_dual_mov_b32 v6, s21
	s_and_saveexec_b32 s20, s23
	s_cbranch_execz .LBB41_21
; %bb.62:                               ;   in Loop: Header=BB41_23 Depth=1
	v_mbcnt_lo_u32_b32 v4, exec_lo, 0
	s_mov_b32 s21, exec_lo
	s_delay_alu instid0(VALU_DEP_1)
	v_cmpx_eq_u32_e32 0, v4
	s_cbranch_execz .LBB41_20
; %bb.63:                               ;   in Loop: Header=BB41_23 Depth=1
	v_mov_b32_e32 v4, s19
	global_atomic_min_i32 v26, v4, s[10:11] scope:SCOPE_DEV
	s_branch .LBB41_20
.LBB41_64:
	s_wait_kmcnt 0x0
	s_cmp_eq_u32 s1, 0
	v_lshl_add_u32 v3, v8, 3, v14
	s_cselect_b32 vcc_lo, -1, 0
	v_cmp_ne_u32_e64 s1, 0, v9
	v_cndmask_b32_e32 v0, v17, v15, vcc_lo
	s_mov_b32 s0, exec_lo
	s_delay_alu instid0(VALU_DEP_1)
	v_lshl_add_u32 v0, s26, 2, v0
	global_load_b64 v[4:5], v0, s[16:17] scale_offset
	v_ashrrev_i32_e32 v1, 31, v0
	s_wait_loadcnt 0x0
	ds_store_b64 v3, v[4:5]
	s_wait_dscnt 0x0
	v_cmpx_eq_u32_e32 0, v9
	s_cbranch_execz .LBB41_72
; %bb.65:
	v_mov_b32_e32 v2, 0
	ds_load_2addr_b64 v[4:7], v2 offset0:60 offset1:66
	s_wait_dscnt 0x0
	v_readfirstlane_b32 s4, v6
	v_readfirstlane_b32 s5, v4
	;; [unrolled: 1-line block ×3, first 2 shown]
	s_sub_f32 s4, s5, s4
	v_readfirstlane_b32 s5, v7
	s_delay_alu instid0(SALU_CYCLE_2) | instskip(SKIP_3) | instid1(SALU_CYCLE_2)
	s_xor_b32 s13, s4, 0x80000000
	s_cmp_lt_f32 s4, 0
	s_sub_f32 s12, s12, s5
	s_cselect_b32 s4, s13, s4
	s_xor_b32 s5, s12, 0x80000000
	s_cmp_lt_f32 s12, 0
	s_cselect_b32 s5, s5, s12
	s_delay_alu instid0(SALU_CYCLE_1)
	s_cmp_ngt_f32 s4, s5
	s_cbranch_scc0 .LBB41_68
; %bb.66:
	s_cmp_eq_f32 s12, 0
	s_mov_b32 s12, 0
	s_mov_b32 s13, 0
	s_cbranch_scc1 .LBB41_69
; %bb.67:
	v_div_scale_f32 v2, null, s5, s5, s4
	v_div_scale_f32 v6, vcc_lo, s4, s5, s4
	s_delay_alu instid0(VALU_DEP_2)
	v_rcp_f32_e32 v4, v2
	v_nop
	v_xor_b32_e32 v2, 0x80000000, v2
	s_delay_alu instid0(TRANS32_DEP_1) | instid1(VALU_DEP_1)
	v_fma_f32 v5, v2, v4, 1.0
	s_delay_alu instid0(VALU_DEP_1) | instskip(NEXT) | instid1(VALU_DEP_1)
	v_fmac_f32_e32 v4, v5, v4
	v_mul_f32_e32 v5, v6, v4
	s_delay_alu instid0(VALU_DEP_1) | instskip(NEXT) | instid1(VALU_DEP_1)
	v_fma_f32 v7, v2, v5, v6
	v_fmac_f32_e32 v5, v7, v4
	s_delay_alu instid0(VALU_DEP_1) | instskip(NEXT) | instid1(VALU_DEP_1)
	v_fmac_f32_e32 v6, v2, v5
	v_div_fmas_f32 v2, v6, v4, v5
	s_delay_alu instid0(VALU_DEP_1) | instskip(NEXT) | instid1(VALU_DEP_1)
	v_div_fixup_f32 v2, v2, s5, s4
	v_readfirstlane_b32 s13, v2
	s_fmaak_f32 s13, s13, s13, 0x3f800000
	s_delay_alu instid0(SALU_CYCLE_3) | instskip(SKIP_1) | instid1(SALU_CYCLE_2)
	s_mul_f32 s14, s13, 0x4f800000
	s_cmp_lt_f32 s13, 0xf800000
	s_cselect_b32 s14, s14, s13
	s_delay_alu instid0(SALU_CYCLE_1) | instskip(SKIP_1) | instid1(TRANS32_DEP_1)
	v_s_sqrt_f32 s15, s14
	s_mov_b32 s19, s14
	s_add_co_i32 s18, s15, -1
	s_delay_alu instid0(SALU_CYCLE_1) | instskip(NEXT) | instid1(SALU_CYCLE_1)
	s_xor_b32 s20, s18, 0x80000000
	s_fmac_f32 s19, s20, s15
	s_mov_b32 s20, s14
	s_delay_alu instid0(SALU_CYCLE_2) | instskip(SKIP_2) | instid1(SALU_CYCLE_1)
	s_cmp_le_f32 s19, 0
	s_cselect_b32 s18, s18, s15
	s_add_co_i32 s19, s15, 1
	s_xor_b32 s21, s19, 0x80000000
	s_delay_alu instid0(SALU_CYCLE_1) | instskip(NEXT) | instid1(SALU_CYCLE_3)
	s_fmac_f32 s20, s21, s15
	s_cmp_gt_f32 s20, 0
	s_cselect_b32 s15, s19, s18
	s_cmp_lt_f32 s13, 0xf800000
	s_mul_f32 s13, s15, 0x37800000
	v_cmp_class_f32_e64 s18, s14, 0x260
	s_delay_alu instid0(SALU_CYCLE_2) | instskip(SKIP_2) | instid1(SALU_CYCLE_1)
	s_cselect_b32 s13, s13, s15
	s_and_b32 s15, s18, exec_lo
	s_cselect_b32 s13, s14, s13
	s_mul_f32 s13, s5, s13
	s_branch .LBB41_69
.LBB41_68:
	s_mov_b32 s12, -1
                                        ; implicit-def: $sgpr13
.LBB41_69:
	s_delay_alu instid0(SALU_CYCLE_1)
	s_and_not1_b32 vcc_lo, exec_lo, s12
	s_cbranch_vccnz .LBB41_71
; %bb.70:
	v_div_scale_f32 v2, null, s4, s4, s5
	v_div_scale_f32 v6, vcc_lo, s5, s4, s5
	s_delay_alu instid0(VALU_DEP_2)
	v_rcp_f32_e32 v4, v2
	v_nop
	v_xor_b32_e32 v2, 0x80000000, v2
	s_delay_alu instid0(TRANS32_DEP_1) | instid1(VALU_DEP_1)
	v_fma_f32 v5, v2, v4, 1.0
	s_delay_alu instid0(VALU_DEP_1) | instskip(NEXT) | instid1(VALU_DEP_1)
	v_fmac_f32_e32 v4, v5, v4
	v_mul_f32_e32 v5, v6, v4
	s_delay_alu instid0(VALU_DEP_1) | instskip(NEXT) | instid1(VALU_DEP_1)
	v_fma_f32 v7, v2, v5, v6
	v_fmac_f32_e32 v5, v7, v4
	s_delay_alu instid0(VALU_DEP_1) | instskip(NEXT) | instid1(VALU_DEP_1)
	v_fmac_f32_e32 v6, v2, v5
	v_div_fmas_f32 v2, v6, v4, v5
	s_delay_alu instid0(VALU_DEP_1) | instskip(NEXT) | instid1(VALU_DEP_1)
	v_div_fixup_f32 v2, v2, s4, s5
	v_readfirstlane_b32 s5, v2
	s_fmaak_f32 s5, s5, s5, 0x3f800000
	s_delay_alu instid0(SALU_CYCLE_3) | instskip(SKIP_1) | instid1(SALU_CYCLE_2)
	s_mul_f32 s12, s5, 0x4f800000
	s_cmp_lt_f32 s5, 0xf800000
	s_cselect_b32 s12, s12, s5
	s_delay_alu instid0(SALU_CYCLE_1) | instskip(SKIP_1) | instid1(TRANS32_DEP_1)
	v_s_sqrt_f32 s13, s12
	s_mov_b32 s15, s12
	s_add_co_i32 s14, s13, -1
	s_delay_alu instid0(SALU_CYCLE_1) | instskip(NEXT) | instid1(SALU_CYCLE_1)
	s_xor_b32 s18, s14, 0x80000000
	s_fmac_f32 s15, s18, s13
	s_mov_b32 s18, s12
	s_delay_alu instid0(SALU_CYCLE_2) | instskip(SKIP_2) | instid1(SALU_CYCLE_1)
	s_cmp_le_f32 s15, 0
	s_cselect_b32 s14, s14, s13
	s_add_co_i32 s15, s13, 1
	s_xor_b32 s19, s15, 0x80000000
	s_delay_alu instid0(SALU_CYCLE_1) | instskip(NEXT) | instid1(SALU_CYCLE_3)
	s_fmac_f32 s18, s19, s13
	s_cmp_gt_f32 s18, 0
	s_cselect_b32 s13, s15, s14
	s_cmp_lt_f32 s5, 0xf800000
	s_mul_f32 s5, s13, 0x37800000
	v_cmp_class_f32_e64 s14, s12, 0x260
	s_delay_alu instid0(SALU_CYCLE_2) | instskip(SKIP_2) | instid1(SALU_CYCLE_1)
	s_cselect_b32 s5, s5, s13
	s_and_b32 s13, s14, exec_lo
	s_cselect_b32 s5, s12, s5
	s_mul_f32 s13, s4, s5
.LBB41_71:
	s_delay_alu instid0(SALU_CYCLE_3) | instskip(SKIP_2) | instid1(SALU_CYCLE_1)
	s_mul_f32 s4, s13, 0x4f800000
	s_cmp_lt_f32 s13, 0xf800000
	v_mov_b32_e32 v5, 0
	s_cselect_b32 s4, s4, s13
	s_delay_alu instid0(SALU_CYCLE_1) | instskip(SKIP_1) | instid1(TRANS32_DEP_1)
	v_s_sqrt_f32 s5, s4
	s_mov_b32 s14, s4
	s_add_co_i32 s12, s5, -1
	s_delay_alu instid0(SALU_CYCLE_1) | instskip(NEXT) | instid1(SALU_CYCLE_1)
	s_xor_b32 s15, s12, 0x80000000
	s_fmac_f32 s14, s15, s5
	s_mov_b32 s15, s4
	s_delay_alu instid0(SALU_CYCLE_2) | instskip(SKIP_2) | instid1(SALU_CYCLE_1)
	s_cmp_le_f32 s14, 0
	s_cselect_b32 s12, s12, s5
	s_add_co_i32 s14, s5, 1
	s_xor_b32 s18, s14, 0x80000000
	s_delay_alu instid0(SALU_CYCLE_1) | instskip(SKIP_1) | instid1(SALU_CYCLE_2)
	s_fmac_f32 s15, s18, s5
	v_cmp_class_f32_e64 s5, s4, 0x260
	s_cmp_gt_f32 s15, 0
	s_cselect_b32 s12, s14, s12
	s_cmp_lt_f32 s13, 0xf800000
	s_mul_f32 s13, s12, 0x37800000
	s_delay_alu instid0(SALU_CYCLE_3) | instskip(SKIP_2) | instid1(SALU_CYCLE_1)
	s_cselect_b32 s12, s13, s12
	s_and_b32 s5, s5, exec_lo
	s_cselect_b32 s4, s4, s12
	v_mov_b32_e32 v4, s4
	ds_store_b64 v5, v[4:5] offset:480
.LBB41_72:
	s_or_b32 exec_lo, exec_lo, s0
	v_mov_b32_e32 v2, 0
	s_wait_dscnt 0x0
	s_add_co_i32 s4, s8, s9
	v_cmp_ne_u32_e64 s0, 0, v12
	v_lshl_add_u64 v[0:1], v[0:1], 3, s[16:17]
	ds_load_b64 v[4:5], v2 offset:480
	s_wait_dscnt 0x0
	v_readfirstlane_b32 s5, v4
	v_readfirstlane_b32 s12, v5
	s_cmp_neq_f32 s5, 0
	s_cselect_b32 s13, -1, 0
	s_cmp_neq_f32 s12, 0
	s_cselect_b32 s14, -1, 0
	s_delay_alu instid0(SALU_CYCLE_1) | instskip(NEXT) | instid1(SALU_CYCLE_1)
	s_or_b32 s13, s13, s14
	s_nor_b32 s14, s13, s0
	s_and_b32 s13, s13, exec_lo
	s_cselect_b32 s5, s5, 1.0
	s_cselect_b32 s12, s12, 0
	s_delay_alu instid0(SALU_CYCLE_1)
	v_dual_mov_b32 v2, s5 :: v_dual_mov_b32 v4, s12
	s_and_saveexec_b32 s5, s14
	s_cbranch_execz .LBB41_76
; %bb.73:
	v_mbcnt_lo_u32_b32 v2, exec_lo, 0
	s_mov_b32 s12, exec_lo
	s_delay_alu instid0(VALU_DEP_1)
	v_cmpx_eq_u32_e32 0, v2
	s_cbranch_execz .LBB41_75
; %bb.74:
	v_dual_mov_b32 v2, 0 :: v_dual_mov_b32 v4, s4
	global_atomic_min_i32 v2, v4, s[10:11] scope:SCOPE_DEV
.LBB41_75:
	s_wait_xcnt 0x0
	s_or_b32 exec_lo, exec_lo, s12
	v_dual_mov_b32 v4, 0 :: v_dual_mov_b32 v2, 1.0
.LBB41_76:
	s_or_b32 exec_lo, exec_lo, s5
	s_and_saveexec_b32 s5, s1
	s_cbranch_execz .LBB41_78
; %bb.77:
	s_delay_alu instid0(VALU_DEP_1) | instskip(SKIP_3) | instid1(VALU_DEP_1)
	v_mul_f32_e32 v15, v4, v4
	ds_load_b64 v[6:7], v14
	ds_load_b64 v[16:17], v11
	v_fmac_f32_e32 v15, v2, v2
	v_div_scale_f32 v5, null, v15, v15, 1.0
	v_div_scale_f32 v20, vcc_lo, 1.0, v15, 1.0
	s_delay_alu instid0(VALU_DEP_2) | instskip(SKIP_2) | instid1(TRANS32_DEP_1)
	v_rcp_f32_e32 v18, v5
	s_wait_dscnt 0x0
	v_pk_add_f32 v[6:7], v[6:7], v[16:17] op_sel:[1,1] op_sel_hi:[0,0] neg_lo:[0,1] neg_hi:[0,1]
	v_fma_f32 v19, -v5, v18, 1.0
	s_delay_alu instid0(VALU_DEP_1) | instskip(NEXT) | instid1(VALU_DEP_1)
	v_fmac_f32_e32 v18, v19, v18
	v_mul_f32_e32 v19, v20, v18
	s_delay_alu instid0(VALU_DEP_1) | instskip(NEXT) | instid1(VALU_DEP_1)
	v_fma_f32 v21, -v5, v19, v20
	v_fmac_f32_e32 v19, v21, v18
	s_delay_alu instid0(VALU_DEP_1) | instskip(SKIP_1) | instid1(VALU_DEP_2)
	v_fma_f32 v16, -v5, v19, v20
	v_pk_mul_f32 v[4:5], v[4:5], v[6:7] op_sel:[0,1] op_sel_hi:[0,0] neg_lo:[0,1]
	v_div_fmas_f32 v16, v16, v18, v19
	s_delay_alu instid0(VALU_DEP_2) | instskip(NEXT) | instid1(VALU_DEP_2)
	v_pk_fma_f32 v[4:5], v[6:7], v[2:3], v[4:5] op_sel_hi:[1,0,1]
	v_div_fixup_f32 v2, v16, v15, 1.0
	s_delay_alu instid0(VALU_DEP_1) | instskip(NEXT) | instid1(VALU_DEP_1)
	v_pk_mul_f32 v[4:5], v[2:3], v[4:5] op_sel_hi:[0,1]
	v_dual_mov_b32 v6, v5 :: v_dual_mov_b32 v7, v4
	ds_store_b64 v14, v[6:7]
	s_wait_storecnt_dscnt 0x0
	ds_load_b64 v[6:7], v13
	ds_load_b64 v[16:17], v10
	s_wait_dscnt 0x0
	v_pk_fma_f32 v[16:17], v[4:5], v[6:7], v[16:17] op_sel:[1,0,0] op_sel_hi:[0,0,1]
	s_delay_alu instid0(VALU_DEP_1)
	v_pk_fma_f32 v[4:5], v[4:5], v[6:7], v[16:17] op_sel:[0,1,0] neg_hi:[0,1,0]
	ds_store_b64 v10, v[4:5]
.LBB41_78:
	s_or_b32 exec_lo, exec_lo, s5
	s_delay_alu instid0(SALU_CYCLE_1)
	s_mov_b32 s1, exec_lo
	s_wait_storecnt_dscnt 0x0
	v_cmpx_eq_u32_e32 1, v9
	s_cbranch_execz .LBB41_86
; %bb.79:
	v_mov_b32_e32 v2, 0
	ds_load_2addr_b64 v[4:7], v2 offset0:64 offset1:70
	s_wait_dscnt 0x0
	v_readfirstlane_b32 s5, v6
	v_readfirstlane_b32 s12, v4
	;; [unrolled: 1-line block ×3, first 2 shown]
	s_sub_f32 s5, s12, s5
	v_readfirstlane_b32 s12, v7
	s_delay_alu instid0(SALU_CYCLE_2) | instskip(SKIP_4) | instid1(SALU_CYCLE_1)
	s_xor_b32 s15, s5, 0x80000000
	s_cmp_lt_f32 s5, 0
	s_sub_f32 s14, s13, s12
	s_mov_b32 s13, 0
	s_cselect_b32 s5, s15, s5
	s_xor_b32 s12, s14, 0x80000000
	s_cmp_lt_f32 s14, 0
	s_cselect_b32 s12, s12, s14
	s_delay_alu instid0(SALU_CYCLE_1)
	s_cmp_gt_f32 s5, s12
	s_cbranch_scc1 .LBB41_83
; %bb.80:
	s_cmp_eq_f32 s14, 0
	s_cbranch_scc1 .LBB41_82
; %bb.81:
	v_div_scale_f32 v2, null, s12, s12, s5
	v_div_scale_f32 v6, vcc_lo, s5, s12, s5
	s_delay_alu instid0(VALU_DEP_2)
	v_rcp_f32_e32 v4, v2
	v_nop
	v_xor_b32_e32 v2, 0x80000000, v2
	s_delay_alu instid0(TRANS32_DEP_1) | instid1(VALU_DEP_1)
	v_fma_f32 v5, v2, v4, 1.0
	s_delay_alu instid0(VALU_DEP_1) | instskip(NEXT) | instid1(VALU_DEP_1)
	v_fmac_f32_e32 v4, v5, v4
	v_mul_f32_e32 v5, v6, v4
	s_delay_alu instid0(VALU_DEP_1) | instskip(NEXT) | instid1(VALU_DEP_1)
	v_fma_f32 v7, v2, v5, v6
	v_fmac_f32_e32 v5, v7, v4
	s_delay_alu instid0(VALU_DEP_1) | instskip(NEXT) | instid1(VALU_DEP_1)
	v_fmac_f32_e32 v6, v2, v5
	v_div_fmas_f32 v2, v6, v4, v5
	s_delay_alu instid0(VALU_DEP_1) | instskip(NEXT) | instid1(VALU_DEP_1)
	v_div_fixup_f32 v2, v2, s12, s5
	v_readfirstlane_b32 s13, v2
	s_fmaak_f32 s13, s13, s13, 0x3f800000
	s_delay_alu instid0(SALU_CYCLE_3) | instskip(SKIP_1) | instid1(SALU_CYCLE_2)
	s_mul_f32 s14, s13, 0x4f800000
	s_cmp_lt_f32 s13, 0xf800000
	s_cselect_b32 s14, s14, s13
	s_delay_alu instid0(SALU_CYCLE_1) | instskip(SKIP_1) | instid1(TRANS32_DEP_1)
	v_s_sqrt_f32 s15, s14
	s_mov_b32 s17, s14
	s_add_co_i32 s16, s15, -1
	s_delay_alu instid0(SALU_CYCLE_1) | instskip(NEXT) | instid1(SALU_CYCLE_1)
	s_xor_b32 s18, s16, 0x80000000
	s_fmac_f32 s17, s18, s15
	s_mov_b32 s18, s14
	s_delay_alu instid0(SALU_CYCLE_2) | instskip(SKIP_2) | instid1(SALU_CYCLE_1)
	s_cmp_le_f32 s17, 0
	s_cselect_b32 s16, s16, s15
	s_add_co_i32 s17, s15, 1
	s_xor_b32 s19, s17, 0x80000000
	s_delay_alu instid0(SALU_CYCLE_1) | instskip(NEXT) | instid1(SALU_CYCLE_3)
	s_fmac_f32 s18, s19, s15
	s_cmp_gt_f32 s18, 0
	s_cselect_b32 s15, s17, s16
	s_cmp_lt_f32 s13, 0xf800000
	s_mul_f32 s13, s15, 0x37800000
	v_cmp_class_f32_e64 s16, s14, 0x260
	s_delay_alu instid0(SALU_CYCLE_2) | instskip(SKIP_2) | instid1(SALU_CYCLE_1)
	s_cselect_b32 s13, s13, s15
	s_and_b32 s15, s16, exec_lo
	s_cselect_b32 s13, s14, s13
	s_mul_f32 s13, s12, s13
.LBB41_82:
	s_cbranch_execz .LBB41_84
	s_branch .LBB41_85
.LBB41_83:
                                        ; implicit-def: $sgpr13
.LBB41_84:
	v_div_scale_f32 v2, null, s5, s5, s12
	v_div_scale_f32 v6, vcc_lo, s12, s5, s12
	s_delay_alu instid0(VALU_DEP_2)
	v_rcp_f32_e32 v4, v2
	v_nop
	v_xor_b32_e32 v2, 0x80000000, v2
	s_delay_alu instid0(TRANS32_DEP_1) | instid1(VALU_DEP_1)
	v_fma_f32 v5, v2, v4, 1.0
	s_delay_alu instid0(VALU_DEP_1) | instskip(NEXT) | instid1(VALU_DEP_1)
	v_fmac_f32_e32 v4, v5, v4
	v_mul_f32_e32 v5, v6, v4
	s_delay_alu instid0(VALU_DEP_1) | instskip(NEXT) | instid1(VALU_DEP_1)
	v_fma_f32 v7, v2, v5, v6
	v_fmac_f32_e32 v5, v7, v4
	s_delay_alu instid0(VALU_DEP_1) | instskip(NEXT) | instid1(VALU_DEP_1)
	v_fmac_f32_e32 v6, v2, v5
	v_div_fmas_f32 v2, v6, v4, v5
	s_delay_alu instid0(VALU_DEP_1) | instskip(NEXT) | instid1(VALU_DEP_1)
	v_div_fixup_f32 v2, v2, s5, s12
	v_readfirstlane_b32 s12, v2
	s_fmaak_f32 s12, s12, s12, 0x3f800000
	s_delay_alu instid0(SALU_CYCLE_3) | instskip(SKIP_1) | instid1(SALU_CYCLE_2)
	s_mul_f32 s13, s12, 0x4f800000
	s_cmp_lt_f32 s12, 0xf800000
	s_cselect_b32 s13, s13, s12
	s_delay_alu instid0(SALU_CYCLE_1) | instskip(SKIP_1) | instid1(TRANS32_DEP_1)
	v_s_sqrt_f32 s14, s13
	s_mov_b32 s16, s13
	s_add_co_i32 s15, s14, -1
	s_delay_alu instid0(SALU_CYCLE_1) | instskip(NEXT) | instid1(SALU_CYCLE_1)
	s_xor_b32 s17, s15, 0x80000000
	s_fmac_f32 s16, s17, s14
	s_mov_b32 s17, s13
	s_delay_alu instid0(SALU_CYCLE_2) | instskip(SKIP_2) | instid1(SALU_CYCLE_1)
	s_cmp_le_f32 s16, 0
	s_cselect_b32 s15, s15, s14
	s_add_co_i32 s16, s14, 1
	s_xor_b32 s18, s16, 0x80000000
	s_delay_alu instid0(SALU_CYCLE_1) | instskip(NEXT) | instid1(SALU_CYCLE_3)
	s_fmac_f32 s17, s18, s14
	s_cmp_gt_f32 s17, 0
	s_cselect_b32 s14, s16, s15
	s_cmp_lt_f32 s12, 0xf800000
	s_mul_f32 s12, s14, 0x37800000
	v_cmp_class_f32_e64 s15, s13, 0x260
	s_delay_alu instid0(SALU_CYCLE_2) | instskip(SKIP_2) | instid1(SALU_CYCLE_1)
	s_cselect_b32 s12, s12, s14
	s_and_b32 s14, s15, exec_lo
	s_cselect_b32 s12, s13, s12
	s_mul_f32 s13, s5, s12
.LBB41_85:
	s_delay_alu instid0(SALU_CYCLE_3) | instskip(SKIP_2) | instid1(SALU_CYCLE_1)
	s_mul_f32 s5, s13, 0x4f800000
	s_cmp_lt_f32 s13, 0xf800000
	v_mov_b32_e32 v5, 0
	s_cselect_b32 s5, s5, s13
	s_delay_alu instid0(SALU_CYCLE_1) | instskip(SKIP_1) | instid1(TRANS32_DEP_1)
	v_s_sqrt_f32 s12, s5
	s_mov_b32 s15, s5
	s_add_co_i32 s14, s12, -1
	s_delay_alu instid0(SALU_CYCLE_1) | instskip(NEXT) | instid1(SALU_CYCLE_1)
	s_xor_b32 s16, s14, 0x80000000
	s_fmac_f32 s15, s16, s12
	s_mov_b32 s16, s5
	s_delay_alu instid0(SALU_CYCLE_2) | instskip(SKIP_2) | instid1(SALU_CYCLE_1)
	s_cmp_le_f32 s15, 0
	s_cselect_b32 s14, s14, s12
	s_add_co_i32 s15, s12, 1
	s_xor_b32 s17, s15, 0x80000000
	s_delay_alu instid0(SALU_CYCLE_1) | instskip(SKIP_1) | instid1(SALU_CYCLE_2)
	s_fmac_f32 s16, s17, s12
	v_cmp_class_f32_e64 s12, s5, 0x260
	s_cmp_gt_f32 s16, 0
	s_cselect_b32 s14, s15, s14
	s_cmp_lt_f32 s13, 0xf800000
	s_mul_f32 s13, s14, 0x37800000
	s_delay_alu instid0(SALU_CYCLE_3) | instskip(SKIP_2) | instid1(SALU_CYCLE_1)
	s_cselect_b32 s13, s13, s14
	s_and_b32 s12, s12, exec_lo
	s_cselect_b32 s5, s5, s13
	v_mov_b32_e32 v4, s5
	ds_store_b64 v5, v[4:5] offset:512
.LBB41_86:
	s_or_b32 exec_lo, exec_lo, s1
	v_mov_b32_e32 v2, 0
	s_wait_dscnt 0x0
	ds_load_b64 v[4:5], v2 offset:512
	s_wait_dscnt 0x0
	v_readfirstlane_b32 s1, v4
	v_readfirstlane_b32 s5, v5
	s_cmp_neq_f32 s1, 0
	s_cselect_b32 s12, -1, 0
	s_cmp_neq_f32 s5, 0
	s_cselect_b32 s13, -1, 0
	s_delay_alu instid0(SALU_CYCLE_1) | instskip(NEXT) | instid1(SALU_CYCLE_1)
	s_or_b32 s12, s12, s13
	s_nor_b32 s13, s12, s0
	s_and_b32 s0, s12, exec_lo
	s_cselect_b32 s0, s1, 1.0
	s_cselect_b32 s1, s5, 0
	s_delay_alu instid0(SALU_CYCLE_1)
	v_dual_mov_b32 v2, s0 :: v_dual_mov_b32 v4, s1
	s_and_saveexec_b32 s0, s13
	s_cbranch_execz .LBB41_90
; %bb.87:
	v_mbcnt_lo_u32_b32 v2, exec_lo, 0
	s_mov_b32 s1, exec_lo
	s_delay_alu instid0(VALU_DEP_1)
	v_cmpx_eq_u32_e32 0, v2
	s_cbranch_execz .LBB41_89
; %bb.88:
	v_dual_mov_b32 v2, 0 :: v_dual_mov_b32 v4, s4
	global_atomic_min_i32 v2, v4, s[10:11] scope:SCOPE_DEV
.LBB41_89:
	s_wait_xcnt 0x0
	s_or_b32 exec_lo, exec_lo, s1
	v_dual_mov_b32 v4, 0 :: v_dual_mov_b32 v2, 1.0
.LBB41_90:
	s_or_b32 exec_lo, exec_lo, s0
	s_delay_alu instid0(SALU_CYCLE_1)
	s_mov_b32 s0, exec_lo
	v_cmpx_lt_u32_e32 1, v9
	s_cbranch_execz .LBB41_92
; %bb.91:
	v_mul_f32_e32 v15, v4, v4
	ds_load_b64 v[6:7], v14 offset:8
	ds_load_b64 v[16:17], v11 offset:8
	v_fmac_f32_e32 v15, v2, v2
	s_delay_alu instid0(VALU_DEP_1) | instskip(SKIP_1) | instid1(VALU_DEP_2)
	v_div_scale_f32 v5, null, v15, v15, 1.0
	v_div_scale_f32 v11, vcc_lo, 1.0, v15, 1.0
	v_rcp_f32_e32 v18, v5
	s_wait_dscnt 0x0
	v_pk_add_f32 v[6:7], v[6:7], v[16:17] op_sel:[1,1] op_sel_hi:[0,0] neg_lo:[0,1] neg_hi:[0,1]
	s_delay_alu instid0(TRANS32_DEP_1) | instskip(NEXT) | instid1(VALU_DEP_1)
	v_fma_f32 v19, -v5, v18, 1.0
	v_fmac_f32_e32 v18, v19, v18
	s_delay_alu instid0(VALU_DEP_1) | instskip(NEXT) | instid1(VALU_DEP_1)
	v_mul_f32_e32 v19, v11, v18
	v_fma_f32 v20, -v5, v19, v11
	s_delay_alu instid0(VALU_DEP_1) | instskip(NEXT) | instid1(VALU_DEP_1)
	v_fmac_f32_e32 v19, v20, v18
	v_fma_f32 v11, -v5, v19, v11
	v_pk_mul_f32 v[4:5], v[4:5], v[6:7] op_sel:[0,1] op_sel_hi:[0,0] neg_lo:[0,1]
	s_delay_alu instid0(VALU_DEP_2) | instskip(NEXT) | instid1(VALU_DEP_2)
	v_div_fmas_f32 v11, v11, v18, v19
	v_pk_fma_f32 v[4:5], v[6:7], v[2:3], v[4:5] op_sel_hi:[1,0,1]
	s_delay_alu instid0(VALU_DEP_2) | instskip(NEXT) | instid1(VALU_DEP_1)
	v_div_fixup_f32 v2, v11, v15, 1.0
	v_pk_mul_f32 v[4:5], v[2:3], v[4:5] op_sel_hi:[0,1]
	s_delay_alu instid0(VALU_DEP_1)
	v_dual_mov_b32 v6, v5 :: v_dual_mov_b32 v7, v4
	ds_store_b64 v14, v[6:7] offset:8
	s_wait_storecnt_dscnt 0x0
	ds_load_b64 v[6:7], v13 offset:8
	ds_load_b64 v[14:15], v10
	s_wait_dscnt 0x0
	v_pk_fma_f32 v[14:15], v[4:5], v[6:7], v[14:15] op_sel:[1,0,0] op_sel_hi:[0,0,1]
	s_delay_alu instid0(VALU_DEP_1)
	v_pk_fma_f32 v[4:5], v[4:5], v[6:7], v[14:15] op_sel:[0,1,0] neg_hi:[0,1,0]
	ds_store_b64 v10, v[4:5]
.LBB41_92:
	s_or_b32 exec_lo, exec_lo, s0
	s_wait_storecnt_dscnt 0x0
	ds_load_b64 v[2:3], v3
	s_mov_b32 s0, 0
	s_mov_b32 s1, exec_lo
	s_wait_dscnt 0x0
	global_store_b64 v[0:1], v[2:3], off
	s_wait_xcnt 0x0
	v_cmpx_eq_u32_e32 0, v12
	s_cbranch_execz .LBB41_94
; %bb.93:
	v_dual_mov_b32 v0, 0 :: v_dual_mov_b32 v1, 1
	s_add_nc_u64 s[4:5], s[6:7], s[2:3]
	global_wb scope:SCOPE_DEV
	s_wait_storecnt 0x0
	global_store_b32 v0, v1, s[4:5] scope:SCOPE_DEV
.LBB41_94:
	s_wait_xcnt 0x0
	s_or_b32 exec_lo, exec_lo, s1
	s_delay_alu instid0(SALU_CYCLE_1)
	s_and_b32 vcc_lo, exec_lo, s0
	s_cbranch_vccz .LBB41_16
.LBB41_95:
	v_or_b32_e32 v0, v8, v9
	s_mov_b32 s0, exec_lo
	s_delay_alu instid0(VALU_DEP_1)
	v_cmpx_eq_u32_e32 0, v0
	s_cbranch_execz .LBB41_16
; %bb.96:
	v_mbcnt_lo_u32_b32 v0, exec_lo, 0
	s_mov_b32 s0, exec_lo
	s_delay_alu instid0(VALU_DEP_1)
	v_cmpx_eq_u32_e32 0, v0
	s_cbranch_execz .LBB41_98
; %bb.97:
	s_add_co_i32 s1, s8, s9
	s_delay_alu instid0(SALU_CYCLE_1)
	v_dual_mov_b32 v0, 0 :: v_dual_mov_b32 v1, s1
	global_atomic_min_i32 v0, v1, s[10:11] scope:SCOPE_DEV
.LBB41_98:
	s_wait_xcnt 0x0
	s_or_b32 exec_lo, exec_lo, s0
	v_dual_mov_b32 v0, 0 :: v_dual_mov_b32 v1, 1
	s_add_nc_u64 s[0:1], s[6:7], s[2:3]
	global_wb scope:SCOPE_DEV
	s_wait_storecnt 0x0
	global_store_b32 v0, v1, s[0:1] scope:SCOPE_DEV
	s_endpgm
	.section	.rodata,"a",@progbits
	.p2align	6, 0x0
	.amdhsa_kernel _ZN9rocsparseL26bsric0_2_8_unrolled_kernelILi4ELi32ELi2E21rocsparse_complex_numIfEEEv20rocsparse_direction_iiPKiS5_PT2_S5_PiS5_S8_21rocsparse_index_base_
		.amdhsa_group_segment_fixed_size 576
		.amdhsa_private_segment_fixed_size 0
		.amdhsa_kernarg_size 76
		.amdhsa_user_sgpr_count 2
		.amdhsa_user_sgpr_dispatch_ptr 0
		.amdhsa_user_sgpr_queue_ptr 0
		.amdhsa_user_sgpr_kernarg_segment_ptr 1
		.amdhsa_user_sgpr_dispatch_id 0
		.amdhsa_user_sgpr_kernarg_preload_length 0
		.amdhsa_user_sgpr_kernarg_preload_offset 0
		.amdhsa_user_sgpr_private_segment_size 0
		.amdhsa_wavefront_size32 1
		.amdhsa_uses_dynamic_stack 0
		.amdhsa_enable_private_segment 0
		.amdhsa_system_sgpr_workgroup_id_x 1
		.amdhsa_system_sgpr_workgroup_id_y 0
		.amdhsa_system_sgpr_workgroup_id_z 0
		.amdhsa_system_sgpr_workgroup_info 0
		.amdhsa_system_vgpr_workitem_id 1
		.amdhsa_next_free_vgpr 42
		.amdhsa_next_free_sgpr 37
		.amdhsa_named_barrier_count 0
		.amdhsa_reserve_vcc 1
		.amdhsa_float_round_mode_32 0
		.amdhsa_float_round_mode_16_64 0
		.amdhsa_float_denorm_mode_32 3
		.amdhsa_float_denorm_mode_16_64 3
		.amdhsa_fp16_overflow 0
		.amdhsa_memory_ordered 1
		.amdhsa_forward_progress 1
		.amdhsa_inst_pref_size 55
		.amdhsa_round_robin_scheduling 0
		.amdhsa_exception_fp_ieee_invalid_op 0
		.amdhsa_exception_fp_denorm_src 0
		.amdhsa_exception_fp_ieee_div_zero 0
		.amdhsa_exception_fp_ieee_overflow 0
		.amdhsa_exception_fp_ieee_underflow 0
		.amdhsa_exception_fp_ieee_inexact 0
		.amdhsa_exception_int_div_zero 0
	.end_amdhsa_kernel
	.section	.text._ZN9rocsparseL26bsric0_2_8_unrolled_kernelILi4ELi32ELi2E21rocsparse_complex_numIfEEEv20rocsparse_direction_iiPKiS5_PT2_S5_PiS5_S8_21rocsparse_index_base_,"axG",@progbits,_ZN9rocsparseL26bsric0_2_8_unrolled_kernelILi4ELi32ELi2E21rocsparse_complex_numIfEEEv20rocsparse_direction_iiPKiS5_PT2_S5_PiS5_S8_21rocsparse_index_base_,comdat
.Lfunc_end41:
	.size	_ZN9rocsparseL26bsric0_2_8_unrolled_kernelILi4ELi32ELi2E21rocsparse_complex_numIfEEEv20rocsparse_direction_iiPKiS5_PT2_S5_PiS5_S8_21rocsparse_index_base_, .Lfunc_end41-_ZN9rocsparseL26bsric0_2_8_unrolled_kernelILi4ELi32ELi2E21rocsparse_complex_numIfEEEv20rocsparse_direction_iiPKiS5_PT2_S5_PiS5_S8_21rocsparse_index_base_
                                        ; -- End function
	.set _ZN9rocsparseL26bsric0_2_8_unrolled_kernelILi4ELi32ELi2E21rocsparse_complex_numIfEEEv20rocsparse_direction_iiPKiS5_PT2_S5_PiS5_S8_21rocsparse_index_base_.num_vgpr, 42
	.set _ZN9rocsparseL26bsric0_2_8_unrolled_kernelILi4ELi32ELi2E21rocsparse_complex_numIfEEEv20rocsparse_direction_iiPKiS5_PT2_S5_PiS5_S8_21rocsparse_index_base_.num_agpr, 0
	.set _ZN9rocsparseL26bsric0_2_8_unrolled_kernelILi4ELi32ELi2E21rocsparse_complex_numIfEEEv20rocsparse_direction_iiPKiS5_PT2_S5_PiS5_S8_21rocsparse_index_base_.numbered_sgpr, 37
	.set _ZN9rocsparseL26bsric0_2_8_unrolled_kernelILi4ELi32ELi2E21rocsparse_complex_numIfEEEv20rocsparse_direction_iiPKiS5_PT2_S5_PiS5_S8_21rocsparse_index_base_.num_named_barrier, 0
	.set _ZN9rocsparseL26bsric0_2_8_unrolled_kernelILi4ELi32ELi2E21rocsparse_complex_numIfEEEv20rocsparse_direction_iiPKiS5_PT2_S5_PiS5_S8_21rocsparse_index_base_.private_seg_size, 0
	.set _ZN9rocsparseL26bsric0_2_8_unrolled_kernelILi4ELi32ELi2E21rocsparse_complex_numIfEEEv20rocsparse_direction_iiPKiS5_PT2_S5_PiS5_S8_21rocsparse_index_base_.uses_vcc, 1
	.set _ZN9rocsparseL26bsric0_2_8_unrolled_kernelILi4ELi32ELi2E21rocsparse_complex_numIfEEEv20rocsparse_direction_iiPKiS5_PT2_S5_PiS5_S8_21rocsparse_index_base_.uses_flat_scratch, 0
	.set _ZN9rocsparseL26bsric0_2_8_unrolled_kernelILi4ELi32ELi2E21rocsparse_complex_numIfEEEv20rocsparse_direction_iiPKiS5_PT2_S5_PiS5_S8_21rocsparse_index_base_.has_dyn_sized_stack, 0
	.set _ZN9rocsparseL26bsric0_2_8_unrolled_kernelILi4ELi32ELi2E21rocsparse_complex_numIfEEEv20rocsparse_direction_iiPKiS5_PT2_S5_PiS5_S8_21rocsparse_index_base_.has_recursion, 0
	.set _ZN9rocsparseL26bsric0_2_8_unrolled_kernelILi4ELi32ELi2E21rocsparse_complex_numIfEEEv20rocsparse_direction_iiPKiS5_PT2_S5_PiS5_S8_21rocsparse_index_base_.has_indirect_call, 0
	.section	.AMDGPU.csdata,"",@progbits
; Kernel info:
; codeLenInByte = 6928
; TotalNumSgprs: 39
; NumVgprs: 42
; ScratchSize: 0
; MemoryBound: 0
; FloatMode: 240
; IeeeMode: 1
; LDSByteSize: 576 bytes/workgroup (compile time only)
; SGPRBlocks: 0
; VGPRBlocks: 2
; NumSGPRsForWavesPerEU: 39
; NumVGPRsForWavesPerEU: 42
; NamedBarCnt: 0
; Occupancy: 16
; WaveLimiterHint : 1
; COMPUTE_PGM_RSRC2:SCRATCH_EN: 0
; COMPUTE_PGM_RSRC2:USER_SGPR: 2
; COMPUTE_PGM_RSRC2:TRAP_HANDLER: 0
; COMPUTE_PGM_RSRC2:TGID_X_EN: 1
; COMPUTE_PGM_RSRC2:TGID_Y_EN: 0
; COMPUTE_PGM_RSRC2:TGID_Z_EN: 0
; COMPUTE_PGM_RSRC2:TIDIG_COMP_CNT: 1
	.section	.text._ZN9rocsparseL26bsric0_2_8_unrolled_kernelILi9ELi32ELi3E21rocsparse_complex_numIfEEEv20rocsparse_direction_iiPKiS5_PT2_S5_PiS5_S8_21rocsparse_index_base_,"axG",@progbits,_ZN9rocsparseL26bsric0_2_8_unrolled_kernelILi9ELi32ELi3E21rocsparse_complex_numIfEEEv20rocsparse_direction_iiPKiS5_PT2_S5_PiS5_S8_21rocsparse_index_base_,comdat
	.globl	_ZN9rocsparseL26bsric0_2_8_unrolled_kernelILi9ELi32ELi3E21rocsparse_complex_numIfEEEv20rocsparse_direction_iiPKiS5_PT2_S5_PiS5_S8_21rocsparse_index_base_ ; -- Begin function _ZN9rocsparseL26bsric0_2_8_unrolled_kernelILi9ELi32ELi3E21rocsparse_complex_numIfEEEv20rocsparse_direction_iiPKiS5_PT2_S5_PiS5_S8_21rocsparse_index_base_
	.p2align	8
	.type	_ZN9rocsparseL26bsric0_2_8_unrolled_kernelILi9ELi32ELi3E21rocsparse_complex_numIfEEEv20rocsparse_direction_iiPKiS5_PT2_S5_PiS5_S8_21rocsparse_index_base_,@function
_ZN9rocsparseL26bsric0_2_8_unrolled_kernelILi9ELi32ELi3E21rocsparse_complex_numIfEEEv20rocsparse_direction_iiPKiS5_PT2_S5_PiS5_S8_21rocsparse_index_base_: ; @_ZN9rocsparseL26bsric0_2_8_unrolled_kernelILi9ELi32ELi3E21rocsparse_complex_numIfEEEv20rocsparse_direction_iiPKiS5_PT2_S5_PiS5_S8_21rocsparse_index_base_
; %bb.0:
	s_load_b256 s[4:11], s[0:1], 0x28
	s_bfe_u32 s2, ttmp6, 0x4000c
	s_and_b32 s3, ttmp6, 15
	s_add_co_i32 s2, s2, 1
	s_getreg_b32 s12, hwreg(HW_REG_IB_STS2, 6, 4)
	s_mul_i32 s2, ttmp9, s2
	v_and_b32_e32 v8, 0x3ff, v0
	s_add_co_i32 s3, s3, s2
	s_cmp_eq_u32 s12, 0
	v_bfe_u32 v9, v0, 10, 10
	s_cselect_b32 s2, ttmp9, s3
	s_wait_kmcnt 0x0
	s_load_b32 s8, s[8:9], s2 offset:0x0 scale_offset
	s_wait_kmcnt 0x0
	s_ashr_i32 s9, s8, 31
	s_delay_alu instid0(SALU_CYCLE_1) | instskip(NEXT) | instid1(SALU_CYCLE_1)
	s_lshl_b64 s[2:3], s[8:9], 2
	s_add_nc_u64 s[12:13], s[4:5], s[2:3]
	s_load_b32 s26, s[12:13], 0x0
	s_load_b32 s9, s[0:1], 0x48
	s_wait_kmcnt 0x0
	s_cmp_lg_u32 s26, -1
	s_cbranch_scc0 .LBB42_71
; %bb.1:
	s_clause 0x1
	s_load_b128 s[12:15], s[0:1], 0x10
	s_load_b64 s[16:17], s[0:1], 0x20
	v_mad_u32_u24 v10, v9, 3, v8
	v_mul_u32_u24_e32 v15, 3, v9
	s_wait_kmcnt 0x0
	s_add_nc_u64 s[18:19], s[12:13], s[2:3]
	s_load_b32 s19, s[18:19], 0x0
	s_wait_xcnt 0x0
	s_mov_b32 s18, exec_lo
	s_wait_kmcnt 0x0
	s_sub_co_i32 s27, s19, s9
	s_delay_alu instid0(SALU_CYCLE_1) | instskip(NEXT) | instid1(VALU_DEP_1)
	v_add_nc_u32_e32 v0, s27, v10
	v_cmpx_ge_i32_e64 s26, v0
	s_cbranch_execz .LBB42_14
; %bb.2:
	v_add_nc_u32_e32 v1, s19, v8
	s_add_co_i32 s20, s26, 1
	s_mov_b32 s21, -1
	s_delay_alu instid0(VALU_DEP_1) | instskip(NEXT) | instid1(VALU_DEP_1)
	v_add_nc_u32_e32 v2, v1, v15
	v_subrev_nc_u32_e32 v2, s9, v2
	s_delay_alu instid0(VALU_DEP_1) | instskip(SKIP_1) | instid1(VALU_DEP_1)
	v_add_max_i32_e64 v2, v2, 9, s20
	s_mov_b32 s20, exec_lo
	v_add_nc_u32_e32 v2, s9, v2
	s_delay_alu instid0(VALU_DEP_1) | instskip(NEXT) | instid1(VALU_DEP_1)
	v_sub_nc_u32_e32 v1, v2, v1
	v_add_nc_u32_e32 v1, -9, v1
	s_delay_alu instid0(VALU_DEP_1) | instskip(SKIP_1) | instid1(VALU_DEP_1)
	v_cmp_ne_u32_e32 vcc_lo, v1, v15
	v_add_co_ci_u32_e64 v2, null, 0, v15, vcc_lo
	v_sub_nc_u32_e32 v1, v1, v2
	s_delay_alu instid0(VALU_DEP_1) | instskip(NEXT) | instid1(VALU_DEP_1)
	v_mul_hi_u32 v1, 0x38e38e39, v1
	v_lshrrev_b32_e32 v1, 1, v1
	s_delay_alu instid0(VALU_DEP_1) | instskip(NEXT) | instid1(VALU_DEP_1)
	v_add_co_ci_u32_e64 v4, null, 0, v1, vcc_lo
	v_cmpx_ne_u32_e32 0, v4
	s_cbranch_execz .LBB42_11
; %bb.3:
	v_add_nc_u32_e32 v1, -1, v4
	s_mov_b32 s21, exec_lo
	s_delay_alu instid0(VALU_DEP_1) | instskip(NEXT) | instid1(VALU_DEP_1)
	v_dual_lshrrev_b32 v2, 1, v1 :: v_dual_add_nc_u32 v1, 9, v0
	v_add_nc_u32_e32 v5, 1, v2
	s_delay_alu instid0(VALU_DEP_2)
	v_mov_b64_e32 v[2:3], v[0:1]
	v_cmpx_lt_u32_e32 14, v4
	s_cbranch_execz .LBB42_7
; %bb.4:
	v_mov_b64_e32 v[2:3], v[0:1]
	v_and_b32_e32 v6, -8, v5
	s_mov_b32 s22, 0
.LBB42_5:                               ; =>This Inner Loop Header: Depth=1
	s_clause 0x1
	global_load_b32 v1, v2, s[14:15] scale_offset
	global_load_b32 v7, v3, s[14:15] scale_offset
	v_add_nc_u32_e32 v18, 0x48, v3
	v_dual_add_nc_u32 v16, 54, v3 :: v_dual_add_nc_u32 v17, 54, v2
	v_dual_add_nc_u32 v13, 36, v3 :: v_dual_add_nc_u32 v14, 36, v2
	v_dual_add_nc_u32 v11, 18, v3 :: v_dual_add_nc_u32 v12, 18, v2
	v_add_nc_u32_e32 v19, 0x48, v2
	v_add_nc_u32_e32 v20, 0x5a, v3
	;; [unrolled: 1-line block ×7, first 2 shown]
	s_clause 0xd
	global_load_b32 v26, v18, s[14:15] scale_offset
	global_load_b32 v27, v16, s[14:15] scale_offset
	;; [unrolled: 1-line block ×14, first 2 shown]
	v_subrev_nc_u32_e32 v40, s27, v2
	v_subrev_nc_u32_e32 v41, s27, v3
	v_add_nc_u32_e32 v6, -8, v6
	s_wait_xcnt 0x9
	v_subrev_nc_u32_e32 v12, s27, v12
	v_subrev_nc_u32_e32 v11, s27, v11
	v_dual_lshlrev_b32 v40, 2, v40 :: v_dual_lshlrev_b32 v41, 2, v41
	s_wait_xcnt 0x8
	v_subrev_nc_u32_e32 v14, s27, v14
	v_subrev_nc_u32_e32 v13, s27, v13
	v_cmp_eq_u32_e32 vcc_lo, 0, v6
	s_wait_xcnt 0x7
	v_subrev_nc_u32_e32 v17, s27, v17
	v_add_nc_u32_e32 v3, 0x90, v3
	v_subrev_nc_u32_e32 v16, s27, v16
	v_subrev_nc_u32_e32 v18, s27, v18
	s_wait_xcnt 0x6
	v_subrev_nc_u32_e32 v19, s27, v19
	s_wait_xcnt 0x3
	;; [unrolled: 2-line block ×3, first 2 shown]
	v_subrev_nc_u32_e32 v21, s27, v21
	v_subrev_nc_u32_e32 v22, s27, v22
	s_wait_xcnt 0x1
	v_subrev_nc_u32_e32 v23, s27, v23
	v_subrev_nc_u32_e32 v24, s27, v24
	s_wait_xcnt 0x0
	v_subrev_nc_u32_e32 v25, s27, v25
	v_add_nc_u32_e32 v2, 0x90, v2
	v_dual_lshlrev_b32 v12, 2, v12 :: v_dual_lshlrev_b32 v11, 2, v11
	v_dual_lshlrev_b32 v14, 2, v14 :: v_dual_lshlrev_b32 v13, 2, v13
	v_lshlrev_b32_e32 v16, 2, v16
	s_or_b32 s22, vcc_lo, s22
	v_dual_lshlrev_b32 v17, 2, v17 :: v_dual_lshlrev_b32 v19, 2, v19
	v_dual_lshlrev_b32 v18, 2, v18 :: v_dual_lshlrev_b32 v21, 2, v21
	;; [unrolled: 1-line block ×4, first 2 shown]
	v_lshlrev_b32_e32 v24, 2, v24
	s_wait_loadcnt 0xf
	v_subrev_nc_u32_e32 v1, s9, v1
	s_wait_loadcnt 0xe
	v_subrev_nc_u32_e32 v7, s9, v7
	ds_store_b32 v40, v1 offset:256
	ds_store_b32 v41, v7 offset:256
	s_wait_loadcnt 0xa
	v_subrev_nc_u32_e32 v1, s9, v29
	s_wait_loadcnt 0x9
	v_subrev_nc_u32_e32 v7, s9, v30
	;; [unrolled: 2-line block ×3, first 2 shown]
	v_subrev_nc_u32_e32 v28, s9, v28
	s_wait_loadcnt 0x7
	v_subrev_nc_u32_e32 v30, s9, v32
	v_subrev_nc_u32_e32 v27, s9, v27
	;; [unrolled: 1-line block ×3, first 2 shown]
	s_wait_loadcnt 0x6
	v_subrev_nc_u32_e32 v31, s9, v33
	s_wait_loadcnt 0x3
	v_subrev_nc_u32_e32 v32, s9, v36
	;; [unrolled: 2-line block ×3, first 2 shown]
	v_subrev_nc_u32_e32 v35, s9, v35
	s_wait_loadcnt 0x1
	v_subrev_nc_u32_e32 v36, s9, v38
	v_subrev_nc_u32_e32 v34, s9, v34
	s_wait_loadcnt 0x0
	v_subrev_nc_u32_e32 v37, s9, v39
	ds_store_b32 v12, v7 offset:256
	ds_store_b32 v11, v1 offset:256
	;; [unrolled: 1-line block ×14, first 2 shown]
	s_and_not1_b32 exec_lo, exec_lo, s22
	s_cbranch_execnz .LBB42_5
; %bb.6:
	s_or_b32 exec_lo, exec_lo, s22
.LBB42_7:
	s_delay_alu instid0(SALU_CYCLE_1) | instskip(SKIP_3) | instid1(VALU_DEP_1)
	s_or_b32 exec_lo, exec_lo, s21
	v_and_b32_e32 v1, 7, v5
	s_mov_b32 s22, 0
	s_mov_b32 s21, exec_lo
	v_cmpx_ne_u32_e32 0, v1
	s_cbranch_execz .LBB42_10
; %bb.8:
	v_sub_nc_u32_e32 v1, 0, v1
.LBB42_9:                               ; =>This Inner Loop Header: Depth=1
	s_clause 0x1
	global_load_b32 v5, v3, s[14:15] scale_offset
	global_load_b32 v6, v2, s[14:15] scale_offset
	v_subrev_nc_u32_e32 v7, s27, v2
	v_subrev_nc_u32_e32 v11, s27, v3
	s_wait_xcnt 0x0
	v_dual_add_nc_u32 v3, 18, v3 :: v_dual_add_nc_u32 v2, 18, v2
	v_add_co_u32 v1, s23, v1, 1
	v_lshlrev_b32_e32 v7, 2, v7
	v_lshlrev_b32_e32 v11, 2, v11
	s_or_b32 s22, s23, s22
	s_wait_loadcnt 0x1
	v_subrev_nc_u32_e32 v5, s9, v5
	s_wait_loadcnt 0x0
	v_subrev_nc_u32_e32 v6, s9, v6
	ds_store_b32 v7, v6 offset:256
	ds_store_b32 v11, v5 offset:256
	s_and_not1_b32 exec_lo, exec_lo, s22
	s_cbranch_execnz .LBB42_9
.LBB42_10:
	s_or_b32 exec_lo, exec_lo, s21
	v_add_nc_u32_e32 v1, 1, v4
	s_delay_alu instid0(VALU_DEP_1) | instskip(NEXT) | instid1(VALU_DEP_1)
	v_and_b32_e32 v2, 0x7ffffffe, v1
	v_mad_u32 v0, v2, 9, v0
	v_cmp_ne_u32_e32 vcc_lo, v1, v2
	s_or_not1_b32 s21, vcc_lo, exec_lo
.LBB42_11:
	s_or_b32 exec_lo, exec_lo, s20
	s_delay_alu instid0(SALU_CYCLE_1)
	s_and_b32 exec_lo, exec_lo, s21
	s_cbranch_execz .LBB42_14
; %bb.12:
	s_delay_alu instid0(VALU_DEP_2) | instskip(NEXT) | instid1(VALU_DEP_1)
	v_add_nc_u32_e32 v1, s9, v0
	v_subrev_nc_u32_e32 v2, s19, v1
	v_ashrrev_i32_e32 v1, 31, v0
	s_mov_b32 s19, 0
	s_delay_alu instid0(VALU_DEP_2) | instskip(NEXT) | instid1(VALU_DEP_2)
	v_lshl_add_u32 v4, v2, 2, 0x100
	v_lshl_add_u64 v[2:3], v[0:1], 2, s[14:15]
.LBB42_13:                              ; =>This Inner Loop Header: Depth=1
	global_load_b32 v1, v[2:3], off
	v_add_nc_u32_e32 v0, 9, v0
	s_wait_xcnt 0x0
	v_add_nc_u64_e32 v[2:3], 36, v[2:3]
	s_delay_alu instid0(VALU_DEP_2)
	v_cmp_lt_i32_e32 vcc_lo, s26, v0
	s_or_b32 s19, vcc_lo, s19
	s_wait_loadcnt 0x0
	v_subrev_nc_u32_e32 v1, s9, v1
	ds_store_b32 v4, v1
	v_add_nc_u32_e32 v4, 36, v4
	s_and_not1_b32 exec_lo, exec_lo, s19
	s_cbranch_execnz .LBB42_13
.LBB42_14:
	s_or_b32 exec_lo, exec_lo, s18
	s_load_b32 s1, s[0:1], 0x0
	v_lshl_add_u32 v14, v9, 5, 0x2a0
	v_mov_b64_e32 v[0:1], 0
	v_mad_u32_u24 v11, v8, 3, v9
	v_lshl_add_u32 v13, v8, 5, 0x240
	s_cmp_ge_i32 s27, s26
	v_lshl_add_u32 v12, v8, 3, v14
	ds_store_b64 v12, v[0:1]
	s_wait_dscnt 0x0
	s_cbranch_scc1 .LBB42_64
; %bb.15:
	v_dual_lshlrev_b32 v0, 5, v9 :: v_dual_lshlrev_b32 v2, 3, v8
	s_wait_kmcnt 0x0
	s_cmp_lg_u32 s1, 0
	v_mad_u32_u24 v1, v8, 3, v9
	s_cselect_b32 s28, -1, 0
	s_cmp_eq_u32 s1, 0
	v_add3_u32 v19, v0, v2, 0x180
	v_add_nc_u32_e32 v21, 0x1e0, v0
	s_cselect_b32 vcc_lo, -1, 0
	v_dual_cndmask_b32 v26, v1, v10 :: v_dual_add_nc_u32 v17, 0x240, v0
	v_dual_add_nc_u32 v22, 3, v9 :: v_dual_bitop2_b32 v0, v8, v9 bitop3:0x54
	v_mul_u32_u24_e32 v16, 3, v8
	s_delay_alu instid0(VALU_DEP_3)
	v_dual_add_nc_u32 v18, 3, v8 :: v_dual_add_nc_u32 v20, v17, v2
	v_dual_add_nc_u32 v23, 6, v8 :: v_dual_add_nc_u32 v24, 6, v9
	v_dual_add_nc_u32 v25, v21, v2 :: v_dual_mov_b32 v27, 0
	v_cmp_ne_u32_e64 s0, 0, v0
	s_mov_b32 s18, s27
	s_branch .LBB42_19
.LBB42_16:                              ;   in Loop: Header=BB42_19 Depth=1
	s_wait_xcnt 0x0
	s_or_b32 exec_lo, exec_lo, s21
	v_dual_mov_b32 v6, 0 :: v_dual_mov_b32 v4, 1.0
.LBB42_17:                              ;   in Loop: Header=BB42_19 Depth=1
	s_or_b32 exec_lo, exec_lo, s20
	ds_load_b128 v[28:31], v27 offset:448
	ds_load_b128 v[32:35], v17
	ds_load_b64 v[36:37], v21 offset:16
	v_mul_f32_e32 v5, v6, v6
	s_add_co_i32 s18, s18, 1
	s_delay_alu instid0(SALU_CYCLE_1)
	s_cmp_ge_i32 s18, s26
	s_cselect_b32 s24, -1, 0
	s_wait_dscnt 0x2
	v_dual_mov_b32 v38, v31 :: v_dual_fmac_f32 v5, v4, v4
	s_wait_dscnt 0x0
	v_pk_fma_f32 v[36:37], v[28:29], v[32:33], v[36:37] op_sel_hi:[1,0,1]
	s_delay_alu instid0(VALU_DEP_2) | instskip(NEXT) | instid1(VALU_DEP_2)
	v_div_scale_f32 v7, null, v5, v5, 1.0
	v_pk_fma_f32 v[28:29], v[28:29], v[32:33], v[36:37] op_sel:[0,1,1] op_sel_hi:[1,1,0] neg_lo:[0,1,0]
	s_delay_alu instid0(VALU_DEP_2) | instskip(SKIP_1) | instid1(TRANS32_DEP_1)
	v_rcp_f32_e32 v40, v7
	v_nop
	v_fma_f32 v39, -v7, v40, 1.0
	s_delay_alu instid0(VALU_DEP_1) | instskip(SKIP_2) | instid1(VALU_DEP_3)
	v_dual_fmac_f32 v40, v39, v40 :: v_dual_mov_b32 v39, v30
	v_div_scale_f32 v41, vcc_lo, 1.0, v5, 1.0
	v_mov_b32_e32 v32, v35
	v_pk_fma_f32 v[28:29], v[38:39], v[34:35], v[28:29] op_sel_hi:[1,0,1]
	s_delay_alu instid0(VALU_DEP_3) | instskip(SKIP_1) | instid1(VALU_DEP_2)
	v_dual_mov_b32 v35, v2 :: v_dual_mul_f32 v33, v41, v40
	v_mov_b32_e32 v34, v3
	v_fma_f32 v36, -v7, v33, v41
	s_delay_alu instid0(VALU_DEP_4) | instskip(NEXT) | instid1(VALU_DEP_2)
	v_pk_fma_f32 v[2:3], v[30:31], v[32:33], v[28:29] op_sel_hi:[1,0,1] neg_lo:[0,1,0]
	v_fmac_f32_e32 v33, v36, v40
	s_delay_alu instid0(VALU_DEP_2) | instskip(NEXT) | instid1(VALU_DEP_2)
	v_pk_add_f32 v[2:3], v[34:35], v[2:3] neg_lo:[0,1] neg_hi:[0,1]
	v_fma_f32 v28, -v7, v33, v41
	s_delay_alu instid0(VALU_DEP_2) | instskip(NEXT) | instid1(VALU_DEP_2)
	v_pk_mul_f32 v[6:7], v[6:7], v[2:3] op_sel:[0,1] op_sel_hi:[0,0] neg_lo:[0,1]
	v_div_fmas_f32 v28, v28, v40, v33
	s_delay_alu instid0(VALU_DEP_2) | instskip(NEXT) | instid1(VALU_DEP_2)
	v_pk_fma_f32 v[2:3], v[2:3], v[4:5], v[6:7] op_sel_hi:[1,0,1]
	v_div_fixup_f32 v4, v28, v5, 1.0
	s_delay_alu instid0(VALU_DEP_1) | instskip(NEXT) | instid1(VALU_DEP_1)
	v_pk_mul_f32 v[2:3], v[4:5], v[2:3] op_sel_hi:[0,1]
	v_dual_mov_b32 v4, v3 :: v_dual_mov_b32 v5, v2
	ds_store_b64 v17, v[4:5] offset:16
	s_wait_storecnt_dscnt 0x0
	ds_load_b64 v[4:5], v13 offset:16
	ds_load_b64 v[6:7], v12
	s_wait_dscnt 0x0
	v_pk_fma_f32 v[6:7], v[2:3], v[4:5], v[6:7] op_sel:[1,0,0] op_sel_hi:[0,0,1]
	s_delay_alu instid0(VALU_DEP_1)
	v_pk_fma_f32 v[2:3], v[2:3], v[4:5], v[6:7] op_sel:[0,1,0] neg_hi:[0,1,0]
	ds_store_b64 v12, v[2:3]
	s_wait_dscnt 0x0
	ds_load_b64 v[2:3], v20
	s_wait_dscnt 0x0
	global_store_b64 v[0:1], v[2:3], off
	global_wb scope:SCOPE_DEV
	s_wait_storecnt 0x0
	global_inv scope:SCOPE_DEV
.LBB42_18:                              ;   in Loop: Header=BB42_19 Depth=1
	s_and_b32 vcc_lo, exec_lo, s24
	s_cbranch_vccnz .LBB42_64
.LBB42_19:                              ; =>This Loop Header: Depth=1
                                        ;     Child Loop BB42_22 Depth 2
                                        ;     Child Loop BB42_33 Depth 2
	;; [unrolled: 1-line block ×3, first 2 shown]
	s_ashr_i32 s19, s18, 31
	s_delay_alu instid0(SALU_CYCLE_1) | instskip(NEXT) | instid1(SALU_CYCLE_1)
	s_lshl_b64 s[20:21], s[18:19], 2
	s_add_nc_u64 s[20:21], s[14:15], s[20:21]
	s_load_b32 s19, s[20:21], 0x0
	s_wait_kmcnt 0x0
	s_sub_co_i32 s22, s19, s9
	s_delay_alu instid0(SALU_CYCLE_1) | instskip(SKIP_2) | instid1(SALU_CYCLE_1)
	s_ashr_i32 s23, s22, 31
	s_wait_xcnt 0x0
	s_lshl_b64 s[20:21], s[22:23], 2
	s_add_nc_u64 s[24:25], s[4:5], s[20:21]
	s_load_b32 s23, s[24:25], 0x0
	s_wait_xcnt 0x0
	s_mov_b32 s24, -1
	s_wait_kmcnt 0x0
	s_cmp_eq_u32 s23, -1
	s_cbranch_scc1 .LBB42_18
; %bb.20:                               ;   in Loop: Header=BB42_19 Depth=1
	v_mad_u32 v0, s18, 9, v26
	s_add_nc_u64 s[24:25], s[12:13], s[20:21]
	ds_load_b32 v1, v27 offset:256
	s_load_b32 s24, s[24:25], 0x0
	global_load_b64 v[2:3], v0, s[16:17] scale_offset
	s_wait_dscnt 0x0
	v_cmp_ge_i32_e32 vcc_lo, s22, v1
	s_wait_kmcnt 0x0
	s_sub_co_i32 s24, s24, s9
	s_delay_alu instid0(SALU_CYCLE_1) | instskip(SKIP_1) | instid1(SALU_CYCLE_1)
	s_cmp_le_i32 s24, s23
	s_cselect_b32 s25, -1, 0
	s_and_b32 s25, s25, vcc_lo
	s_delay_alu instid0(SALU_CYCLE_1)
	s_and_not1_b32 vcc_lo, exec_lo, s25
	s_mov_b32 s25, 0
	s_wait_loadcnt 0x0
	ds_store_b64 v20, v[2:3]
	s_cbranch_vccnz .LBB42_32
; %bb.21:                               ;   in Loop: Header=BB42_19 Depth=1
	s_mov_b32 s29, 0
	s_mov_b32 s30, 0
.LBB42_22:                              ;   Parent Loop BB42_19 Depth=1
                                        ; =>  This Inner Loop Header: Depth=2
	s_ashr_i32 s25, s24, 31
	s_lshl_b32 s31, s30, 2
	s_lshl_b64 s[34:35], s[24:25], 2
	v_mov_b32_e32 v1, s31
	s_add_nc_u64 s[34:35], s[14:15], s[34:35]
                                        ; implicit-def: $sgpr33
	s_load_b32 s25, s[34:35], 0x0
	s_wait_xcnt 0x0
	s_mov_b32 s35, -1
	ds_load_b32 v1, v1 offset:256
                                        ; implicit-def: $sgpr34
	s_wait_kmcnt 0x0
	s_sub_co_i32 s36, s25, s9
                                        ; implicit-def: $sgpr25
	s_wait_dscnt 0x0
	v_readfirstlane_b32 s31, v1
	v_cmp_ge_i32_e32 vcc_lo, s36, v1
	s_cbranch_vccz .LBB42_28
; %bb.23:                               ;   in Loop: Header=BB42_22 Depth=2
	s_cmp_le_i32 s36, s31
                                        ; implicit-def: $sgpr25
                                        ; implicit-def: $sgpr34
                                        ; implicit-def: $sgpr33
	s_cbranch_scc0 .LBB42_25
; %bb.24:                               ;   in Loop: Header=BB42_22 Depth=2
	s_add_co_i32 s25, s30, s27
	s_lshl_b32 s33, s29, 2
	s_mul_i32 s25, s25, 9
	s_delay_alu instid0(SALU_CYCLE_1)
	v_dual_mov_b32 v1, s33 :: v_dual_mov_b32 v2, s25
	s_mul_i32 s33, s24, 9
	s_add_co_i32 s34, s24, 1
	v_mov_b32_e32 v3, s33
	s_add_co_i32 s33, s30, 1
	s_add_co_i32 s25, s29, 1
	s_mov_b32 s35, 0
	ds_store_2addr_b32 v1, v3, v2 offset1:32
.LBB42_25:                              ;   in Loop: Header=BB42_22 Depth=2
	s_and_not1_b32 vcc_lo, exec_lo, s35
	s_cbranch_vccnz .LBB42_27
; %bb.26:                               ;   in Loop: Header=BB42_22 Depth=2
	s_add_co_i32 s33, s30, 1
	s_mov_b32 s25, s29
	s_mov_b32 s34, s24
.LBB42_27:                              ;   in Loop: Header=BB42_22 Depth=2
	s_mov_b32 s35, 0
.LBB42_28:                              ;   in Loop: Header=BB42_22 Depth=2
	s_delay_alu instid0(SALU_CYCLE_1)
	s_and_not1_b32 vcc_lo, exec_lo, s35
	s_cbranch_vccnz .LBB42_30
; %bb.29:                               ;   in Loop: Header=BB42_22 Depth=2
	s_add_co_i32 s34, s24, 1
	s_mov_b32 s33, s30
	s_mov_b32 s25, s29
.LBB42_30:                              ;   in Loop: Header=BB42_22 Depth=2
	s_cmp_le_i32 s34, s23
	s_cselect_b32 s24, -1, 0
	s_cmp_le_i32 s31, s22
	s_cselect_b32 s29, -1, 0
	s_delay_alu instid0(SALU_CYCLE_1) | instskip(NEXT) | instid1(SALU_CYCLE_1)
	s_and_b32 s24, s24, s29
	s_and_b32 vcc_lo, exec_lo, s24
	s_cbranch_vccz .LBB42_32
; %bb.31:                               ;   in Loop: Header=BB42_22 Depth=2
	s_mov_b32 s29, s25
	s_mov_b32 s24, s34
	;; [unrolled: 1-line block ×3, first 2 shown]
	s_branch .LBB42_22
.LBB42_32:                              ;   in Loop: Header=BB42_19 Depth=1
	v_ashrrev_i32_e32 v1, 31, v0
	s_add_nc_u64 s[20:21], s[6:7], s[20:21]
	s_wait_dscnt 0x0
	s_wait_xcnt 0x0
	s_delay_alu instid0(VALU_DEP_1)
	v_lshl_add_u64 v[0:1], v[0:1], 3, s[16:17]
.LBB42_33:                              ;   Parent Loop BB42_19 Depth=1
                                        ; =>  This Inner Loop Header: Depth=2
	global_load_b32 v2, v27, s[20:21] scope:SCOPE_DEV
	s_wait_loadcnt 0x0
	v_cmp_eq_u32_e32 vcc_lo, 0, v2
	s_cbranch_vccnz .LBB42_33
; %bb.34:                               ;   in Loop: Header=BB42_19 Depth=1
	v_mad_u32 v2, s23, 9, v26
	global_inv scope:SCOPE_DEV
	v_mov_b32_e32 v3, 0
	s_cmp_lt_i32 s25, 2
	global_load_b64 v[4:5], v2, s[16:17] scale_offset
	s_wait_xcnt 0x0
	v_mov_b32_e32 v2, 0
	s_wait_loadcnt 0x0
	ds_store_b64 v19, v[4:5]
	s_wait_dscnt 0x0
	s_cbranch_scc1 .LBB42_53
; %bb.35:                               ;   in Loop: Header=BB42_19 Depth=1
	s_add_co_i32 s20, s25, -1
	s_cmp_eq_u32 s25, 2
	s_cbranch_scc1 .LBB42_46
; %bb.36:                               ;   in Loop: Header=BB42_19 Depth=1
	v_mov_b32_e32 v2, 0
	s_and_b32 s21, s20, -2
	s_mov_b32 s22, 0
	s_mov_b32 s23, 0
	s_delay_alu instid0(VALU_DEP_1)
	v_mov_b32_e32 v3, v2
	s_branch .LBB42_38
.LBB42_37:                              ;   in Loop: Header=BB42_38 Depth=2
	s_add_co_i32 s23, s23, 2
	s_add_co_i32 s22, s22, 8
	s_cmp_eq_u32 s21, s23
	s_cbranch_scc1 .LBB42_47
.LBB42_38:                              ;   Parent Loop BB42_19 Depth=1
                                        ; =>  This Inner Loop Header: Depth=2
	v_mov_b32_e32 v4, s22
	s_and_b32 vcc_lo, exec_lo, s28
	s_mov_b32 s24, -1
	s_wait_dscnt 0x0
	ds_load_2addr_b32 v[6:7], v4 offset1:32
                                        ; implicit-def: $vgpr4_vgpr5
	s_cbranch_vccz .LBB42_40
; %bb.39:                               ;   in Loop: Header=BB42_38 Depth=2
	s_wait_dscnt 0x0
	v_dual_add_nc_u32 v32, v7, v9 :: v_dual_add_nc_u32 v33, v18, v6
	v_dual_add_nc_u32 v34, v6, v8 :: v_dual_add_nc_u32 v38, v24, v7
	s_mov_b32 s24, 0
	s_clause 0x2
	global_load_b64 v[4:5], v32, s[16:17] scale_offset
	global_load_b64 v[28:29], v33, s[16:17] scale_offset
	;; [unrolled: 1-line block ×3, first 2 shown]
	s_wait_xcnt 0x2
	v_dual_add_nc_u32 v32, v22, v7 :: v_dual_add_nc_u32 v39, v23, v6
	s_clause 0x2
	global_load_b64 v[32:33], v32, s[16:17] scale_offset
	global_load_b64 v[34:35], v38, s[16:17] scale_offset
	;; [unrolled: 1-line block ×3, first 2 shown]
	s_wait_loadcnt 0x3
	s_wait_xcnt 0x0
	v_pk_fma_f32 v[38:39], v[30:31], v[4:5], v[2:3] op_sel_hi:[1,0,1]
	s_delay_alu instid0(VALU_DEP_1) | instskip(SKIP_1) | instid1(VALU_DEP_1)
	v_pk_fma_f32 v[4:5], v[30:31], v[4:5], v[38:39] op_sel:[1,1,0] op_sel_hi:[0,1,1] neg_hi:[0,1,0]
	s_wait_loadcnt 0x2
	v_pk_fma_f32 v[4:5], v[28:29], v[32:33], v[4:5] op_sel_hi:[1,0,1]
	s_delay_alu instid0(VALU_DEP_1) | instskip(SKIP_1) | instid1(VALU_DEP_1)
	v_pk_fma_f32 v[4:5], v[28:29], v[32:33], v[4:5] op_sel:[1,1,0] op_sel_hi:[0,1,1] neg_hi:[0,1,0]
	s_wait_loadcnt 0x0
	v_pk_fma_f32 v[4:5], v[36:37], v[34:35], v[4:5] op_sel_hi:[1,0,1]
	s_delay_alu instid0(VALU_DEP_1)
	v_pk_fma_f32 v[4:5], v[36:37], v[34:35], v[4:5] op_sel:[1,1,0] op_sel_hi:[0,1,1] neg_hi:[0,1,0]
.LBB42_40:                              ;   in Loop: Header=BB42_38 Depth=2
	s_and_not1_b32 vcc_lo, exec_lo, s24
	s_cbranch_vccnz .LBB42_42
; %bb.41:                               ;   in Loop: Header=BB42_38 Depth=2
	s_wait_dscnt 0x0
	v_dual_add_nc_u32 v32, v6, v16 :: v_dual_add_nc_u32 v34, v7, v15
	s_delay_alu instid0(VALU_DEP_1) | instskip(NEXT) | instid1(VALU_DEP_1)
	v_dual_ashrrev_i32 v33, 31, v32 :: v_dual_ashrrev_i32 v35, 31, v34
	v_lshl_add_u64 v[36:37], v[32:33], 3, s[16:17]
	s_delay_alu instid0(VALU_DEP_2)
	v_lshl_add_u64 v[38:39], v[34:35], 3, s[16:17]
	s_clause 0x3
	global_load_b128 v[4:7], v[36:37], off
	global_load_b128 v[28:31], v[38:39], off
	global_load_b64 v[40:41], v34, s[16:17] offset:16 scale_offset
	global_load_b64 v[42:43], v32, s[16:17] offset:16 scale_offset
	s_wait_loadcnt 0x2
	v_pk_fma_f32 v[2:3], v[4:5], v[28:29], v[2:3] op_sel_hi:[1,0,1]
	s_delay_alu instid0(VALU_DEP_1) | instskip(SKIP_1) | instid1(VALU_DEP_2)
	v_pk_fma_f32 v[2:3], v[4:5], v[28:29], v[2:3] op_sel:[1,1,0] op_sel_hi:[0,1,1] neg_hi:[0,1,0]
	v_dual_mov_b32 v4, v7 :: v_dual_mov_b32 v5, v6
	v_pk_fma_f32 v[2:3], v[6:7], v[30:31], v[2:3] op_sel_hi:[1,0,1]
	v_mov_b32_e32 v6, v31
	s_delay_alu instid0(VALU_DEP_1) | instskip(SKIP_1) | instid1(VALU_DEP_1)
	v_pk_fma_f32 v[2:3], v[4:5], v[6:7], v[2:3] op_sel_hi:[1,0,1] neg_hi:[0,1,0]
	s_wait_loadcnt 0x0
	v_pk_fma_f32 v[2:3], v[42:43], v[40:41], v[2:3] op_sel_hi:[1,0,1]
	s_delay_alu instid0(VALU_DEP_1)
	v_pk_fma_f32 v[4:5], v[42:43], v[40:41], v[2:3] op_sel:[1,1,0] op_sel_hi:[0,1,1] neg_hi:[0,1,0]
.LBB42_42:                              ;   in Loop: Header=BB42_38 Depth=2
	v_mov_b32_e32 v2, s22
	s_and_not1_b32 vcc_lo, exec_lo, s28
	s_mov_b32 s24, -1
	s_wait_dscnt 0x0
	ds_load_2addr_b32 v[6:7], v2 offset0:1 offset1:33
                                        ; implicit-def: $vgpr3
	s_cbranch_vccnz .LBB42_44
; %bb.43:                               ;   in Loop: Header=BB42_38 Depth=2
	s_wait_dscnt 0x0
	v_dual_add_nc_u32 v32, v7, v9 :: v_dual_add_nc_u32 v33, v18, v6
	v_dual_add_nc_u32 v34, v6, v8 :: v_dual_add_nc_u32 v38, v24, v7
	s_mov_b32 s24, 0
	s_clause 0x2
	global_load_b64 v[2:3], v32, s[16:17] scale_offset
	global_load_b64 v[28:29], v33, s[16:17] scale_offset
	;; [unrolled: 1-line block ×3, first 2 shown]
	s_wait_xcnt 0x2
	v_dual_add_nc_u32 v32, v22, v7 :: v_dual_add_nc_u32 v39, v23, v6
	s_clause 0x2
	global_load_b64 v[32:33], v32, s[16:17] scale_offset
	global_load_b64 v[34:35], v38, s[16:17] scale_offset
	;; [unrolled: 1-line block ×3, first 2 shown]
	s_wait_loadcnt 0x3
	s_wait_xcnt 0x0
	v_pk_fma_f32 v[38:39], v[30:31], v[2:3], v[4:5] op_sel_hi:[1,0,1]
	s_delay_alu instid0(VALU_DEP_1) | instskip(SKIP_1) | instid1(VALU_DEP_1)
	v_pk_fma_f32 v[2:3], v[30:31], v[2:3], v[38:39] op_sel:[1,1,0] op_sel_hi:[0,1,1] neg_hi:[0,1,0]
	s_wait_loadcnt 0x2
	v_pk_fma_f32 v[2:3], v[28:29], v[32:33], v[2:3] op_sel_hi:[1,0,1]
	s_delay_alu instid0(VALU_DEP_1) | instskip(SKIP_1) | instid1(VALU_DEP_1)
	v_pk_fma_f32 v[2:3], v[28:29], v[32:33], v[2:3] op_sel:[1,1,0] op_sel_hi:[0,1,1] neg_hi:[0,1,0]
	s_wait_loadcnt 0x0
	v_pk_fma_f32 v[2:3], v[36:37], v[34:35], v[2:3] op_sel_hi:[1,0,1]
	s_delay_alu instid0(VALU_DEP_1)
	v_pk_fma_f32 v[2:3], v[36:37], v[34:35], v[2:3] op_sel:[1,1,0] op_sel_hi:[0,1,1] neg_hi:[0,1,0]
.LBB42_44:                              ;   in Loop: Header=BB42_38 Depth=2
	s_and_not1_b32 vcc_lo, exec_lo, s24
	s_cbranch_vccnz .LBB42_37
; %bb.45:                               ;   in Loop: Header=BB42_38 Depth=2
	s_wait_dscnt 0x0
	v_dual_add_nc_u32 v2, v6, v16 :: v_dual_add_nc_u32 v6, v7, v15
	s_delay_alu instid0(VALU_DEP_1) | instskip(NEXT) | instid1(VALU_DEP_2)
	v_ashrrev_i32_e32 v3, 31, v2
	v_ashrrev_i32_e32 v7, 31, v6
	s_delay_alu instid0(VALU_DEP_2) | instskip(NEXT) | instid1(VALU_DEP_2)
	v_lshl_add_u64 v[36:37], v[2:3], 3, s[16:17]
	v_lshl_add_u64 v[38:39], v[6:7], 3, s[16:17]
	s_clause 0x3
	global_load_b128 v[28:31], v[36:37], off
	global_load_b128 v[32:35], v[38:39], off
	global_load_b64 v[40:41], v6, s[16:17] offset:16 scale_offset
	global_load_b64 v[42:43], v2, s[16:17] offset:16 scale_offset
	s_wait_loadcnt 0x2
	s_wait_xcnt 0x0
	v_pk_fma_f32 v[2:3], v[28:29], v[32:33], v[4:5] op_sel_hi:[1,0,1]
	v_dual_mov_b32 v4, v31 :: v_dual_mov_b32 v5, v30
	v_mov_b32_e32 v6, v35
	s_delay_alu instid0(VALU_DEP_3) | instskip(NEXT) | instid1(VALU_DEP_1)
	v_pk_fma_f32 v[2:3], v[28:29], v[32:33], v[2:3] op_sel:[1,1,0] op_sel_hi:[0,1,1] neg_hi:[0,1,0]
	v_pk_fma_f32 v[2:3], v[30:31], v[34:35], v[2:3] op_sel_hi:[1,0,1]
	s_delay_alu instid0(VALU_DEP_1) | instskip(SKIP_1) | instid1(VALU_DEP_1)
	v_pk_fma_f32 v[2:3], v[4:5], v[6:7], v[2:3] op_sel_hi:[1,0,1] neg_hi:[0,1,0]
	s_wait_loadcnt 0x0
	v_pk_fma_f32 v[2:3], v[42:43], v[40:41], v[2:3] op_sel_hi:[1,0,1]
	s_delay_alu instid0(VALU_DEP_1)
	v_pk_fma_f32 v[2:3], v[42:43], v[40:41], v[2:3] op_sel:[1,1,0] op_sel_hi:[0,1,1] neg_hi:[0,1,0]
	s_branch .LBB42_37
.LBB42_46:                              ;   in Loop: Header=BB42_19 Depth=1
	v_mov_b32_e32 v3, 0
	s_mov_b32 s21, 0
	s_delay_alu instid0(VALU_DEP_1)
	v_mov_b32_e32 v2, v3
.LBB42_47:                              ;   in Loop: Header=BB42_19 Depth=1
	s_bitcmp0_b32 s20, 0
	s_cbranch_scc1 .LBB42_53
; %bb.48:                               ;   in Loop: Header=BB42_19 Depth=1
	s_lshl_b32 s20, s21, 2
	s_and_not1_b32 vcc_lo, exec_lo, s28
	v_mov_b32_e32 v4, s20
	s_mov_b32 s20, -1
                                        ; implicit-def: $vgpr7
	ds_load_2addr_b32 v[4:5], v4 offset1:32
	s_cbranch_vccnz .LBB42_50
; %bb.49:                               ;   in Loop: Header=BB42_19 Depth=1
	s_wait_dscnt 0x0
	v_dual_add_nc_u32 v32, v5, v9 :: v_dual_add_nc_u32 v33, v18, v4
	v_add_nc_u32_e32 v34, v4, v8
	v_dual_add_nc_u32 v38, v24, v5 :: v_dual_add_nc_u32 v39, v23, v4
	s_clause 0x2
	global_load_b64 v[6:7], v32, s[16:17] scale_offset
	global_load_b64 v[28:29], v33, s[16:17] scale_offset
	;; [unrolled: 1-line block ×3, first 2 shown]
	s_wait_xcnt 0x2
	v_add_nc_u32_e32 v32, v22, v5
	s_mov_b32 s20, 0
	s_clause 0x2
	global_load_b64 v[32:33], v32, s[16:17] scale_offset
	global_load_b64 v[34:35], v38, s[16:17] scale_offset
	;; [unrolled: 1-line block ×3, first 2 shown]
	s_wait_loadcnt 0x3
	s_wait_xcnt 0x0
	v_pk_fma_f32 v[38:39], v[30:31], v[6:7], v[2:3] op_sel_hi:[1,0,1]
	s_delay_alu instid0(VALU_DEP_1) | instskip(SKIP_1) | instid1(VALU_DEP_1)
	v_pk_fma_f32 v[6:7], v[30:31], v[6:7], v[38:39] op_sel:[1,1,0] op_sel_hi:[0,1,1] neg_hi:[0,1,0]
	s_wait_loadcnt 0x2
	v_pk_fma_f32 v[6:7], v[28:29], v[32:33], v[6:7] op_sel_hi:[1,0,1]
	s_delay_alu instid0(VALU_DEP_1) | instskip(SKIP_1) | instid1(VALU_DEP_1)
	v_pk_fma_f32 v[6:7], v[28:29], v[32:33], v[6:7] op_sel:[1,1,0] op_sel_hi:[0,1,1] neg_hi:[0,1,0]
	s_wait_loadcnt 0x0
	v_pk_fma_f32 v[6:7], v[36:37], v[34:35], v[6:7] op_sel_hi:[1,0,1]
	s_delay_alu instid0(VALU_DEP_1)
	v_pk_fma_f32 v[6:7], v[36:37], v[34:35], v[6:7] op_sel:[1,1,0] op_sel_hi:[0,1,1] neg_hi:[0,1,0]
.LBB42_50:                              ;   in Loop: Header=BB42_19 Depth=1
	s_and_not1_b32 vcc_lo, exec_lo, s20
	s_cbranch_vccnz .LBB42_52
; %bb.51:                               ;   in Loop: Header=BB42_19 Depth=1
	s_wait_dscnt 0x0
	v_dual_add_nc_u32 v32, v4, v16 :: v_dual_add_nc_u32 v34, v5, v15
	s_delay_alu instid0(VALU_DEP_1) | instskip(NEXT) | instid1(VALU_DEP_1)
	v_dual_ashrrev_i32 v33, 31, v32 :: v_dual_ashrrev_i32 v35, 31, v34
	v_lshl_add_u64 v[36:37], v[32:33], 3, s[16:17]
	s_delay_alu instid0(VALU_DEP_2)
	v_lshl_add_u64 v[38:39], v[34:35], 3, s[16:17]
	s_clause 0x3
	global_load_b128 v[4:7], v[36:37], off
	global_load_b128 v[28:31], v[38:39], off
	global_load_b64 v[40:41], v34, s[16:17] offset:16 scale_offset
	global_load_b64 v[42:43], v32, s[16:17] offset:16 scale_offset
	s_wait_loadcnt 0x2
	v_pk_fma_f32 v[2:3], v[4:5], v[28:29], v[2:3] op_sel_hi:[1,0,1]
	s_delay_alu instid0(VALU_DEP_1) | instskip(SKIP_1) | instid1(VALU_DEP_2)
	v_pk_fma_f32 v[2:3], v[4:5], v[28:29], v[2:3] op_sel:[1,1,0] op_sel_hi:[0,1,1] neg_hi:[0,1,0]
	v_dual_mov_b32 v4, v7 :: v_dual_mov_b32 v5, v6
	v_pk_fma_f32 v[2:3], v[6:7], v[30:31], v[2:3] op_sel_hi:[1,0,1]
	v_mov_b32_e32 v6, v31
	s_delay_alu instid0(VALU_DEP_1) | instskip(SKIP_1) | instid1(VALU_DEP_1)
	v_pk_fma_f32 v[2:3], v[4:5], v[6:7], v[2:3] op_sel_hi:[1,0,1] neg_hi:[0,1,0]
	s_wait_loadcnt 0x0
	v_pk_fma_f32 v[2:3], v[42:43], v[40:41], v[2:3] op_sel_hi:[1,0,1]
	s_delay_alu instid0(VALU_DEP_1)
	v_pk_fma_f32 v[6:7], v[42:43], v[40:41], v[2:3] op_sel:[1,1,0] op_sel_hi:[0,1,1] neg_hi:[0,1,0]
.LBB42_52:                              ;   in Loop: Header=BB42_19 Depth=1
	s_wait_dscnt 0x1
	s_delay_alu instid0(VALU_DEP_1)
	v_dual_mov_b32 v3, v7 :: v_dual_mov_b32 v2, v6
.LBB42_53:                              ;   in Loop: Header=BB42_19 Depth=1
	ds_store_b64 v25, v[2:3]
	s_wait_dscnt 0x0
	ds_load_b64 v[2:3], v27 offset:384
	s_wait_dscnt 0x0
	v_readfirstlane_b32 s20, v2
	v_readfirstlane_b32 s21, v3
	ds_load_b64 v[2:3], v17
	s_cmp_neq_f32 s20, 0
	s_cselect_b32 s22, -1, 0
	s_cmp_neq_f32 s21, 0
	s_cselect_b32 s23, -1, 0
	s_delay_alu instid0(SALU_CYCLE_1) | instskip(NEXT) | instid1(SALU_CYCLE_1)
	s_or_b32 s22, s22, s23
	s_nor_b32 s23, s22, s0
	s_and_b32 s22, s22, exec_lo
	s_cselect_b32 s20, s20, 1.0
	s_cselect_b32 s21, s21, 0
	s_delay_alu instid0(SALU_CYCLE_1)
	v_dual_mov_b32 v4, s20 :: v_dual_mov_b32 v6, s21
	s_and_saveexec_b32 s20, s23
	s_cbranch_execz .LBB42_57
; %bb.54:                               ;   in Loop: Header=BB42_19 Depth=1
	v_mbcnt_lo_u32_b32 v4, exec_lo, 0
	s_mov_b32 s21, exec_lo
	s_delay_alu instid0(VALU_DEP_1)
	v_cmpx_eq_u32_e32 0, v4
	s_cbranch_execz .LBB42_56
; %bb.55:                               ;   in Loop: Header=BB42_19 Depth=1
	v_mov_b32_e32 v4, s19
	global_atomic_min_i32 v27, v4, s[10:11] scope:SCOPE_DEV
.LBB42_56:                              ;   in Loop: Header=BB42_19 Depth=1
	s_wait_xcnt 0x0
	s_or_b32 exec_lo, exec_lo, s21
	v_dual_mov_b32 v6, 0 :: v_dual_mov_b32 v4, 1.0
.LBB42_57:                              ;   in Loop: Header=BB42_19 Depth=1
	s_or_b32 exec_lo, exec_lo, s20
	s_delay_alu instid0(VALU_DEP_1) | instskip(SKIP_2) | instid1(VALU_DEP_1)
	v_mul_f32_e32 v5, v6, v6
	ds_load_b64 v[28:29], v21
	v_fmac_f32_e32 v5, v4, v4
	v_div_scale_f32 v7, null, v5, v5, 1.0
	s_delay_alu instid0(VALU_DEP_1) | instskip(SKIP_1) | instid1(TRANS32_DEP_1)
	v_rcp_f32_e32 v32, v7
	v_nop
	v_fma_f32 v30, -v7, v32, 1.0
	s_wait_dscnt 0x1
	s_delay_alu instid0(VALU_DEP_1) | instskip(SKIP_1) | instid1(VALU_DEP_1)
	v_dual_fmac_f32 v32, v30, v32 :: v_dual_mov_b32 v30, v3
	v_div_scale_f32 v33, vcc_lo, 1.0, v5, 1.0
	v_mul_f32_e32 v34, v33, v32
	s_delay_alu instid0(VALU_DEP_1) | instskip(NEXT) | instid1(VALU_DEP_1)
	v_dual_fma_f32 v35, -v7, v34, v33 :: v_dual_mov_b32 v31, v2
	v_fmac_f32_e32 v34, v35, v32
	s_wait_dscnt 0x0
	s_delay_alu instid0(VALU_DEP_2) | instskip(NEXT) | instid1(VALU_DEP_2)
	v_pk_add_f32 v[2:3], v[30:31], v[28:29] op_sel:[0,1] op_sel_hi:[1,0] neg_lo:[0,1] neg_hi:[0,1]
	v_fma_f32 v28, -v7, v34, v33
	s_delay_alu instid0(VALU_DEP_2) | instskip(NEXT) | instid1(VALU_DEP_2)
	v_pk_mul_f32 v[6:7], v[6:7], v[2:3] op_sel:[0,1] op_sel_hi:[0,0] neg_lo:[0,1]
	v_div_fmas_f32 v28, v28, v32, v34
	s_delay_alu instid0(VALU_DEP_2) | instskip(NEXT) | instid1(VALU_DEP_2)
	v_pk_fma_f32 v[2:3], v[2:3], v[4:5], v[6:7] op_sel_hi:[1,0,1]
	v_div_fixup_f32 v4, v28, v5, 1.0
	s_delay_alu instid0(VALU_DEP_1) | instskip(NEXT) | instid1(VALU_DEP_1)
	v_pk_mul_f32 v[2:3], v[4:5], v[2:3] op_sel_hi:[0,1]
	v_dual_mov_b32 v4, v3 :: v_dual_mov_b32 v5, v2
	ds_store_b64 v17, v[4:5]
	s_wait_storecnt_dscnt 0x0
	ds_load_b64 v[4:5], v13
	ds_load_b64 v[6:7], v12
	s_wait_dscnt 0x0
	v_pk_fma_f32 v[6:7], v[2:3], v[4:5], v[6:7] op_sel:[1,0,0] op_sel_hi:[0,0,1]
	s_delay_alu instid0(VALU_DEP_1)
	v_pk_fma_f32 v[2:3], v[2:3], v[4:5], v[6:7] op_sel:[0,1,0] neg_hi:[0,1,0]
	ds_store_b64 v12, v[2:3]
	s_wait_dscnt 0x0
	ds_load_b64 v[2:3], v27 offset:424
	s_wait_dscnt 0x0
	v_readfirstlane_b32 s20, v2
	v_readfirstlane_b32 s21, v3
	ds_load_b64 v[2:3], v17 offset:8
	s_cmp_neq_f32 s20, 0
	s_cselect_b32 s22, -1, 0
	s_cmp_neq_f32 s21, 0
	s_cselect_b32 s23, -1, 0
	s_delay_alu instid0(SALU_CYCLE_1) | instskip(NEXT) | instid1(SALU_CYCLE_1)
	s_or_b32 s22, s22, s23
	s_nor_b32 s23, s22, s0
	s_and_b32 s22, s22, exec_lo
	s_cselect_b32 s20, s20, 1.0
	s_cselect_b32 s21, s21, 0
	s_delay_alu instid0(SALU_CYCLE_1)
	v_dual_mov_b32 v4, s20 :: v_dual_mov_b32 v6, s21
	s_and_saveexec_b32 s20, s23
	s_cbranch_execz .LBB42_61
; %bb.58:                               ;   in Loop: Header=BB42_19 Depth=1
	v_mbcnt_lo_u32_b32 v4, exec_lo, 0
	s_mov_b32 s21, exec_lo
	s_delay_alu instid0(VALU_DEP_1)
	v_cmpx_eq_u32_e32 0, v4
	s_cbranch_execz .LBB42_60
; %bb.59:                               ;   in Loop: Header=BB42_19 Depth=1
	v_mov_b32_e32 v4, s19
	global_atomic_min_i32 v27, v4, s[10:11] scope:SCOPE_DEV
.LBB42_60:                              ;   in Loop: Header=BB42_19 Depth=1
	s_wait_xcnt 0x0
	s_or_b32 exec_lo, exec_lo, s21
	v_dual_mov_b32 v6, 0 :: v_dual_mov_b32 v4, 1.0
.LBB42_61:                              ;   in Loop: Header=BB42_19 Depth=1
	s_or_b32 exec_lo, exec_lo, s20
	s_delay_alu instid0(VALU_DEP_1) | instskip(SKIP_4) | instid1(VALU_DEP_1)
	v_mul_f32_e32 v5, v6, v6
	ds_load_b64 v[28:29], v17
	ds_load_b64 v[30:31], v27 offset:416
	ds_load_b64 v[32:33], v21 offset:8
	v_fmac_f32_e32 v5, v4, v4
	v_div_scale_f32 v7, null, v5, v5, 1.0
	s_delay_alu instid0(VALU_DEP_1) | instskip(SKIP_2) | instid1(TRANS32_DEP_1)
	v_rcp_f32_e32 v36, v7
	s_wait_dscnt 0x0
	v_pk_fma_f32 v[32:33], v[30:31], v[28:29], v[32:33] op_sel_hi:[1,0,1]
	v_fma_f32 v34, -v7, v36, 1.0
	s_delay_alu instid0(VALU_DEP_1) | instskip(SKIP_1) | instid1(VALU_DEP_1)
	v_dual_fmac_f32 v36, v34, v36 :: v_dual_mov_b32 v34, v3
	v_div_scale_f32 v37, vcc_lo, 1.0, v5, 1.0
	v_mul_f32_e32 v38, v37, v36
	s_delay_alu instid0(VALU_DEP_1) | instskip(SKIP_1) | instid1(VALU_DEP_2)
	v_dual_fma_f32 v39, -v7, v38, v37 :: v_dual_mov_b32 v35, v2
	v_pk_fma_f32 v[2:3], v[30:31], v[28:29], v[32:33] op_sel:[0,1,1] op_sel_hi:[1,1,0] neg_lo:[0,1,0]
	v_fmac_f32_e32 v38, v39, v36
	s_delay_alu instid0(VALU_DEP_2) | instskip(NEXT) | instid1(VALU_DEP_2)
	v_pk_add_f32 v[2:3], v[34:35], v[2:3] neg_lo:[0,1] neg_hi:[0,1]
	v_fma_f32 v28, -v7, v38, v37
	s_delay_alu instid0(VALU_DEP_2) | instskip(NEXT) | instid1(VALU_DEP_2)
	v_pk_mul_f32 v[6:7], v[6:7], v[2:3] op_sel:[0,1] op_sel_hi:[0,0] neg_lo:[0,1]
	v_div_fmas_f32 v28, v28, v36, v38
	s_delay_alu instid0(VALU_DEP_2) | instskip(NEXT) | instid1(VALU_DEP_2)
	v_pk_fma_f32 v[2:3], v[2:3], v[4:5], v[6:7] op_sel_hi:[1,0,1]
	v_div_fixup_f32 v4, v28, v5, 1.0
	s_delay_alu instid0(VALU_DEP_1) | instskip(NEXT) | instid1(VALU_DEP_1)
	v_pk_mul_f32 v[2:3], v[4:5], v[2:3] op_sel_hi:[0,1]
	v_dual_mov_b32 v4, v3 :: v_dual_mov_b32 v5, v2
	ds_store_b64 v17, v[4:5] offset:8
	s_wait_storecnt_dscnt 0x0
	ds_load_b64 v[4:5], v13 offset:8
	ds_load_b64 v[6:7], v12
	s_wait_dscnt 0x0
	v_pk_fma_f32 v[6:7], v[2:3], v[4:5], v[6:7] op_sel:[1,0,0] op_sel_hi:[0,0,1]
	s_delay_alu instid0(VALU_DEP_1)
	v_pk_fma_f32 v[2:3], v[2:3], v[4:5], v[6:7] op_sel:[0,1,0] neg_hi:[0,1,0]
	ds_store_b64 v12, v[2:3]
	s_wait_dscnt 0x0
	ds_load_b64 v[2:3], v27 offset:464
	s_wait_dscnt 0x0
	v_readfirstlane_b32 s20, v2
	v_readfirstlane_b32 s21, v3
	ds_load_b64 v[2:3], v17 offset:16
	s_cmp_neq_f32 s20, 0
	s_cselect_b32 s22, -1, 0
	s_cmp_neq_f32 s21, 0
	s_cselect_b32 s23, -1, 0
	s_delay_alu instid0(SALU_CYCLE_1) | instskip(NEXT) | instid1(SALU_CYCLE_1)
	s_or_b32 s22, s22, s23
	s_nor_b32 s23, s22, s0
	s_and_b32 s22, s22, exec_lo
	s_cselect_b32 s20, s20, 1.0
	s_cselect_b32 s21, s21, 0
	s_delay_alu instid0(SALU_CYCLE_1)
	v_dual_mov_b32 v4, s20 :: v_dual_mov_b32 v6, s21
	s_and_saveexec_b32 s20, s23
	s_cbranch_execz .LBB42_17
; %bb.62:                               ;   in Loop: Header=BB42_19 Depth=1
	v_mbcnt_lo_u32_b32 v4, exec_lo, 0
	s_mov_b32 s21, exec_lo
	s_delay_alu instid0(VALU_DEP_1)
	v_cmpx_eq_u32_e32 0, v4
	s_cbranch_execz .LBB42_16
; %bb.63:                               ;   in Loop: Header=BB42_19 Depth=1
	v_mov_b32_e32 v4, s19
	global_atomic_min_i32 v27, v4, s[10:11] scope:SCOPE_DEV
	s_branch .LBB42_16
.LBB42_64:
	s_wait_xcnt 0x0
	v_mov_b32_e32 v0, v10
	s_wait_kmcnt 0x0
	s_cmp_lg_u32 s1, 0
	s_cselect_b32 s4, -1, 0
	s_cmp_eq_u32 s1, 0
	s_cbranch_scc1 .LBB42_66
; %bb.65:
	v_mad_u32_u24 v0, v8, 3, v9
.LBB42_66:
	s_mul_i32 s26, s26, 9
	v_lshl_add_u32 v3, v9, 5, 0x240
	s_delay_alu instid0(VALU_DEP_2)
	v_add_nc_u32_e32 v0, s26, v0
	v_cmp_ne_u32_e64 s1, 0, v9
	s_mov_b32 s0, exec_lo
	v_lshl_add_u32 v1, v8, 3, v3
	global_load_b64 v[4:5], v0, s[16:17] scale_offset
	s_wait_loadcnt 0x0
	ds_store_b64 v1, v[4:5]
	s_wait_dscnt 0x0
	v_cmpx_eq_u32_e32 0, v9
	s_cbranch_execz .LBB42_76
; %bb.67:
	v_mov_b32_e32 v0, 0
	ds_load_2addr_b64 v[4:7], v0 offset0:72 offset1:84
	s_wait_dscnt 0x0
	v_readfirstlane_b32 s5, v6
	v_readfirstlane_b32 s12, v4
	;; [unrolled: 1-line block ×3, first 2 shown]
	s_sub_f32 s5, s12, s5
	v_readfirstlane_b32 s12, v7
	s_delay_alu instid0(SALU_CYCLE_2) | instskip(SKIP_4) | instid1(SALU_CYCLE_1)
	s_xor_b32 s15, s5, 0x80000000
	s_cmp_lt_f32 s5, 0
	s_sub_f32 s14, s13, s12
	s_mov_b32 s13, 0
	s_cselect_b32 s5, s15, s5
	s_xor_b32 s12, s14, 0x80000000
	s_cmp_lt_f32 s14, 0
	s_cselect_b32 s12, s12, s14
	s_delay_alu instid0(SALU_CYCLE_1)
	s_cmp_ngt_f32 s5, s12
	s_cbranch_scc0 .LBB42_73
; %bb.68:
	s_cmp_eq_f32 s14, 0
	s_cbranch_scc1 .LBB42_70
; %bb.69:
	v_div_scale_f32 v0, null, s12, s12, s5
	v_div_scale_f32 v5, vcc_lo, s5, s12, s5
	s_delay_alu instid0(VALU_DEP_2)
	v_rcp_f32_e32 v2, v0
	v_nop
	v_xor_b32_e32 v0, 0x80000000, v0
	s_delay_alu instid0(TRANS32_DEP_1) | instid1(VALU_DEP_1)
	v_fma_f32 v4, v0, v2, 1.0
	s_delay_alu instid0(VALU_DEP_1) | instskip(NEXT) | instid1(VALU_DEP_1)
	v_fmac_f32_e32 v2, v4, v2
	v_mul_f32_e32 v4, v5, v2
	s_delay_alu instid0(VALU_DEP_1) | instskip(NEXT) | instid1(VALU_DEP_1)
	v_fma_f32 v6, v0, v4, v5
	v_fmac_f32_e32 v4, v6, v2
	s_delay_alu instid0(VALU_DEP_1) | instskip(NEXT) | instid1(VALU_DEP_1)
	v_fmac_f32_e32 v5, v0, v4
	v_div_fmas_f32 v0, v5, v2, v4
	s_delay_alu instid0(VALU_DEP_1) | instskip(NEXT) | instid1(VALU_DEP_1)
	v_div_fixup_f32 v0, v0, s12, s5
	v_readfirstlane_b32 s13, v0
	s_fmaak_f32 s13, s13, s13, 0x3f800000
	s_delay_alu instid0(SALU_CYCLE_3) | instskip(SKIP_1) | instid1(SALU_CYCLE_2)
	s_mul_f32 s14, s13, 0x4f800000
	s_cmp_lt_f32 s13, 0xf800000
	s_cselect_b32 s14, s14, s13
	s_delay_alu instid0(SALU_CYCLE_1) | instskip(SKIP_1) | instid1(TRANS32_DEP_1)
	v_s_sqrt_f32 s15, s14
	s_mov_b32 s19, s14
	s_add_co_i32 s18, s15, -1
	s_delay_alu instid0(SALU_CYCLE_1) | instskip(NEXT) | instid1(SALU_CYCLE_1)
	s_xor_b32 s20, s18, 0x80000000
	s_fmac_f32 s19, s20, s15
	s_mov_b32 s20, s14
	s_delay_alu instid0(SALU_CYCLE_2) | instskip(SKIP_2) | instid1(SALU_CYCLE_1)
	s_cmp_le_f32 s19, 0
	s_cselect_b32 s18, s18, s15
	s_add_co_i32 s19, s15, 1
	s_xor_b32 s21, s19, 0x80000000
	s_delay_alu instid0(SALU_CYCLE_1) | instskip(NEXT) | instid1(SALU_CYCLE_3)
	s_fmac_f32 s20, s21, s15
	s_cmp_gt_f32 s20, 0
	s_cselect_b32 s15, s19, s18
	s_cmp_lt_f32 s13, 0xf800000
	s_mul_f32 s13, s15, 0x37800000
	v_cmp_class_f32_e64 s18, s14, 0x260
	s_delay_alu instid0(SALU_CYCLE_2) | instskip(SKIP_2) | instid1(SALU_CYCLE_1)
	s_cselect_b32 s13, s13, s15
	s_and_b32 s15, s18, exec_lo
	s_cselect_b32 s13, s14, s13
	s_mul_f32 s13, s12, s13
.LBB42_70:
	s_cbranch_execz .LBB42_74
	s_branch .LBB42_75
.LBB42_71:
	s_cbranch_execnz .LBB42_115
.LBB42_72:
	s_endpgm
.LBB42_73:
                                        ; implicit-def: $sgpr13
.LBB42_74:
	v_div_scale_f32 v0, null, s5, s5, s12
	v_div_scale_f32 v5, vcc_lo, s12, s5, s12
	s_delay_alu instid0(VALU_DEP_2)
	v_rcp_f32_e32 v2, v0
	v_nop
	v_xor_b32_e32 v0, 0x80000000, v0
	s_delay_alu instid0(TRANS32_DEP_1) | instid1(VALU_DEP_1)
	v_fma_f32 v4, v0, v2, 1.0
	s_delay_alu instid0(VALU_DEP_1) | instskip(NEXT) | instid1(VALU_DEP_1)
	v_fmac_f32_e32 v2, v4, v2
	v_mul_f32_e32 v4, v5, v2
	s_delay_alu instid0(VALU_DEP_1) | instskip(NEXT) | instid1(VALU_DEP_1)
	v_fma_f32 v6, v0, v4, v5
	v_fmac_f32_e32 v4, v6, v2
	s_delay_alu instid0(VALU_DEP_1) | instskip(NEXT) | instid1(VALU_DEP_1)
	v_fmac_f32_e32 v5, v0, v4
	v_div_fmas_f32 v0, v5, v2, v4
	s_delay_alu instid0(VALU_DEP_1) | instskip(NEXT) | instid1(VALU_DEP_1)
	v_div_fixup_f32 v0, v0, s5, s12
	v_readfirstlane_b32 s12, v0
	s_fmaak_f32 s12, s12, s12, 0x3f800000
	s_delay_alu instid0(SALU_CYCLE_3) | instskip(SKIP_1) | instid1(SALU_CYCLE_2)
	s_mul_f32 s13, s12, 0x4f800000
	s_cmp_lt_f32 s12, 0xf800000
	s_cselect_b32 s13, s13, s12
	s_delay_alu instid0(SALU_CYCLE_1) | instskip(SKIP_1) | instid1(TRANS32_DEP_1)
	v_s_sqrt_f32 s14, s13
	s_mov_b32 s18, s13
	s_add_co_i32 s15, s14, -1
	s_delay_alu instid0(SALU_CYCLE_1) | instskip(NEXT) | instid1(SALU_CYCLE_1)
	s_xor_b32 s19, s15, 0x80000000
	s_fmac_f32 s18, s19, s14
	s_mov_b32 s19, s13
	s_delay_alu instid0(SALU_CYCLE_2) | instskip(SKIP_2) | instid1(SALU_CYCLE_1)
	s_cmp_le_f32 s18, 0
	s_cselect_b32 s15, s15, s14
	s_add_co_i32 s18, s14, 1
	s_xor_b32 s20, s18, 0x80000000
	s_delay_alu instid0(SALU_CYCLE_1) | instskip(NEXT) | instid1(SALU_CYCLE_3)
	s_fmac_f32 s19, s20, s14
	s_cmp_gt_f32 s19, 0
	s_cselect_b32 s14, s18, s15
	s_cmp_lt_f32 s12, 0xf800000
	s_mul_f32 s12, s14, 0x37800000
	v_cmp_class_f32_e64 s15, s13, 0x260
	s_delay_alu instid0(SALU_CYCLE_2) | instskip(SKIP_2) | instid1(SALU_CYCLE_1)
	s_cselect_b32 s12, s12, s14
	s_and_b32 s14, s15, exec_lo
	s_cselect_b32 s12, s13, s12
	s_mul_f32 s13, s5, s12
.LBB42_75:
	s_delay_alu instid0(SALU_CYCLE_3) | instskip(SKIP_2) | instid1(SALU_CYCLE_1)
	s_mul_f32 s5, s13, 0x4f800000
	s_cmp_lt_f32 s13, 0xf800000
	v_mov_b32_e32 v5, 0
	s_cselect_b32 s5, s5, s13
	s_delay_alu instid0(SALU_CYCLE_1) | instskip(SKIP_1) | instid1(TRANS32_DEP_1)
	v_s_sqrt_f32 s12, s5
	s_mov_b32 s15, s5
	s_add_co_i32 s14, s12, -1
	s_delay_alu instid0(SALU_CYCLE_1) | instskip(NEXT) | instid1(SALU_CYCLE_1)
	s_xor_b32 s18, s14, 0x80000000
	s_fmac_f32 s15, s18, s12
	s_mov_b32 s18, s5
	s_delay_alu instid0(SALU_CYCLE_2) | instskip(SKIP_2) | instid1(SALU_CYCLE_1)
	s_cmp_le_f32 s15, 0
	s_cselect_b32 s14, s14, s12
	s_add_co_i32 s15, s12, 1
	s_xor_b32 s19, s15, 0x80000000
	s_delay_alu instid0(SALU_CYCLE_1) | instskip(SKIP_1) | instid1(SALU_CYCLE_2)
	s_fmac_f32 s18, s19, s12
	v_cmp_class_f32_e64 s12, s5, 0x260
	s_cmp_gt_f32 s18, 0
	s_cselect_b32 s14, s15, s14
	s_cmp_lt_f32 s13, 0xf800000
	s_mul_f32 s13, s14, 0x37800000
	s_delay_alu instid0(SALU_CYCLE_3) | instskip(SKIP_2) | instid1(SALU_CYCLE_1)
	s_cselect_b32 s13, s13, s14
	s_and_b32 s12, s12, exec_lo
	s_cselect_b32 s5, s5, s13
	v_mov_b32_e32 v4, s5
	ds_store_b64 v5, v[4:5] offset:576
.LBB42_76:
	s_or_b32 exec_lo, exec_lo, s0
	v_mov_b32_e32 v0, 0
	s_wait_dscnt 0x0
	s_add_co_i32 s5, s8, s9
	ds_load_b64 v[4:5], v0 offset:576
	s_wait_dscnt 0x0
	v_readfirstlane_b32 s12, v4
	v_readfirstlane_b32 s13, v5
	v_or_b32_e32 v4, v8, v9
	s_cmp_neq_f32 s12, 0
	s_delay_alu instid0(VALU_DEP_1) | instskip(SKIP_3) | instid1(SALU_CYCLE_1)
	v_cmp_ne_u32_e64 s0, 0, v4
	s_cselect_b32 s14, -1, 0
	s_cmp_neq_f32 s13, 0
	s_cselect_b32 s15, -1, 0
	s_or_b32 s14, s14, s15
	s_delay_alu instid0(SALU_CYCLE_1) | instskip(SKIP_3) | instid1(SALU_CYCLE_1)
	s_nor_b32 s15, s14, s0
	s_and_b32 s14, s14, exec_lo
	s_cselect_b32 s12, s12, 1.0
	s_cselect_b32 s13, s13, 0
	v_dual_mov_b32 v0, s12 :: v_dual_mov_b32 v2, s13
	s_and_saveexec_b32 s12, s15
	s_cbranch_execz .LBB42_80
; %bb.77:
	v_mbcnt_lo_u32_b32 v0, exec_lo, 0
	s_mov_b32 s13, exec_lo
	s_delay_alu instid0(VALU_DEP_1)
	v_cmpx_eq_u32_e32 0, v0
	s_cbranch_execz .LBB42_79
; %bb.78:
	v_dual_mov_b32 v0, 0 :: v_dual_mov_b32 v2, s5
	global_atomic_min_i32 v0, v2, s[10:11] scope:SCOPE_DEV
.LBB42_79:
	s_wait_xcnt 0x0
	s_or_b32 exec_lo, exec_lo, s13
	v_dual_mov_b32 v2, 0 :: v_dual_mov_b32 v0, 1.0
.LBB42_80:
	s_or_b32 exec_lo, exec_lo, s12
	s_and_saveexec_b32 s12, s1
	s_cbranch_execz .LBB42_82
; %bb.81:
	s_delay_alu instid0(VALU_DEP_1) | instskip(SKIP_3) | instid1(VALU_DEP_1)
	v_mul_f32_e32 v5, v2, v2
	ds_load_b64 v[6:7], v3
	ds_load_b64 v[16:17], v14
	v_fmac_f32_e32 v5, v0, v0
	v_div_scale_f32 v15, null, v5, v5, 1.0
	s_delay_alu instid0(VALU_DEP_1) | instskip(SKIP_2) | instid1(TRANS32_DEP_1)
	v_rcp_f32_e32 v18, v15
	s_wait_dscnt 0x0
	v_pk_add_f32 v[6:7], v[6:7], v[16:17] op_sel:[1,1] op_sel_hi:[0,0] neg_lo:[0,1] neg_hi:[0,1]
	v_fma_f32 v19, -v15, v18, 1.0
	s_delay_alu instid0(VALU_DEP_2) | instskip(NEXT) | instid1(VALU_DEP_2)
	v_pk_mul_f32 v[16:17], v[2:3], v[6:7] op_sel:[0,1] op_sel_hi:[0,0] neg_lo:[0,1]
	v_fmac_f32_e32 v18, v19, v18
	v_div_scale_f32 v20, vcc_lo, 1.0, v5, 1.0
	s_delay_alu instid0(VALU_DEP_3) | instskip(NEXT) | instid1(VALU_DEP_2)
	v_pk_fma_f32 v[6:7], v[6:7], v[0:1], v[16:17] op_sel_hi:[1,0,1]
	v_mul_f32_e32 v19, v20, v18
	s_delay_alu instid0(VALU_DEP_1) | instskip(NEXT) | instid1(VALU_DEP_1)
	v_fma_f32 v21, -v15, v19, v20
	v_fmac_f32_e32 v19, v21, v18
	s_delay_alu instid0(VALU_DEP_1) | instskip(NEXT) | instid1(VALU_DEP_1)
	v_fma_f32 v15, -v15, v19, v20
	v_div_fmas_f32 v2, v15, v18, v19
	s_delay_alu instid0(VALU_DEP_1) | instskip(NEXT) | instid1(VALU_DEP_1)
	v_div_fixup_f32 v0, v2, v5, 1.0
	v_pk_mul_f32 v[6:7], v[0:1], v[6:7] op_sel_hi:[0,1]
	s_delay_alu instid0(VALU_DEP_1)
	v_dual_mov_b32 v16, v7 :: v_dual_mov_b32 v17, v6
	ds_store_b64 v3, v[16:17]
	s_wait_storecnt_dscnt 0x0
	ds_load_b64 v[16:17], v13
	ds_load_b64 v[18:19], v12
	s_wait_dscnt 0x0
	v_pk_fma_f32 v[18:19], v[6:7], v[16:17], v[18:19] op_sel:[1,0,0] op_sel_hi:[0,0,1]
	s_delay_alu instid0(VALU_DEP_1)
	v_pk_fma_f32 v[6:7], v[6:7], v[16:17], v[18:19] op_sel:[0,1,0] neg_hi:[0,1,0]
	ds_store_b64 v12, v[6:7]
.LBB42_82:
	s_or_b32 exec_lo, exec_lo, s12
	s_delay_alu instid0(SALU_CYCLE_1)
	s_mov_b32 s1, exec_lo
	s_wait_storecnt_dscnt 0x0
	v_cmpx_eq_u32_e32 1, v9
	s_cbranch_execz .LBB42_90
; %bb.83:
	v_mov_b32_e32 v0, 0
	ds_load_2addr_b64 v[16:19], v0 offset0:77 offset1:89
	s_wait_dscnt 0x0
	v_readfirstlane_b32 s12, v18
	v_readfirstlane_b32 s13, v16
	;; [unrolled: 1-line block ×3, first 2 shown]
	s_sub_f32 s12, s13, s12
	v_readfirstlane_b32 s13, v19
	s_delay_alu instid0(SALU_CYCLE_2) | instskip(SKIP_4) | instid1(SALU_CYCLE_1)
	s_xor_b32 s18, s12, 0x80000000
	s_cmp_lt_f32 s12, 0
	s_sub_f32 s15, s14, s13
	s_mov_b32 s14, 0
	s_cselect_b32 s12, s18, s12
	s_xor_b32 s13, s15, 0x80000000
	s_cmp_lt_f32 s15, 0
	s_cselect_b32 s13, s13, s15
	s_delay_alu instid0(SALU_CYCLE_1)
	s_cmp_gt_f32 s12, s13
	s_cbranch_scc1 .LBB42_87
; %bb.84:
	s_cmp_eq_f32 s15, 0
	s_cbranch_scc1 .LBB42_86
; %bb.85:
	v_div_scale_f32 v0, null, s13, s13, s12
	v_div_scale_f32 v6, vcc_lo, s12, s13, s12
	s_delay_alu instid0(VALU_DEP_2)
	v_rcp_f32_e32 v2, v0
	v_nop
	v_xor_b32_e32 v0, 0x80000000, v0
	s_delay_alu instid0(TRANS32_DEP_1) | instid1(VALU_DEP_1)
	v_fma_f32 v5, v0, v2, 1.0
	s_delay_alu instid0(VALU_DEP_1) | instskip(NEXT) | instid1(VALU_DEP_1)
	v_fmac_f32_e32 v2, v5, v2
	v_mul_f32_e32 v5, v6, v2
	s_delay_alu instid0(VALU_DEP_1) | instskip(NEXT) | instid1(VALU_DEP_1)
	v_fma_f32 v7, v0, v5, v6
	v_fmac_f32_e32 v5, v7, v2
	s_delay_alu instid0(VALU_DEP_1) | instskip(NEXT) | instid1(VALU_DEP_1)
	v_fmac_f32_e32 v6, v0, v5
	v_div_fmas_f32 v0, v6, v2, v5
	s_delay_alu instid0(VALU_DEP_1) | instskip(NEXT) | instid1(VALU_DEP_1)
	v_div_fixup_f32 v0, v0, s13, s12
	v_readfirstlane_b32 s14, v0
	s_fmaak_f32 s14, s14, s14, 0x3f800000
	s_delay_alu instid0(SALU_CYCLE_3) | instskip(SKIP_1) | instid1(SALU_CYCLE_2)
	s_mul_f32 s15, s14, 0x4f800000
	s_cmp_lt_f32 s14, 0xf800000
	s_cselect_b32 s15, s15, s14
	s_delay_alu instid0(SALU_CYCLE_1) | instskip(SKIP_1) | instid1(TRANS32_DEP_1)
	v_s_sqrt_f32 s18, s15
	s_mov_b32 s20, s15
	s_add_co_i32 s19, s18, -1
	s_delay_alu instid0(SALU_CYCLE_1) | instskip(NEXT) | instid1(SALU_CYCLE_1)
	s_xor_b32 s21, s19, 0x80000000
	s_fmac_f32 s20, s21, s18
	s_mov_b32 s21, s15
	s_delay_alu instid0(SALU_CYCLE_2) | instskip(SKIP_2) | instid1(SALU_CYCLE_1)
	s_cmp_le_f32 s20, 0
	s_cselect_b32 s19, s19, s18
	s_add_co_i32 s20, s18, 1
	s_xor_b32 s22, s20, 0x80000000
	s_delay_alu instid0(SALU_CYCLE_1) | instskip(NEXT) | instid1(SALU_CYCLE_3)
	s_fmac_f32 s21, s22, s18
	s_cmp_gt_f32 s21, 0
	s_cselect_b32 s18, s20, s19
	s_cmp_lt_f32 s14, 0xf800000
	s_mul_f32 s14, s18, 0x37800000
	v_cmp_class_f32_e64 s19, s15, 0x260
	s_delay_alu instid0(SALU_CYCLE_2) | instskip(SKIP_2) | instid1(SALU_CYCLE_1)
	s_cselect_b32 s14, s14, s18
	s_and_b32 s18, s19, exec_lo
	s_cselect_b32 s14, s15, s14
	s_mul_f32 s14, s13, s14
.LBB42_86:
	s_cbranch_execz .LBB42_88
	s_branch .LBB42_89
.LBB42_87:
                                        ; implicit-def: $sgpr14
.LBB42_88:
	v_div_scale_f32 v0, null, s12, s12, s13
	v_div_scale_f32 v6, vcc_lo, s13, s12, s13
	s_delay_alu instid0(VALU_DEP_2)
	v_rcp_f32_e32 v2, v0
	v_nop
	v_xor_b32_e32 v0, 0x80000000, v0
	s_delay_alu instid0(TRANS32_DEP_1) | instid1(VALU_DEP_1)
	v_fma_f32 v5, v0, v2, 1.0
	s_delay_alu instid0(VALU_DEP_1) | instskip(NEXT) | instid1(VALU_DEP_1)
	v_fmac_f32_e32 v2, v5, v2
	v_mul_f32_e32 v5, v6, v2
	s_delay_alu instid0(VALU_DEP_1) | instskip(NEXT) | instid1(VALU_DEP_1)
	v_fma_f32 v7, v0, v5, v6
	v_fmac_f32_e32 v5, v7, v2
	s_delay_alu instid0(VALU_DEP_1) | instskip(NEXT) | instid1(VALU_DEP_1)
	v_fmac_f32_e32 v6, v0, v5
	v_div_fmas_f32 v0, v6, v2, v5
	s_delay_alu instid0(VALU_DEP_1) | instskip(NEXT) | instid1(VALU_DEP_1)
	v_div_fixup_f32 v0, v0, s12, s13
	v_readfirstlane_b32 s13, v0
	s_fmaak_f32 s13, s13, s13, 0x3f800000
	s_delay_alu instid0(SALU_CYCLE_3) | instskip(SKIP_1) | instid1(SALU_CYCLE_2)
	s_mul_f32 s14, s13, 0x4f800000
	s_cmp_lt_f32 s13, 0xf800000
	s_cselect_b32 s14, s14, s13
	s_delay_alu instid0(SALU_CYCLE_1) | instskip(SKIP_1) | instid1(TRANS32_DEP_1)
	v_s_sqrt_f32 s15, s14
	s_mov_b32 s19, s14
	s_add_co_i32 s18, s15, -1
	s_delay_alu instid0(SALU_CYCLE_1) | instskip(NEXT) | instid1(SALU_CYCLE_1)
	s_xor_b32 s20, s18, 0x80000000
	s_fmac_f32 s19, s20, s15
	s_mov_b32 s20, s14
	s_delay_alu instid0(SALU_CYCLE_2) | instskip(SKIP_2) | instid1(SALU_CYCLE_1)
	s_cmp_le_f32 s19, 0
	s_cselect_b32 s18, s18, s15
	s_add_co_i32 s19, s15, 1
	s_xor_b32 s21, s19, 0x80000000
	s_delay_alu instid0(SALU_CYCLE_1) | instskip(NEXT) | instid1(SALU_CYCLE_3)
	s_fmac_f32 s20, s21, s15
	s_cmp_gt_f32 s20, 0
	s_cselect_b32 s15, s19, s18
	s_cmp_lt_f32 s13, 0xf800000
	s_mul_f32 s13, s15, 0x37800000
	v_cmp_class_f32_e64 s18, s14, 0x260
	s_delay_alu instid0(SALU_CYCLE_2) | instskip(SKIP_2) | instid1(SALU_CYCLE_1)
	s_cselect_b32 s13, s13, s15
	s_and_b32 s15, s18, exec_lo
	s_cselect_b32 s13, s14, s13
	s_mul_f32 s14, s12, s13
.LBB42_89:
	s_delay_alu instid0(SALU_CYCLE_3) | instskip(SKIP_2) | instid1(SALU_CYCLE_1)
	s_mul_f32 s12, s14, 0x4f800000
	s_cmp_lt_f32 s14, 0xf800000
	v_mov_b32_e32 v7, 0
	s_cselect_b32 s12, s12, s14
	s_delay_alu instid0(SALU_CYCLE_1) | instskip(SKIP_1) | instid1(TRANS32_DEP_1)
	v_s_sqrt_f32 s13, s12
	s_mov_b32 s18, s12
	s_add_co_i32 s15, s13, -1
	s_delay_alu instid0(SALU_CYCLE_1) | instskip(NEXT) | instid1(SALU_CYCLE_1)
	s_xor_b32 s19, s15, 0x80000000
	s_fmac_f32 s18, s19, s13
	s_mov_b32 s19, s12
	s_delay_alu instid0(SALU_CYCLE_2) | instskip(SKIP_2) | instid1(SALU_CYCLE_1)
	s_cmp_le_f32 s18, 0
	s_cselect_b32 s15, s15, s13
	s_add_co_i32 s18, s13, 1
	s_xor_b32 s20, s18, 0x80000000
	s_delay_alu instid0(SALU_CYCLE_1) | instskip(SKIP_1) | instid1(SALU_CYCLE_2)
	s_fmac_f32 s19, s20, s13
	v_cmp_class_f32_e64 s13, s12, 0x260
	s_cmp_gt_f32 s19, 0
	s_cselect_b32 s15, s18, s15
	s_cmp_lt_f32 s14, 0xf800000
	s_mul_f32 s14, s15, 0x37800000
	s_delay_alu instid0(SALU_CYCLE_3) | instskip(SKIP_2) | instid1(SALU_CYCLE_1)
	s_cselect_b32 s14, s14, s15
	s_and_b32 s13, s13, exec_lo
	s_cselect_b32 s12, s12, s14
	v_mov_b32_e32 v6, s12
	ds_store_b64 v7, v[6:7] offset:616
.LBB42_90:
	s_or_b32 exec_lo, exec_lo, s1
	v_mov_b32_e32 v0, 0
	s_wait_dscnt 0x0
	ds_load_b64 v[6:7], v0 offset:616
	s_wait_dscnt 0x0
	v_readfirstlane_b32 s1, v6
	v_readfirstlane_b32 s12, v7
	s_cmp_neq_f32 s1, 0
	s_cselect_b32 s13, -1, 0
	s_cmp_neq_f32 s12, 0
	s_cselect_b32 s14, -1, 0
	s_delay_alu instid0(SALU_CYCLE_1) | instskip(NEXT) | instid1(SALU_CYCLE_1)
	s_or_b32 s13, s13, s14
	s_nor_b32 s14, s13, s0
	s_and_b32 s13, s13, exec_lo
	s_cselect_b32 s1, s1, 1.0
	s_cselect_b32 s12, s12, 0
	s_delay_alu instid0(SALU_CYCLE_1)
	v_dual_mov_b32 v0, s1 :: v_dual_mov_b32 v2, s12
	s_and_saveexec_b32 s1, s14
	s_cbranch_execz .LBB42_94
; %bb.91:
	v_mbcnt_lo_u32_b32 v0, exec_lo, 0
	s_mov_b32 s12, exec_lo
	s_delay_alu instid0(VALU_DEP_1)
	v_cmpx_eq_u32_e32 0, v0
	s_cbranch_execz .LBB42_93
; %bb.92:
	v_dual_mov_b32 v0, 0 :: v_dual_mov_b32 v2, s5
	global_atomic_min_i32 v0, v2, s[10:11] scope:SCOPE_DEV
.LBB42_93:
	s_wait_xcnt 0x0
	s_or_b32 exec_lo, exec_lo, s12
	v_dual_mov_b32 v2, 0 :: v_dual_mov_b32 v0, 1.0
.LBB42_94:
	s_or_b32 exec_lo, exec_lo, s1
	s_delay_alu instid0(SALU_CYCLE_1)
	s_mov_b32 s1, exec_lo
	v_cmpx_lt_u32_e32 1, v9
	s_cbranch_execz .LBB42_96
; %bb.95:
	v_mul_f32_e32 v5, v2, v2
	ds_load_b64 v[6:7], v3 offset:8
	ds_load_b64 v[16:17], v14 offset:8
	v_fmac_f32_e32 v5, v0, v0
	s_delay_alu instid0(VALU_DEP_1) | instskip(NEXT) | instid1(VALU_DEP_1)
	v_div_scale_f32 v15, null, v5, v5, 1.0
	v_rcp_f32_e32 v18, v15
	s_wait_dscnt 0x0
	v_pk_add_f32 v[6:7], v[6:7], v[16:17] op_sel:[1,1] op_sel_hi:[0,0] neg_lo:[0,1] neg_hi:[0,1]
	s_delay_alu instid0(TRANS32_DEP_1) | instskip(NEXT) | instid1(VALU_DEP_2)
	v_fma_f32 v19, -v15, v18, 1.0
	v_pk_mul_f32 v[16:17], v[2:3], v[6:7] op_sel:[0,1] op_sel_hi:[0,0] neg_lo:[0,1]
	s_delay_alu instid0(VALU_DEP_2) | instskip(SKIP_1) | instid1(VALU_DEP_3)
	v_fmac_f32_e32 v18, v19, v18
	v_div_scale_f32 v20, vcc_lo, 1.0, v5, 1.0
	v_pk_fma_f32 v[6:7], v[6:7], v[0:1], v[16:17] op_sel_hi:[1,0,1]
	s_delay_alu instid0(VALU_DEP_2) | instskip(NEXT) | instid1(VALU_DEP_1)
	v_mul_f32_e32 v19, v20, v18
	v_fma_f32 v21, -v15, v19, v20
	s_delay_alu instid0(VALU_DEP_1) | instskip(NEXT) | instid1(VALU_DEP_1)
	v_fmac_f32_e32 v19, v21, v18
	v_fma_f32 v15, -v15, v19, v20
	s_delay_alu instid0(VALU_DEP_1) | instskip(NEXT) | instid1(VALU_DEP_1)
	v_div_fmas_f32 v2, v15, v18, v19
	v_div_fixup_f32 v0, v2, v5, 1.0
	s_delay_alu instid0(VALU_DEP_1) | instskip(NEXT) | instid1(VALU_DEP_1)
	v_pk_mul_f32 v[6:7], v[0:1], v[6:7] op_sel_hi:[0,1]
	v_dual_mov_b32 v16, v7 :: v_dual_mov_b32 v17, v6
	ds_store_b64 v3, v[16:17] offset:8
	s_wait_storecnt_dscnt 0x0
	ds_load_b64 v[16:17], v13 offset:8
	ds_load_b64 v[18:19], v12
	s_wait_dscnt 0x0
	v_pk_fma_f32 v[18:19], v[6:7], v[16:17], v[18:19] op_sel:[1,0,0] op_sel_hi:[0,0,1]
	s_delay_alu instid0(VALU_DEP_1)
	v_pk_fma_f32 v[6:7], v[6:7], v[16:17], v[18:19] op_sel:[0,1,0] neg_hi:[0,1,0]
	ds_store_b64 v12, v[6:7]
.LBB42_96:
	s_or_b32 exec_lo, exec_lo, s1
	s_delay_alu instid0(SALU_CYCLE_1)
	s_mov_b32 s1, exec_lo
	s_wait_storecnt_dscnt 0x0
	v_cmpx_eq_u32_e32 2, v9
	s_cbranch_execz .LBB42_104
; %bb.97:
	v_mov_b32_e32 v0, 0
	ds_load_2addr_b64 v[16:19], v0 offset0:82 offset1:94
	s_wait_dscnt 0x0
	v_readfirstlane_b32 s12, v18
	v_readfirstlane_b32 s13, v16
	v_readfirstlane_b32 s14, v17
	s_sub_f32 s12, s13, s12
	v_readfirstlane_b32 s13, v19
	s_delay_alu instid0(SALU_CYCLE_2) | instskip(SKIP_4) | instid1(SALU_CYCLE_1)
	s_xor_b32 s18, s12, 0x80000000
	s_cmp_lt_f32 s12, 0
	s_sub_f32 s15, s14, s13
	s_mov_b32 s14, 0
	s_cselect_b32 s12, s18, s12
	s_xor_b32 s13, s15, 0x80000000
	s_cmp_lt_f32 s15, 0
	s_cselect_b32 s13, s13, s15
	s_delay_alu instid0(SALU_CYCLE_1)
	s_cmp_gt_f32 s12, s13
	s_cbranch_scc1 .LBB42_101
; %bb.98:
	s_cmp_eq_f32 s15, 0
	s_cbranch_scc1 .LBB42_100
; %bb.99:
	v_div_scale_f32 v0, null, s13, s13, s12
	v_div_scale_f32 v6, vcc_lo, s12, s13, s12
	s_delay_alu instid0(VALU_DEP_2)
	v_rcp_f32_e32 v2, v0
	v_nop
	v_xor_b32_e32 v0, 0x80000000, v0
	s_delay_alu instid0(TRANS32_DEP_1) | instid1(VALU_DEP_1)
	v_fma_f32 v5, v0, v2, 1.0
	s_delay_alu instid0(VALU_DEP_1) | instskip(NEXT) | instid1(VALU_DEP_1)
	v_fmac_f32_e32 v2, v5, v2
	v_mul_f32_e32 v5, v6, v2
	s_delay_alu instid0(VALU_DEP_1) | instskip(NEXT) | instid1(VALU_DEP_1)
	v_fma_f32 v7, v0, v5, v6
	v_fmac_f32_e32 v5, v7, v2
	s_delay_alu instid0(VALU_DEP_1) | instskip(NEXT) | instid1(VALU_DEP_1)
	v_fmac_f32_e32 v6, v0, v5
	v_div_fmas_f32 v0, v6, v2, v5
	s_delay_alu instid0(VALU_DEP_1) | instskip(NEXT) | instid1(VALU_DEP_1)
	v_div_fixup_f32 v0, v0, s13, s12
	v_readfirstlane_b32 s14, v0
	s_fmaak_f32 s14, s14, s14, 0x3f800000
	s_delay_alu instid0(SALU_CYCLE_3) | instskip(SKIP_1) | instid1(SALU_CYCLE_2)
	s_mul_f32 s15, s14, 0x4f800000
	s_cmp_lt_f32 s14, 0xf800000
	s_cselect_b32 s15, s15, s14
	s_delay_alu instid0(SALU_CYCLE_1) | instskip(SKIP_1) | instid1(TRANS32_DEP_1)
	v_s_sqrt_f32 s18, s15
	s_mov_b32 s20, s15
	s_add_co_i32 s19, s18, -1
	s_delay_alu instid0(SALU_CYCLE_1) | instskip(NEXT) | instid1(SALU_CYCLE_1)
	s_xor_b32 s21, s19, 0x80000000
	s_fmac_f32 s20, s21, s18
	s_mov_b32 s21, s15
	s_delay_alu instid0(SALU_CYCLE_2) | instskip(SKIP_2) | instid1(SALU_CYCLE_1)
	s_cmp_le_f32 s20, 0
	s_cselect_b32 s19, s19, s18
	s_add_co_i32 s20, s18, 1
	s_xor_b32 s22, s20, 0x80000000
	s_delay_alu instid0(SALU_CYCLE_1) | instskip(NEXT) | instid1(SALU_CYCLE_3)
	s_fmac_f32 s21, s22, s18
	s_cmp_gt_f32 s21, 0
	s_cselect_b32 s18, s20, s19
	s_cmp_lt_f32 s14, 0xf800000
	s_mul_f32 s14, s18, 0x37800000
	v_cmp_class_f32_e64 s19, s15, 0x260
	s_delay_alu instid0(SALU_CYCLE_2) | instskip(SKIP_2) | instid1(SALU_CYCLE_1)
	s_cselect_b32 s14, s14, s18
	s_and_b32 s18, s19, exec_lo
	s_cselect_b32 s14, s15, s14
	s_mul_f32 s14, s13, s14
.LBB42_100:
	s_cbranch_execz .LBB42_102
	s_branch .LBB42_103
.LBB42_101:
                                        ; implicit-def: $sgpr14
.LBB42_102:
	v_div_scale_f32 v0, null, s12, s12, s13
	v_div_scale_f32 v6, vcc_lo, s13, s12, s13
	s_delay_alu instid0(VALU_DEP_2)
	v_rcp_f32_e32 v2, v0
	v_nop
	v_xor_b32_e32 v0, 0x80000000, v0
	s_delay_alu instid0(TRANS32_DEP_1) | instid1(VALU_DEP_1)
	v_fma_f32 v5, v0, v2, 1.0
	s_delay_alu instid0(VALU_DEP_1) | instskip(NEXT) | instid1(VALU_DEP_1)
	v_fmac_f32_e32 v2, v5, v2
	v_mul_f32_e32 v5, v6, v2
	s_delay_alu instid0(VALU_DEP_1) | instskip(NEXT) | instid1(VALU_DEP_1)
	v_fma_f32 v7, v0, v5, v6
	v_fmac_f32_e32 v5, v7, v2
	s_delay_alu instid0(VALU_DEP_1) | instskip(NEXT) | instid1(VALU_DEP_1)
	v_fmac_f32_e32 v6, v0, v5
	v_div_fmas_f32 v0, v6, v2, v5
	s_delay_alu instid0(VALU_DEP_1) | instskip(NEXT) | instid1(VALU_DEP_1)
	v_div_fixup_f32 v0, v0, s12, s13
	v_readfirstlane_b32 s13, v0
	s_fmaak_f32 s13, s13, s13, 0x3f800000
	s_delay_alu instid0(SALU_CYCLE_3) | instskip(SKIP_1) | instid1(SALU_CYCLE_2)
	s_mul_f32 s14, s13, 0x4f800000
	s_cmp_lt_f32 s13, 0xf800000
	s_cselect_b32 s14, s14, s13
	s_delay_alu instid0(SALU_CYCLE_1) | instskip(SKIP_1) | instid1(TRANS32_DEP_1)
	v_s_sqrt_f32 s15, s14
	s_mov_b32 s19, s14
	s_add_co_i32 s18, s15, -1
	s_delay_alu instid0(SALU_CYCLE_1) | instskip(NEXT) | instid1(SALU_CYCLE_1)
	s_xor_b32 s20, s18, 0x80000000
	s_fmac_f32 s19, s20, s15
	s_mov_b32 s20, s14
	s_delay_alu instid0(SALU_CYCLE_2) | instskip(SKIP_2) | instid1(SALU_CYCLE_1)
	s_cmp_le_f32 s19, 0
	s_cselect_b32 s18, s18, s15
	s_add_co_i32 s19, s15, 1
	s_xor_b32 s21, s19, 0x80000000
	s_delay_alu instid0(SALU_CYCLE_1) | instskip(NEXT) | instid1(SALU_CYCLE_3)
	s_fmac_f32 s20, s21, s15
	s_cmp_gt_f32 s20, 0
	s_cselect_b32 s15, s19, s18
	s_cmp_lt_f32 s13, 0xf800000
	s_mul_f32 s13, s15, 0x37800000
	v_cmp_class_f32_e64 s18, s14, 0x260
	s_delay_alu instid0(SALU_CYCLE_2) | instskip(SKIP_2) | instid1(SALU_CYCLE_1)
	s_cselect_b32 s13, s13, s15
	s_and_b32 s15, s18, exec_lo
	s_cselect_b32 s13, s14, s13
	s_mul_f32 s14, s12, s13
.LBB42_103:
	s_delay_alu instid0(SALU_CYCLE_3) | instskip(SKIP_2) | instid1(SALU_CYCLE_1)
	s_mul_f32 s12, s14, 0x4f800000
	s_cmp_lt_f32 s14, 0xf800000
	v_mov_b32_e32 v7, 0
	s_cselect_b32 s12, s12, s14
	s_delay_alu instid0(SALU_CYCLE_1) | instskip(SKIP_1) | instid1(TRANS32_DEP_1)
	v_s_sqrt_f32 s13, s12
	s_mov_b32 s18, s12
	s_add_co_i32 s15, s13, -1
	s_delay_alu instid0(SALU_CYCLE_1) | instskip(NEXT) | instid1(SALU_CYCLE_1)
	s_xor_b32 s19, s15, 0x80000000
	s_fmac_f32 s18, s19, s13
	s_mov_b32 s19, s12
	s_delay_alu instid0(SALU_CYCLE_2) | instskip(SKIP_2) | instid1(SALU_CYCLE_1)
	s_cmp_le_f32 s18, 0
	s_cselect_b32 s15, s15, s13
	s_add_co_i32 s18, s13, 1
	s_xor_b32 s20, s18, 0x80000000
	s_delay_alu instid0(SALU_CYCLE_1) | instskip(SKIP_1) | instid1(SALU_CYCLE_2)
	s_fmac_f32 s19, s20, s13
	v_cmp_class_f32_e64 s13, s12, 0x260
	s_cmp_gt_f32 s19, 0
	s_cselect_b32 s15, s18, s15
	s_cmp_lt_f32 s14, 0xf800000
	s_mul_f32 s14, s15, 0x37800000
	s_delay_alu instid0(SALU_CYCLE_3) | instskip(SKIP_2) | instid1(SALU_CYCLE_1)
	s_cselect_b32 s14, s14, s15
	s_and_b32 s13, s13, exec_lo
	s_cselect_b32 s12, s12, s14
	v_mov_b32_e32 v6, s12
	ds_store_b64 v7, v[6:7] offset:656
.LBB42_104:
	s_or_b32 exec_lo, exec_lo, s1
	v_mov_b32_e32 v0, 0
	s_wait_dscnt 0x0
	ds_load_b64 v[6:7], v0 offset:656
	s_wait_dscnt 0x0
	v_readfirstlane_b32 s1, v6
	v_readfirstlane_b32 s12, v7
	s_cmp_neq_f32 s1, 0
	s_cselect_b32 s13, -1, 0
	s_cmp_neq_f32 s12, 0
	s_cselect_b32 s14, -1, 0
	s_delay_alu instid0(SALU_CYCLE_1) | instskip(NEXT) | instid1(SALU_CYCLE_1)
	s_or_b32 s13, s13, s14
	s_nor_b32 s14, s13, s0
	s_and_b32 s0, s13, exec_lo
	s_cselect_b32 s0, s1, 1.0
	s_cselect_b32 s1, s12, 0
	s_delay_alu instid0(SALU_CYCLE_1)
	v_dual_mov_b32 v0, s0 :: v_dual_mov_b32 v2, s1
	s_and_saveexec_b32 s0, s14
	s_cbranch_execz .LBB42_108
; %bb.105:
	v_mbcnt_lo_u32_b32 v0, exec_lo, 0
	s_mov_b32 s1, exec_lo
	s_delay_alu instid0(VALU_DEP_1)
	v_cmpx_eq_u32_e32 0, v0
	s_cbranch_execz .LBB42_107
; %bb.106:
	v_dual_mov_b32 v0, 0 :: v_dual_mov_b32 v2, s5
	global_atomic_min_i32 v0, v2, s[10:11] scope:SCOPE_DEV
.LBB42_107:
	s_wait_xcnt 0x0
	s_or_b32 exec_lo, exec_lo, s1
	v_dual_mov_b32 v2, 0 :: v_dual_mov_b32 v0, 1.0
.LBB42_108:
	s_or_b32 exec_lo, exec_lo, s0
	s_delay_alu instid0(SALU_CYCLE_1)
	s_mov_b32 s0, exec_lo
	v_cmpx_lt_u32_e32 2, v9
	s_cbranch_execz .LBB42_110
; %bb.109:
	v_mul_f32_e32 v5, v2, v2
	ds_load_b64 v[6:7], v3 offset:16
	ds_load_b64 v[14:15], v14 offset:16
	v_fmac_f32_e32 v5, v0, v0
	s_delay_alu instid0(VALU_DEP_1) | instskip(SKIP_1) | instid1(VALU_DEP_2)
	v_div_scale_f32 v16, null, v5, v5, 1.0
	v_div_scale_f32 v19, vcc_lo, 1.0, v5, 1.0
	v_rcp_f32_e32 v17, v16
	s_wait_dscnt 0x0
	v_pk_add_f32 v[6:7], v[6:7], v[14:15] op_sel:[1,1] op_sel_hi:[0,0] neg_lo:[0,1] neg_hi:[0,1]
	s_delay_alu instid0(TRANS32_DEP_1) | instskip(NEXT) | instid1(VALU_DEP_2)
	v_fma_f32 v18, -v16, v17, 1.0
	v_pk_mul_f32 v[14:15], v[2:3], v[6:7] op_sel:[0,1] op_sel_hi:[0,0] neg_lo:[0,1]
	s_delay_alu instid0(VALU_DEP_2) | instskip(NEXT) | instid1(VALU_DEP_2)
	v_fmac_f32_e32 v17, v18, v17
	v_pk_fma_f32 v[6:7], v[6:7], v[0:1], v[14:15] op_sel_hi:[1,0,1]
	s_delay_alu instid0(VALU_DEP_2) | instskip(NEXT) | instid1(VALU_DEP_1)
	v_mul_f32_e32 v18, v19, v17
	v_fma_f32 v20, -v16, v18, v19
	s_delay_alu instid0(VALU_DEP_1) | instskip(NEXT) | instid1(VALU_DEP_1)
	v_fmac_f32_e32 v18, v20, v17
	v_fma_f32 v16, -v16, v18, v19
	s_delay_alu instid0(VALU_DEP_1) | instskip(NEXT) | instid1(VALU_DEP_1)
	v_div_fmas_f32 v2, v16, v17, v18
	v_div_fixup_f32 v0, v2, v5, 1.0
	s_delay_alu instid0(VALU_DEP_1) | instskip(NEXT) | instid1(VALU_DEP_1)
	v_pk_mul_f32 v[6:7], v[0:1], v[6:7] op_sel_hi:[0,1]
	v_dual_mov_b32 v14, v7 :: v_dual_mov_b32 v15, v6
	ds_store_b64 v3, v[14:15] offset:16
	s_wait_storecnt_dscnt 0x0
	ds_load_b64 v[2:3], v13 offset:16
	ds_load_b64 v[14:15], v12
	s_wait_dscnt 0x0
	v_pk_fma_f32 v[14:15], v[6:7], v[2:3], v[14:15] op_sel:[1,0,0] op_sel_hi:[0,0,1]
	s_delay_alu instid0(VALU_DEP_1)
	v_pk_fma_f32 v[2:3], v[6:7], v[2:3], v[14:15] op_sel:[0,1,0] neg_hi:[0,1,0]
	ds_store_b64 v12, v[2:3]
.LBB42_110:
	s_or_b32 exec_lo, exec_lo, s0
	s_delay_alu instid0(SALU_CYCLE_1)
	s_and_not1_b32 vcc_lo, exec_lo, s4
	s_wait_storecnt_dscnt 0x0
	s_cbranch_vccnz .LBB42_112
; %bb.111:
	v_mov_b32_e32 v10, v11
.LBB42_112:
	ds_load_b64 v[0:1], v1
	v_add_nc_u32_e32 v2, s26, v10
	s_mov_b32 s0, 0
	s_mov_b32 s1, exec_lo
	s_wait_dscnt 0x0
	global_store_b64 v2, v[0:1], s[16:17] scale_offset
	s_wait_xcnt 0x0
	v_cmpx_eq_u32_e32 0, v4
	s_cbranch_execz .LBB42_114
; %bb.113:
	v_dual_mov_b32 v0, 0 :: v_dual_mov_b32 v1, 1
	s_add_nc_u64 s[4:5], s[6:7], s[2:3]
	global_wb scope:SCOPE_DEV
	s_wait_storecnt 0x0
	global_store_b32 v0, v1, s[4:5] scope:SCOPE_DEV
.LBB42_114:
	s_wait_xcnt 0x0
	s_or_b32 exec_lo, exec_lo, s1
	s_delay_alu instid0(SALU_CYCLE_1)
	s_and_b32 vcc_lo, exec_lo, s0
	s_cbranch_vccz .LBB42_72
.LBB42_115:
	v_or_b32_e32 v0, v8, v9
	s_mov_b32 s0, exec_lo
	s_delay_alu instid0(VALU_DEP_1)
	v_cmpx_eq_u32_e32 0, v0
	s_cbranch_execz .LBB42_72
; %bb.116:
	v_mbcnt_lo_u32_b32 v0, exec_lo, 0
	s_mov_b32 s0, exec_lo
	s_delay_alu instid0(VALU_DEP_1)
	v_cmpx_eq_u32_e32 0, v0
	s_cbranch_execz .LBB42_118
; %bb.117:
	s_add_co_i32 s1, s8, s9
	s_delay_alu instid0(SALU_CYCLE_1)
	v_dual_mov_b32 v0, 0 :: v_dual_mov_b32 v1, s1
	global_atomic_min_i32 v0, v1, s[10:11] scope:SCOPE_DEV
.LBB42_118:
	s_wait_xcnt 0x0
	s_or_b32 exec_lo, exec_lo, s0
	v_dual_mov_b32 v0, 0 :: v_dual_mov_b32 v1, 1
	s_add_nc_u64 s[0:1], s[6:7], s[2:3]
	global_wb scope:SCOPE_DEV
	s_wait_storecnt 0x0
	global_store_b32 v0, v1, s[0:1] scope:SCOPE_DEV
	s_endpgm
	.section	.rodata,"a",@progbits
	.p2align	6, 0x0
	.amdhsa_kernel _ZN9rocsparseL26bsric0_2_8_unrolled_kernelILi9ELi32ELi3E21rocsparse_complex_numIfEEEv20rocsparse_direction_iiPKiS5_PT2_S5_PiS5_S8_21rocsparse_index_base_
		.amdhsa_group_segment_fixed_size 768
		.amdhsa_private_segment_fixed_size 0
		.amdhsa_kernarg_size 76
		.amdhsa_user_sgpr_count 2
		.amdhsa_user_sgpr_dispatch_ptr 0
		.amdhsa_user_sgpr_queue_ptr 0
		.amdhsa_user_sgpr_kernarg_segment_ptr 1
		.amdhsa_user_sgpr_dispatch_id 0
		.amdhsa_user_sgpr_kernarg_preload_length 0
		.amdhsa_user_sgpr_kernarg_preload_offset 0
		.amdhsa_user_sgpr_private_segment_size 0
		.amdhsa_wavefront_size32 1
		.amdhsa_uses_dynamic_stack 0
		.amdhsa_enable_private_segment 0
		.amdhsa_system_sgpr_workgroup_id_x 1
		.amdhsa_system_sgpr_workgroup_id_y 0
		.amdhsa_system_sgpr_workgroup_id_z 0
		.amdhsa_system_sgpr_workgroup_info 0
		.amdhsa_system_vgpr_workitem_id 1
		.amdhsa_next_free_vgpr 44
		.amdhsa_next_free_sgpr 37
		.amdhsa_named_barrier_count 0
		.amdhsa_reserve_vcc 1
		.amdhsa_float_round_mode_32 0
		.amdhsa_float_round_mode_16_64 0
		.amdhsa_float_denorm_mode_32 3
		.amdhsa_float_denorm_mode_16_64 3
		.amdhsa_fp16_overflow 0
		.amdhsa_memory_ordered 1
		.amdhsa_forward_progress 1
		.amdhsa_inst_pref_size 71
		.amdhsa_round_robin_scheduling 0
		.amdhsa_exception_fp_ieee_invalid_op 0
		.amdhsa_exception_fp_denorm_src 0
		.amdhsa_exception_fp_ieee_div_zero 0
		.amdhsa_exception_fp_ieee_overflow 0
		.amdhsa_exception_fp_ieee_underflow 0
		.amdhsa_exception_fp_ieee_inexact 0
		.amdhsa_exception_int_div_zero 0
	.end_amdhsa_kernel
	.section	.text._ZN9rocsparseL26bsric0_2_8_unrolled_kernelILi9ELi32ELi3E21rocsparse_complex_numIfEEEv20rocsparse_direction_iiPKiS5_PT2_S5_PiS5_S8_21rocsparse_index_base_,"axG",@progbits,_ZN9rocsparseL26bsric0_2_8_unrolled_kernelILi9ELi32ELi3E21rocsparse_complex_numIfEEEv20rocsparse_direction_iiPKiS5_PT2_S5_PiS5_S8_21rocsparse_index_base_,comdat
.Lfunc_end42:
	.size	_ZN9rocsparseL26bsric0_2_8_unrolled_kernelILi9ELi32ELi3E21rocsparse_complex_numIfEEEv20rocsparse_direction_iiPKiS5_PT2_S5_PiS5_S8_21rocsparse_index_base_, .Lfunc_end42-_ZN9rocsparseL26bsric0_2_8_unrolled_kernelILi9ELi32ELi3E21rocsparse_complex_numIfEEEv20rocsparse_direction_iiPKiS5_PT2_S5_PiS5_S8_21rocsparse_index_base_
                                        ; -- End function
	.set _ZN9rocsparseL26bsric0_2_8_unrolled_kernelILi9ELi32ELi3E21rocsparse_complex_numIfEEEv20rocsparse_direction_iiPKiS5_PT2_S5_PiS5_S8_21rocsparse_index_base_.num_vgpr, 44
	.set _ZN9rocsparseL26bsric0_2_8_unrolled_kernelILi9ELi32ELi3E21rocsparse_complex_numIfEEEv20rocsparse_direction_iiPKiS5_PT2_S5_PiS5_S8_21rocsparse_index_base_.num_agpr, 0
	.set _ZN9rocsparseL26bsric0_2_8_unrolled_kernelILi9ELi32ELi3E21rocsparse_complex_numIfEEEv20rocsparse_direction_iiPKiS5_PT2_S5_PiS5_S8_21rocsparse_index_base_.numbered_sgpr, 37
	.set _ZN9rocsparseL26bsric0_2_8_unrolled_kernelILi9ELi32ELi3E21rocsparse_complex_numIfEEEv20rocsparse_direction_iiPKiS5_PT2_S5_PiS5_S8_21rocsparse_index_base_.num_named_barrier, 0
	.set _ZN9rocsparseL26bsric0_2_8_unrolled_kernelILi9ELi32ELi3E21rocsparse_complex_numIfEEEv20rocsparse_direction_iiPKiS5_PT2_S5_PiS5_S8_21rocsparse_index_base_.private_seg_size, 0
	.set _ZN9rocsparseL26bsric0_2_8_unrolled_kernelILi9ELi32ELi3E21rocsparse_complex_numIfEEEv20rocsparse_direction_iiPKiS5_PT2_S5_PiS5_S8_21rocsparse_index_base_.uses_vcc, 1
	.set _ZN9rocsparseL26bsric0_2_8_unrolled_kernelILi9ELi32ELi3E21rocsparse_complex_numIfEEEv20rocsparse_direction_iiPKiS5_PT2_S5_PiS5_S8_21rocsparse_index_base_.uses_flat_scratch, 0
	.set _ZN9rocsparseL26bsric0_2_8_unrolled_kernelILi9ELi32ELi3E21rocsparse_complex_numIfEEEv20rocsparse_direction_iiPKiS5_PT2_S5_PiS5_S8_21rocsparse_index_base_.has_dyn_sized_stack, 0
	.set _ZN9rocsparseL26bsric0_2_8_unrolled_kernelILi9ELi32ELi3E21rocsparse_complex_numIfEEEv20rocsparse_direction_iiPKiS5_PT2_S5_PiS5_S8_21rocsparse_index_base_.has_recursion, 0
	.set _ZN9rocsparseL26bsric0_2_8_unrolled_kernelILi9ELi32ELi3E21rocsparse_complex_numIfEEEv20rocsparse_direction_iiPKiS5_PT2_S5_PiS5_S8_21rocsparse_index_base_.has_indirect_call, 0
	.section	.AMDGPU.csdata,"",@progbits
; Kernel info:
; codeLenInByte = 9060
; TotalNumSgprs: 39
; NumVgprs: 44
; ScratchSize: 0
; MemoryBound: 0
; FloatMode: 240
; IeeeMode: 1
; LDSByteSize: 768 bytes/workgroup (compile time only)
; SGPRBlocks: 0
; VGPRBlocks: 2
; NumSGPRsForWavesPerEU: 39
; NumVGPRsForWavesPerEU: 44
; NamedBarCnt: 0
; Occupancy: 16
; WaveLimiterHint : 1
; COMPUTE_PGM_RSRC2:SCRATCH_EN: 0
; COMPUTE_PGM_RSRC2:USER_SGPR: 2
; COMPUTE_PGM_RSRC2:TRAP_HANDLER: 0
; COMPUTE_PGM_RSRC2:TGID_X_EN: 1
; COMPUTE_PGM_RSRC2:TGID_Y_EN: 0
; COMPUTE_PGM_RSRC2:TGID_Z_EN: 0
; COMPUTE_PGM_RSRC2:TIDIG_COMP_CNT: 1
	.section	.text._ZN9rocsparseL26bsric0_2_8_unrolled_kernelILi16ELi32ELi4E21rocsparse_complex_numIfEEEv20rocsparse_direction_iiPKiS5_PT2_S5_PiS5_S8_21rocsparse_index_base_,"axG",@progbits,_ZN9rocsparseL26bsric0_2_8_unrolled_kernelILi16ELi32ELi4E21rocsparse_complex_numIfEEEv20rocsparse_direction_iiPKiS5_PT2_S5_PiS5_S8_21rocsparse_index_base_,comdat
	.globl	_ZN9rocsparseL26bsric0_2_8_unrolled_kernelILi16ELi32ELi4E21rocsparse_complex_numIfEEEv20rocsparse_direction_iiPKiS5_PT2_S5_PiS5_S8_21rocsparse_index_base_ ; -- Begin function _ZN9rocsparseL26bsric0_2_8_unrolled_kernelILi16ELi32ELi4E21rocsparse_complex_numIfEEEv20rocsparse_direction_iiPKiS5_PT2_S5_PiS5_S8_21rocsparse_index_base_
	.p2align	8
	.type	_ZN9rocsparseL26bsric0_2_8_unrolled_kernelILi16ELi32ELi4E21rocsparse_complex_numIfEEEv20rocsparse_direction_iiPKiS5_PT2_S5_PiS5_S8_21rocsparse_index_base_,@function
_ZN9rocsparseL26bsric0_2_8_unrolled_kernelILi16ELi32ELi4E21rocsparse_complex_numIfEEEv20rocsparse_direction_iiPKiS5_PT2_S5_PiS5_S8_21rocsparse_index_base_: ; @_ZN9rocsparseL26bsric0_2_8_unrolled_kernelILi16ELi32ELi4E21rocsparse_complex_numIfEEEv20rocsparse_direction_iiPKiS5_PT2_S5_PiS5_S8_21rocsparse_index_base_
; %bb.0:
	s_load_b256 s[4:11], s[0:1], 0x28
	s_bfe_u32 s2, ttmp6, 0x4000c
	s_and_b32 s3, ttmp6, 15
	s_add_co_i32 s2, s2, 1
	s_getreg_b32 s12, hwreg(HW_REG_IB_STS2, 6, 4)
	s_mul_i32 s2, ttmp9, s2
	v_and_b32_e32 v8, 0x3ff, v0
	s_add_co_i32 s3, s3, s2
	s_cmp_eq_u32 s12, 0
	v_bfe_u32 v9, v0, 10, 10
	s_cselect_b32 s2, ttmp9, s3
	s_wait_kmcnt 0x0
	s_load_b32 s8, s[8:9], s2 offset:0x0 scale_offset
	s_wait_kmcnt 0x0
	s_ashr_i32 s9, s8, 31
	s_delay_alu instid0(SALU_CYCLE_1) | instskip(NEXT) | instid1(SALU_CYCLE_1)
	s_lshl_b64 s[2:3], s[8:9], 2
	s_add_nc_u64 s[12:13], s[4:5], s[2:3]
	s_load_b32 s26, s[12:13], 0x0
	s_load_b32 s9, s[0:1], 0x48
	s_wait_kmcnt 0x0
	s_cmp_lg_u32 s26, -1
	s_cbranch_scc0 .LBB43_15
; %bb.1:
	s_load_b128 s[12:15], s[0:1], 0x10
	s_wait_kmcnt 0x0
	s_add_nc_u64 s[16:17], s[12:13], s[2:3]
	s_load_b32 s17, s[16:17], 0x0
	s_wait_xcnt 0x0
	s_mov_b32 s16, exec_lo
	s_wait_kmcnt 0x0
	s_sub_co_i32 s27, s17, s9
	v_lshlrev_b32_e32 v16, 2, v9
	s_delay_alu instid0(VALU_DEP_1) | instskip(NEXT) | instid1(VALU_DEP_1)
	v_add_nc_u32_e32 v15, v16, v8
	v_add_nc_u32_e32 v0, s27, v15
	s_delay_alu instid0(VALU_DEP_1)
	v_cmpx_ge_i32_e64 s26, v0
	s_cbranch_execz .LBB43_13
; %bb.2:
	v_add_nc_u32_e32 v1, s17, v15
	s_add_co_i32 s18, s26, 1
	v_not_b32_e32 v2, v8
	s_mov_b32 s19, -1
	s_delay_alu instid0(VALU_DEP_2) | instskip(NEXT) | instid1(VALU_DEP_1)
	v_subrev_nc_u32_e32 v1, s9, v1
	v_add_max_i32_e64 v1, v1, 16, s18
	s_mov_b32 s18, exec_lo
	s_delay_alu instid0(VALU_DEP_1) | instskip(SKIP_1) | instid1(VALU_DEP_1)
	v_add3_u32 v1, s9, v1, v2
	v_add_nc_u32_e32 v2, s17, v16
	v_sub_nc_u32_e32 v1, v1, v2
	s_delay_alu instid0(VALU_DEP_1)
	v_cmpx_lt_u32_e32 15, v1
	s_cbranch_execz .LBB43_10
; %bb.3:
	v_dual_lshrrev_b32 v4, 4, v1 :: v_dual_add_nc_u32 v1, 16, v0
	s_delay_alu instid0(VALU_DEP_1) | instskip(NEXT) | instid1(VALU_DEP_1)
	v_add_nc_u32_e32 v2, -1, v4
	v_lshrrev_b32_e32 v3, 1, v2
	s_delay_alu instid0(VALU_DEP_1)
	v_add_nc_u32_e32 v5, 1, v3
	v_cmp_lt_u32_e32 vcc_lo, 13, v2
	v_mov_b64_e32 v[2:3], v[0:1]
	s_and_saveexec_b32 s19, vcc_lo
	s_cbranch_execz .LBB43_7
; %bb.4:
	v_mov_b64_e32 v[2:3], v[0:1]
	v_and_b32_e32 v6, -8, v5
	s_mov_b32 s20, 0
.LBB43_5:                               ; =>This Inner Loop Header: Depth=1
	s_clause 0x1
	global_load_b32 v1, v2, s[14:15] scale_offset
	global_load_b32 v7, v3, s[14:15] scale_offset
	v_add_nc_u32_e32 v18, 0x80, v3
	v_add_nc_u32_e32 v14, 0x60, v3
	v_dual_add_nc_u32 v12, 64, v3 :: v_dual_add_nc_u32 v13, 64, v2
	v_dual_add_nc_u32 v10, 32, v3 :: v_dual_add_nc_u32 v11, 32, v2
	v_add_nc_u32_e32 v17, 0x60, v2
	v_add_nc_u32_e32 v19, 0x80, v2
	;; [unrolled: 1-line block ×8, first 2 shown]
	s_clause 0xd
	global_load_b32 v26, v18, s[14:15] scale_offset
	global_load_b32 v27, v14, s[14:15] scale_offset
	global_load_b32 v28, v12, s[14:15] scale_offset
	global_load_b32 v29, v10, s[14:15] scale_offset
	global_load_b32 v30, v11, s[14:15] scale_offset
	global_load_b32 v31, v13, s[14:15] scale_offset
	global_load_b32 v32, v17, s[14:15] scale_offset
	global_load_b32 v33, v19, s[14:15] scale_offset
	global_load_b32 v34, v24, s[14:15] scale_offset
	global_load_b32 v35, v22, s[14:15] scale_offset
	global_load_b32 v36, v20, s[14:15] scale_offset
	global_load_b32 v37, v21, s[14:15] scale_offset
	global_load_b32 v38, v23, s[14:15] scale_offset
	global_load_b32 v39, v25, s[14:15] scale_offset
	v_subrev_nc_u32_e32 v40, s27, v2
	v_subrev_nc_u32_e32 v41, s27, v3
	v_add_nc_u32_e32 v6, -8, v6
	s_wait_xcnt 0x9
	v_subrev_nc_u32_e32 v11, s27, v11
	v_subrev_nc_u32_e32 v10, s27, v10
	v_dual_lshlrev_b32 v40, 2, v40 :: v_dual_lshlrev_b32 v41, 2, v41
	s_wait_xcnt 0x8
	v_subrev_nc_u32_e32 v13, s27, v13
	v_subrev_nc_u32_e32 v12, s27, v12
	v_cmp_eq_u32_e32 vcc_lo, 0, v6
	s_wait_xcnt 0x7
	v_subrev_nc_u32_e32 v17, s27, v17
	v_add_nc_u32_e32 v3, 0x100, v3
	v_subrev_nc_u32_e32 v14, s27, v14
	v_subrev_nc_u32_e32 v18, s27, v18
	s_wait_xcnt 0x6
	v_subrev_nc_u32_e32 v19, s27, v19
	s_wait_xcnt 0x3
	;; [unrolled: 2-line block ×3, first 2 shown]
	v_subrev_nc_u32_e32 v21, s27, v21
	v_subrev_nc_u32_e32 v22, s27, v22
	s_wait_xcnt 0x1
	v_subrev_nc_u32_e32 v23, s27, v23
	v_subrev_nc_u32_e32 v24, s27, v24
	s_wait_xcnt 0x0
	v_subrev_nc_u32_e32 v25, s27, v25
	v_add_nc_u32_e32 v2, 0x100, v2
	v_dual_lshlrev_b32 v11, 2, v11 :: v_dual_lshlrev_b32 v10, 2, v10
	v_dual_lshlrev_b32 v13, 2, v13 :: v_dual_lshlrev_b32 v12, 2, v12
	v_lshlrev_b32_e32 v17, 2, v17
	s_or_b32 s20, vcc_lo, s20
	v_dual_lshlrev_b32 v14, 2, v14 :: v_dual_lshlrev_b32 v19, 2, v19
	v_dual_lshlrev_b32 v18, 2, v18 :: v_dual_lshlrev_b32 v21, 2, v21
	;; [unrolled: 1-line block ×4, first 2 shown]
	v_lshlrev_b32_e32 v24, 2, v24
	s_wait_loadcnt 0xf
	v_subrev_nc_u32_e32 v1, s9, v1
	s_wait_loadcnt 0xe
	v_subrev_nc_u32_e32 v7, s9, v7
	ds_store_b32 v40, v1 offset:896
	ds_store_b32 v41, v7 offset:896
	s_wait_loadcnt 0xa
	v_subrev_nc_u32_e32 v1, s9, v29
	s_wait_loadcnt 0x9
	v_subrev_nc_u32_e32 v7, s9, v30
	;; [unrolled: 2-line block ×3, first 2 shown]
	v_subrev_nc_u32_e32 v28, s9, v28
	s_wait_loadcnt 0x7
	v_subrev_nc_u32_e32 v30, s9, v32
	v_subrev_nc_u32_e32 v27, s9, v27
	;; [unrolled: 1-line block ×3, first 2 shown]
	s_wait_loadcnt 0x6
	v_subrev_nc_u32_e32 v31, s9, v33
	s_wait_loadcnt 0x3
	v_subrev_nc_u32_e32 v32, s9, v36
	;; [unrolled: 2-line block ×3, first 2 shown]
	v_subrev_nc_u32_e32 v35, s9, v35
	s_wait_loadcnt 0x1
	v_subrev_nc_u32_e32 v36, s9, v38
	v_subrev_nc_u32_e32 v34, s9, v34
	s_wait_loadcnt 0x0
	v_subrev_nc_u32_e32 v37, s9, v39
	ds_store_b32 v11, v7 offset:896
	ds_store_b32 v10, v1 offset:896
	;; [unrolled: 1-line block ×14, first 2 shown]
	s_and_not1_b32 exec_lo, exec_lo, s20
	s_cbranch_execnz .LBB43_5
; %bb.6:
	s_or_b32 exec_lo, exec_lo, s20
.LBB43_7:
	s_delay_alu instid0(SALU_CYCLE_1) | instskip(SKIP_3) | instid1(VALU_DEP_1)
	s_or_b32 exec_lo, exec_lo, s19
	v_and_b32_e32 v1, 7, v5
	s_mov_b32 s20, 0
	s_mov_b32 s19, exec_lo
	v_cmpx_ne_u32_e32 0, v1
	s_cbranch_execz .LBB43_9
.LBB43_8:                               ; =>This Inner Loop Header: Depth=1
	s_clause 0x1
	global_load_b32 v5, v2, s[14:15] scale_offset
	global_load_b32 v6, v3, s[14:15] scale_offset
	v_add_nc_u32_e32 v1, -1, v1
	v_subrev_nc_u32_e32 v7, s27, v2
	v_subrev_nc_u32_e32 v10, s27, v3
	s_wait_xcnt 0x0
	v_dual_add_nc_u32 v3, 32, v3 :: v_dual_add_nc_u32 v2, 32, v2
	v_cmp_eq_u32_e32 vcc_lo, 0, v1
	s_delay_alu instid0(VALU_DEP_3)
	v_dual_lshlrev_b32 v7, 2, v7 :: v_dual_lshlrev_b32 v10, 2, v10
	s_or_b32 s20, vcc_lo, s20
	s_wait_loadcnt 0x1
	v_subrev_nc_u32_e32 v5, s9, v5
	s_wait_loadcnt 0x0
	v_subrev_nc_u32_e32 v6, s9, v6
	ds_store_b32 v7, v5 offset:896
	ds_store_b32 v10, v6 offset:896
	s_and_not1_b32 exec_lo, exec_lo, s20
	s_cbranch_execnz .LBB43_8
.LBB43_9:
	s_or_b32 exec_lo, exec_lo, s19
	v_add_nc_u32_e32 v1, 1, v4
	s_delay_alu instid0(VALU_DEP_1) | instskip(NEXT) | instid1(VALU_DEP_1)
	v_and_b32_e32 v2, 0x1ffffffe, v1
	v_cmp_ne_u32_e32 vcc_lo, v1, v2
	v_lshl_add_u32 v0, v2, 4, v0
	s_or_not1_b32 s19, vcc_lo, exec_lo
.LBB43_10:
	s_or_b32 exec_lo, exec_lo, s18
	s_delay_alu instid0(SALU_CYCLE_1)
	s_and_b32 exec_lo, exec_lo, s19
	s_cbranch_execz .LBB43_13
; %bb.11:
	v_add_nc_u32_e32 v1, s9, v0
	s_delay_alu instid0(VALU_DEP_1) | instskip(SKIP_2) | instid1(VALU_DEP_2)
	v_subrev_nc_u32_e32 v2, s17, v1
	v_ashrrev_i32_e32 v1, 31, v0
	s_mov_b32 s17, 0
	v_lshl_add_u32 v4, v2, 2, 0x380
	s_delay_alu instid0(VALU_DEP_2)
	v_lshl_add_u64 v[2:3], v[0:1], 2, s[14:15]
.LBB43_12:                              ; =>This Inner Loop Header: Depth=1
	global_load_b32 v1, v[2:3], off
	v_add_nc_u32_e32 v0, 16, v0
	s_wait_xcnt 0x0
	v_add_nc_u64_e32 v[2:3], 64, v[2:3]
	s_delay_alu instid0(VALU_DEP_2)
	v_cmp_lt_i32_e32 vcc_lo, s26, v0
	s_or_b32 s17, vcc_lo, s17
	s_wait_loadcnt 0x0
	v_subrev_nc_u32_e32 v1, s9, v1
	ds_store_b32 v4, v1
	v_add_nc_u32_e32 v4, 64, v4
	s_and_not1_b32 exec_lo, exec_lo, s17
	s_cbranch_execnz .LBB43_12
.LBB43_13:
	s_or_b32 exec_lo, exec_lo, s16
	s_load_b64 s[16:17], s[0:1], 0x20
	v_mad_u32_u24 v12, v9, 40, 0x1e0
	v_mov_b64_e32 v[0:1], 0
	s_cmp_lt_i32 s27, s26
	s_delay_alu instid0(VALU_DEP_2)
	v_lshl_add_u32 v10, v8, 3, v12
	ds_store_b64 v10, v[0:1]
	s_wait_dscnt 0x0
	s_cbranch_scc1 .LBB43_17
; %bb.14:
	v_lshl_add_u32 v17, v8, 2, v9
	v_or_b32_e32 v11, v8, v9
	s_mov_b32 s18, 0
	s_branch .LBB43_18
.LBB43_15:
	s_cbranch_execnz .LBB43_119
.LBB43_16:
	s_endpgm
.LBB43_17:
	s_mov_b32 s18, -1
                                        ; implicit-def: $vgpr17
                                        ; implicit-def: $vgpr11
.LBB43_18:
	s_wait_xcnt 0x0
	s_load_b32 s1, s[0:1], 0x0
	v_mad_u32_u24 v14, v9, 40, 0x140
	v_mad_u32_u24 v13, v8, 40, 0x140
	s_and_not1_b32 vcc_lo, exec_lo, s18
	s_cbranch_vccnz .LBB43_60
; %bb.19:
	v_dual_lshlrev_b32 v18, 2, v8 :: v_dual_lshlrev_b32 v0, 3, v8
	s_wait_kmcnt 0x0
	s_cmp_lg_u32 s1, 0
	v_mad_u32_u24 v19, v9, 40, 0xa0
	s_delay_alu instid0(VALU_DEP_2) | instskip(SKIP_2) | instid1(VALU_DEP_2)
	v_dual_add_nc_u32 v17, v18, v9 :: v_dual_bitop2_b32 v11, v8, v9 bitop3:0x54
	s_cselect_b32 s28, -1, 0
	s_cmp_eq_u32 s1, 0
	v_dual_add_nc_u32 v20, v14, v0 :: v_dual_add_nc_u32 v22, v19, v0
	s_cselect_b32 vcc_lo, -1, 0
	v_mad_u32_u24 v21, v9, 40, v0
	v_cmp_ne_u32_e64 s0, 0, v11
	v_dual_cndmask_b32 v23, v17, v15 :: v_dual_mov_b32 v24, 0
	s_mov_b32 s18, s27
	s_branch .LBB43_23
.LBB43_20:                              ;   in Loop: Header=BB43_23 Depth=1
	s_wait_xcnt 0x0
	s_or_b32 exec_lo, exec_lo, s21
	v_dual_mov_b32 v6, 0 :: v_dual_mov_b32 v4, 1.0
.LBB43_21:                              ;   in Loop: Header=BB43_23 Depth=1
	s_or_b32 exec_lo, exec_lo, s20
	ds_load_2addr_b64 v[26:29], v14 offset1:1
	ds_load_2addr_b64 v[30:33], v24 offset0:15 offset1:16
	ds_load_b64 v[34:35], v19 offset:24
	v_mul_f32_e32 v5, v6, v6
	ds_load_b64 v[36:37], v14 offset:16
	ds_load_b64 v[38:39], v24 offset:136
	s_add_co_i32 s18, s18, 1
	s_delay_alu instid0(SALU_CYCLE_1)
	s_cmp_ge_i32 s18, s26
	s_cselect_b32 s24, -1, 0
	s_wait_dscnt 0x3
	v_dual_mov_b32 v40, v33 :: v_dual_fmac_f32 v5, v4, v4
	s_wait_dscnt 0x2
	v_pk_fma_f32 v[34:35], v[30:31], v[26:27], v[34:35] op_sel_hi:[1,0,1]
	s_delay_alu instid0(VALU_DEP_1) | instskip(SKIP_3) | instid1(VALU_DEP_2)
	v_pk_fma_f32 v[26:27], v[30:31], v[26:27], v[34:35] op_sel:[0,1,1] op_sel_hi:[1,1,0] neg_lo:[0,1,0]
	v_mov_b32_e32 v30, v29
	v_div_scale_f32 v7, null, v5, v5, 1.0
	v_div_scale_f32 v31, vcc_lo, 1.0, v5, 1.0
	v_rcp_f32_e32 v25, v7
	v_nop
	s_delay_alu instid0(TRANS32_DEP_1) | instskip(NEXT) | instid1(VALU_DEP_1)
	v_fma_f32 v42, -v7, v25, 1.0
	v_dual_mov_b32 v41, v32 :: v_dual_fmac_f32 v25, v42, v25
	s_delay_alu instid0(VALU_DEP_1) | instskip(NEXT) | instid1(VALU_DEP_2)
	v_pk_fma_f32 v[26:27], v[40:41], v[28:29], v[26:27] op_sel_hi:[1,0,1]
	v_dual_mov_b32 v29, v2 :: v_dual_mul_f32 v34, v31, v25
	s_delay_alu instid0(VALU_DEP_2) | instskip(NEXT) | instid1(VALU_DEP_2)
	v_pk_fma_f32 v[26:27], v[32:33], v[30:31], v[26:27] op_sel_hi:[1,0,1] neg_lo:[0,1,0]
	v_fma_f32 v30, -v7, v34, v31
	s_wait_dscnt 0x0
	s_delay_alu instid0(VALU_DEP_2) | instskip(NEXT) | instid1(VALU_DEP_2)
	v_pk_fma_f32 v[26:27], v[38:39], v[36:37], v[26:27] op_sel:[1,0,0] op_sel_hi:[0,0,1]
	v_dual_mov_b32 v28, v3 :: v_dual_fmac_f32 v34, v30, v25
	s_delay_alu instid0(VALU_DEP_2) | instskip(NEXT) | instid1(VALU_DEP_2)
	v_pk_fma_f32 v[2:3], v[38:39], v[36:37], v[26:27] op_sel:[0,1,0] neg_lo:[0,1,0]
	v_fma_f32 v7, -v7, v34, v31
	s_delay_alu instid0(VALU_DEP_2) | instskip(NEXT) | instid1(VALU_DEP_2)
	v_pk_add_f32 v[2:3], v[28:29], v[2:3] neg_lo:[0,1] neg_hi:[0,1]
	v_div_fmas_f32 v25, v7, v25, v34
	s_delay_alu instid0(VALU_DEP_2) | instskip(NEXT) | instid1(VALU_DEP_2)
	v_pk_mul_f32 v[6:7], v[6:7], v[2:3] op_sel:[0,1] op_sel_hi:[0,0] neg_lo:[0,1]
	v_div_fixup_f32 v26, v25, v5, 1.0
	s_delay_alu instid0(VALU_DEP_2) | instskip(NEXT) | instid1(VALU_DEP_1)
	v_pk_fma_f32 v[2:3], v[2:3], v[4:5], v[6:7] op_sel_hi:[1,0,1]
	v_pk_mul_f32 v[2:3], v[26:27], v[2:3] op_sel_hi:[0,1]
	s_delay_alu instid0(VALU_DEP_1)
	v_dual_mov_b32 v4, v3 :: v_dual_mov_b32 v5, v2
	ds_store_b64 v14, v[4:5] offset:24
	s_wait_storecnt_dscnt 0x0
	ds_load_b64 v[4:5], v13 offset:24
	ds_load_b64 v[6:7], v10
	s_wait_dscnt 0x0
	v_pk_fma_f32 v[6:7], v[2:3], v[4:5], v[6:7] op_sel:[1,0,0] op_sel_hi:[0,0,1]
	s_delay_alu instid0(VALU_DEP_1)
	v_pk_fma_f32 v[2:3], v[2:3], v[4:5], v[6:7] op_sel:[0,1,0] neg_hi:[0,1,0]
	ds_store_b64 v10, v[2:3]
	s_wait_dscnt 0x0
	ds_load_b64 v[2:3], v20
	s_wait_dscnt 0x0
	global_store_b64 v[0:1], v[2:3], off
	global_wb scope:SCOPE_DEV
	s_wait_storecnt 0x0
	global_inv scope:SCOPE_DEV
.LBB43_22:                              ;   in Loop: Header=BB43_23 Depth=1
	s_and_b32 vcc_lo, exec_lo, s24
	s_cbranch_vccnz .LBB43_60
.LBB43_23:                              ; =>This Loop Header: Depth=1
                                        ;     Child Loop BB43_26 Depth 2
                                        ;     Child Loop BB43_37 Depth 2
	;; [unrolled: 1-line block ×3, first 2 shown]
	s_ashr_i32 s19, s18, 31
	s_delay_alu instid0(SALU_CYCLE_1) | instskip(NEXT) | instid1(SALU_CYCLE_1)
	s_lshl_b64 s[20:21], s[18:19], 2
	s_add_nc_u64 s[20:21], s[14:15], s[20:21]
	s_load_b32 s19, s[20:21], 0x0
	s_wait_kmcnt 0x0
	s_sub_co_i32 s22, s19, s9
	s_delay_alu instid0(SALU_CYCLE_1) | instskip(SKIP_2) | instid1(SALU_CYCLE_1)
	s_ashr_i32 s23, s22, 31
	s_wait_xcnt 0x0
	s_lshl_b64 s[20:21], s[22:23], 2
	s_add_nc_u64 s[24:25], s[4:5], s[20:21]
	s_load_b32 s23, s[24:25], 0x0
	s_wait_xcnt 0x0
	s_mov_b32 s24, -1
	s_wait_kmcnt 0x0
	s_cmp_eq_u32 s23, -1
	s_cbranch_scc1 .LBB43_22
; %bb.24:                               ;   in Loop: Header=BB43_23 Depth=1
	v_lshl_add_u32 v0, s18, 4, v23
	s_add_nc_u64 s[24:25], s[12:13], s[20:21]
	ds_load_b32 v1, v24 offset:896
	s_load_b32 s24, s[24:25], 0x0
	global_load_b64 v[2:3], v0, s[16:17] scale_offset
	s_wait_dscnt 0x0
	v_cmp_ge_i32_e32 vcc_lo, s22, v1
	s_wait_kmcnt 0x0
	s_sub_co_i32 s24, s24, s9
	s_delay_alu instid0(SALU_CYCLE_1) | instskip(SKIP_1) | instid1(SALU_CYCLE_1)
	s_cmp_le_i32 s24, s23
	s_cselect_b32 s25, -1, 0
	s_and_b32 s25, s25, vcc_lo
	s_delay_alu instid0(SALU_CYCLE_1)
	s_and_not1_b32 vcc_lo, exec_lo, s25
	s_mov_b32 s25, 0
	s_wait_loadcnt 0x0
	ds_store_b64 v20, v[2:3]
	s_cbranch_vccnz .LBB43_36
; %bb.25:                               ;   in Loop: Header=BB43_23 Depth=1
	s_mov_b32 s29, 0
	s_mov_b32 s30, 0
.LBB43_26:                              ;   Parent Loop BB43_23 Depth=1
                                        ; =>  This Inner Loop Header: Depth=2
	s_ashr_i32 s25, s24, 31
	s_lshl_b32 s31, s30, 2
	s_lshl_b64 s[34:35], s[24:25], 2
	v_mov_b32_e32 v1, s31
	s_add_nc_u64 s[34:35], s[14:15], s[34:35]
                                        ; implicit-def: $sgpr33
	s_load_b32 s25, s[34:35], 0x0
	s_wait_xcnt 0x0
	s_mov_b32 s35, -1
	ds_load_b32 v1, v1 offset:896
                                        ; implicit-def: $sgpr34
	s_wait_kmcnt 0x0
	s_sub_co_i32 s36, s25, s9
                                        ; implicit-def: $sgpr25
	s_wait_dscnt 0x0
	v_readfirstlane_b32 s31, v1
	v_cmp_ge_i32_e32 vcc_lo, s36, v1
	s_cbranch_vccz .LBB43_32
; %bb.27:                               ;   in Loop: Header=BB43_26 Depth=2
	s_cmp_le_i32 s36, s31
                                        ; implicit-def: $sgpr25
                                        ; implicit-def: $sgpr34
                                        ; implicit-def: $sgpr33
	s_cbranch_scc0 .LBB43_29
; %bb.28:                               ;   in Loop: Header=BB43_26 Depth=2
	s_add_co_i32 s25, s30, s27
	s_lshl_b32 s33, s29, 2
	s_lshl_b32 s25, s25, 4
	s_delay_alu instid0(SALU_CYCLE_1)
	v_dual_mov_b32 v1, s33 :: v_dual_mov_b32 v2, s25
	s_lshl_b32 s33, s24, 4
	s_add_co_i32 s34, s24, 1
	v_mov_b32_e32 v3, s33
	s_add_co_i32 s33, s30, 1
	s_add_co_i32 s25, s29, 1
	s_mov_b32 s35, 0
	ds_store_2addr_b32 v1, v3, v2 offset0:160 offset1:192
.LBB43_29:                              ;   in Loop: Header=BB43_26 Depth=2
	s_and_not1_b32 vcc_lo, exec_lo, s35
	s_cbranch_vccnz .LBB43_31
; %bb.30:                               ;   in Loop: Header=BB43_26 Depth=2
	s_add_co_i32 s33, s30, 1
	s_mov_b32 s25, s29
	s_mov_b32 s34, s24
.LBB43_31:                              ;   in Loop: Header=BB43_26 Depth=2
	s_mov_b32 s35, 0
.LBB43_32:                              ;   in Loop: Header=BB43_26 Depth=2
	s_delay_alu instid0(SALU_CYCLE_1)
	s_and_not1_b32 vcc_lo, exec_lo, s35
	s_cbranch_vccnz .LBB43_34
; %bb.33:                               ;   in Loop: Header=BB43_26 Depth=2
	s_add_co_i32 s34, s24, 1
	s_mov_b32 s33, s30
	s_mov_b32 s25, s29
.LBB43_34:                              ;   in Loop: Header=BB43_26 Depth=2
	s_cmp_le_i32 s34, s23
	s_cselect_b32 s24, -1, 0
	s_cmp_le_i32 s31, s22
	s_cselect_b32 s29, -1, 0
	s_delay_alu instid0(SALU_CYCLE_1) | instskip(NEXT) | instid1(SALU_CYCLE_1)
	s_and_b32 s24, s24, s29
	s_and_b32 vcc_lo, exec_lo, s24
	s_cbranch_vccz .LBB43_36
; %bb.35:                               ;   in Loop: Header=BB43_26 Depth=2
	s_mov_b32 s29, s25
	s_mov_b32 s24, s34
	;; [unrolled: 1-line block ×3, first 2 shown]
	s_branch .LBB43_26
.LBB43_36:                              ;   in Loop: Header=BB43_23 Depth=1
	v_ashrrev_i32_e32 v1, 31, v0
	s_add_nc_u64 s[20:21], s[6:7], s[20:21]
	s_wait_dscnt 0x0
	s_wait_xcnt 0x0
	s_delay_alu instid0(VALU_DEP_1)
	v_lshl_add_u64 v[0:1], v[0:1], 3, s[16:17]
.LBB43_37:                              ;   Parent Loop BB43_23 Depth=1
                                        ; =>  This Inner Loop Header: Depth=2
	global_load_b32 v2, v24, s[20:21] scope:SCOPE_DEV
	s_wait_loadcnt 0x0
	v_cmp_eq_u32_e32 vcc_lo, 0, v2
	s_cbranch_vccnz .LBB43_37
; %bb.38:                               ;   in Loop: Header=BB43_23 Depth=1
	v_lshl_add_u32 v2, s23, 4, v23
	global_inv scope:SCOPE_DEV
	v_mov_b32_e32 v7, 0
	s_cmp_lt_i32 s25, 2
	global_load_b64 v[2:3], v2, s[16:17] scale_offset
	v_mov_b32_e32 v6, v7
	s_wait_loadcnt 0x0
	ds_store_b64 v21, v[2:3]
	s_wait_dscnt 0x0
	s_cbranch_scc1 .LBB43_45
; %bb.39:                               ;   in Loop: Header=BB43_23 Depth=1
	v_mov_b32_e32 v6, 0
	s_add_co_i32 s20, s25, -1
	s_movk_i32 s21, 0x280
	s_delay_alu instid0(VALU_DEP_1)
	v_mov_b32_e32 v7, v6
	s_branch .LBB43_41
.LBB43_40:                              ;   in Loop: Header=BB43_41 Depth=2
	s_add_co_i32 s20, s20, -1
	s_add_co_i32 s21, s21, 4
	s_cmp_eq_u32 s20, 0
	s_cbranch_scc1 .LBB43_45
.LBB43_41:                              ;   Parent Loop BB43_23 Depth=1
                                        ; =>  This Inner Loop Header: Depth=2
	s_delay_alu instid0(VALU_DEP_1)
	v_dual_mov_b32 v2, s21 :: v_dual_mov_b32 v3, v7
	s_and_b32 vcc_lo, exec_lo, s28
	s_mov_b32 s22, -1
	s_wait_dscnt 0x0
	ds_load_2addr_b32 v[4:5], v2 offset1:32
	v_mov_b32_e32 v2, v6
                                        ; implicit-def: $vgpr7
	s_cbranch_vccz .LBB43_43
; %bb.42:                               ;   in Loop: Header=BB43_41 Depth=2
	s_wait_dscnt 0x0
	v_dual_add_nc_u32 v25, v4, v8 :: v_dual_add_nc_u32 v38, v5, v9
	s_delay_alu instid0(VALU_DEP_1)
	v_dual_add_nc_u32 v30, 4, v25 :: v_dual_add_nc_u32 v39, 8, v38
	s_clause 0x2
	global_load_b64 v[6:7], v38, s[16:17] scale_offset
	global_load_b64 v[26:27], v30, s[16:17] scale_offset
	;; [unrolled: 1-line block ×3, first 2 shown]
	s_wait_xcnt 0x1
	v_dual_add_nc_u32 v30, 4, v38 :: v_dual_add_nc_u32 v40, 12, v25
	s_wait_xcnt 0x0
	v_add_nc_u32_e32 v25, 8, v25
	s_clause 0x3
	global_load_b64 v[30:31], v30, s[16:17] scale_offset
	global_load_b64 v[32:33], v39, s[16:17] scale_offset
	;; [unrolled: 1-line block ×4, first 2 shown]
	s_wait_xcnt 0x0
	v_add_nc_u32_e32 v25, 12, v38
	global_load_b64 v[38:39], v25, s[16:17] scale_offset
	s_wait_loadcnt 0x5
	v_pk_fma_f32 v[40:41], v[28:29], v[6:7], v[2:3] op_sel_hi:[1,0,1]
	s_delay_alu instid0(VALU_DEP_1) | instskip(SKIP_1) | instid1(VALU_DEP_1)
	v_pk_fma_f32 v[6:7], v[28:29], v[6:7], v[40:41] op_sel:[1,1,0] op_sel_hi:[0,1,1] neg_hi:[0,1,0]
	s_wait_loadcnt 0x4
	v_pk_fma_f32 v[6:7], v[26:27], v[30:31], v[6:7] op_sel_hi:[1,0,1]
	s_delay_alu instid0(VALU_DEP_1) | instskip(SKIP_1) | instid1(VALU_DEP_1)
	v_pk_fma_f32 v[6:7], v[26:27], v[30:31], v[6:7] op_sel:[1,1,0] op_sel_hi:[0,1,1] neg_hi:[0,1,0]
	;; [unrolled: 4-line block ×3, first 2 shown]
	s_wait_loadcnt 0x0
	v_pk_fma_f32 v[6:7], v[34:35], v[38:39], v[6:7] op_sel_hi:[1,0,1]
	s_delay_alu instid0(VALU_DEP_1)
	v_pk_fma_f32 v[6:7], v[34:35], v[38:39], v[6:7] op_sel:[1,1,0] op_sel_hi:[0,1,1] neg_hi:[0,1,0]
	s_cbranch_execnz .LBB43_40
	s_branch .LBB43_44
.LBB43_43:                              ;   in Loop: Header=BB43_41 Depth=2
	s_and_not1_b32 vcc_lo, exec_lo, s22
	s_cbranch_vccnz .LBB43_40
.LBB43_44:                              ;   in Loop: Header=BB43_41 Depth=2
	s_wait_dscnt 0x0
	v_dual_add_nc_u32 v4, v4, v18 :: v_dual_add_nc_u32 v6, v5, v16
	s_delay_alu instid0(VALU_DEP_1) | instskip(NEXT) | instid1(VALU_DEP_1)
	v_dual_ashrrev_i32 v5, 31, v4 :: v_dual_ashrrev_i32 v7, 31, v6
	v_lshl_add_u64 v[38:39], v[4:5], 3, s[16:17]
	s_delay_alu instid0(VALU_DEP_2)
	v_lshl_add_u64 v[40:41], v[6:7], 3, s[16:17]
	s_clause 0x3
	global_load_b128 v[4:7], v[38:39], off
	global_load_b128 v[26:29], v[40:41], off
	global_load_b128 v[30:33], v[40:41], off offset:16
	global_load_b128 v[34:37], v[38:39], off offset:16
	s_wait_loadcnt 0x2
	v_pk_fma_f32 v[2:3], v[4:5], v[26:27], v[2:3] op_sel_hi:[1,0,1]
	s_delay_alu instid0(VALU_DEP_1) | instskip(SKIP_2) | instid1(VALU_DEP_3)
	v_pk_fma_f32 v[2:3], v[4:5], v[26:27], v[2:3] op_sel:[1,1,0] op_sel_hi:[0,1,1] neg_hi:[0,1,0]
	v_dual_mov_b32 v4, v7 :: v_dual_mov_b32 v5, v6
	v_mov_b32_e32 v26, v29
	v_pk_fma_f32 v[2:3], v[6:7], v[28:29], v[2:3] op_sel_hi:[1,0,1]
	s_wait_loadcnt 0x1
	v_mov_b32_e32 v6, v33
	s_delay_alu instid0(VALU_DEP_2) | instskip(SKIP_2) | instid1(VALU_DEP_2)
	v_pk_fma_f32 v[2:3], v[4:5], v[26:27], v[2:3] op_sel_hi:[1,0,1] neg_hi:[0,1,0]
	s_wait_loadcnt 0x0
	v_dual_mov_b32 v4, v37 :: v_dual_mov_b32 v5, v36
	v_pk_fma_f32 v[2:3], v[34:35], v[30:31], v[2:3] op_sel_hi:[1,0,1]
	s_delay_alu instid0(VALU_DEP_1) | instskip(NEXT) | instid1(VALU_DEP_1)
	v_pk_fma_f32 v[2:3], v[34:35], v[30:31], v[2:3] op_sel:[1,1,0] op_sel_hi:[0,1,1] neg_hi:[0,1,0]
	v_pk_fma_f32 v[2:3], v[36:37], v[32:33], v[2:3] op_sel_hi:[1,0,1]
	s_delay_alu instid0(VALU_DEP_1)
	v_pk_fma_f32 v[6:7], v[4:5], v[6:7], v[2:3] op_sel_hi:[1,0,1] neg_hi:[0,1,0]
	s_branch .LBB43_40
.LBB43_45:                              ;   in Loop: Header=BB43_23 Depth=1
	ds_store_b64 v22, v[6:7]
	s_wait_dscnt 0x0
	ds_load_b64 v[2:3], v24
	s_wait_dscnt 0x0
	v_readfirstlane_b32 s20, v2
	v_readfirstlane_b32 s21, v3
	ds_load_b64 v[2:3], v14
	s_cmp_neq_f32 s20, 0
	s_cselect_b32 s22, -1, 0
	s_cmp_neq_f32 s21, 0
	s_cselect_b32 s23, -1, 0
	s_delay_alu instid0(SALU_CYCLE_1) | instskip(NEXT) | instid1(SALU_CYCLE_1)
	s_or_b32 s22, s22, s23
	s_nor_b32 s23, s22, s0
	s_and_b32 s22, s22, exec_lo
	s_cselect_b32 s20, s20, 1.0
	s_cselect_b32 s21, s21, 0
	s_delay_alu instid0(SALU_CYCLE_1)
	v_dual_mov_b32 v4, s20 :: v_dual_mov_b32 v6, s21
	s_and_saveexec_b32 s20, s23
	s_cbranch_execz .LBB43_49
; %bb.46:                               ;   in Loop: Header=BB43_23 Depth=1
	v_mbcnt_lo_u32_b32 v4, exec_lo, 0
	s_mov_b32 s21, exec_lo
	s_delay_alu instid0(VALU_DEP_1)
	v_cmpx_eq_u32_e32 0, v4
	s_cbranch_execz .LBB43_48
; %bb.47:                               ;   in Loop: Header=BB43_23 Depth=1
	v_mov_b32_e32 v4, s19
	global_atomic_min_i32 v24, v4, s[10:11] scope:SCOPE_DEV
.LBB43_48:                              ;   in Loop: Header=BB43_23 Depth=1
	s_wait_xcnt 0x0
	s_or_b32 exec_lo, exec_lo, s21
	v_dual_mov_b32 v6, 0 :: v_dual_mov_b32 v4, 1.0
.LBB43_49:                              ;   in Loop: Header=BB43_23 Depth=1
	s_or_b32 exec_lo, exec_lo, s20
	s_delay_alu instid0(VALU_DEP_1) | instskip(SKIP_3) | instid1(VALU_DEP_1)
	v_mul_f32_e32 v5, v6, v6
	ds_load_b64 v[26:27], v19
	s_wait_dscnt 0x1
	v_dual_mov_b32 v29, v2 :: v_dual_fmac_f32 v5, v4, v4
	v_div_scale_f32 v7, null, v5, v5, 1.0
	v_div_scale_f32 v30, vcc_lo, 1.0, v5, 1.0
	s_delay_alu instid0(VALU_DEP_2) | instskip(SKIP_1) | instid1(TRANS32_DEP_1)
	v_rcp_f32_e32 v25, v7
	v_nop
	v_fma_f32 v28, -v7, v25, 1.0
	s_delay_alu instid0(VALU_DEP_1) | instskip(NEXT) | instid1(VALU_DEP_1)
	v_fmac_f32_e32 v25, v28, v25
	v_mul_f32_e32 v31, v30, v25
	s_delay_alu instid0(VALU_DEP_1) | instskip(NEXT) | instid1(VALU_DEP_1)
	v_fma_f32 v32, -v7, v31, v30
	v_dual_mov_b32 v28, v3 :: v_dual_fmac_f32 v31, v32, v25
	s_wait_dscnt 0x0
	s_delay_alu instid0(VALU_DEP_1) | instskip(NEXT) | instid1(VALU_DEP_2)
	v_pk_add_f32 v[2:3], v[28:29], v[26:27] op_sel:[0,1] op_sel_hi:[1,0] neg_lo:[0,1] neg_hi:[0,1]
	v_fma_f32 v26, -v7, v31, v30
	s_delay_alu instid0(VALU_DEP_2) | instskip(NEXT) | instid1(VALU_DEP_2)
	v_pk_mul_f32 v[6:7], v[6:7], v[2:3] op_sel:[0,1] op_sel_hi:[0,0] neg_lo:[0,1]
	v_div_fmas_f32 v25, v26, v25, v31
	s_delay_alu instid0(VALU_DEP_2) | instskip(NEXT) | instid1(VALU_DEP_2)
	v_pk_fma_f32 v[2:3], v[2:3], v[4:5], v[6:7] op_sel_hi:[1,0,1]
	v_div_fixup_f32 v4, v25, v5, 1.0
	s_delay_alu instid0(VALU_DEP_1) | instskip(NEXT) | instid1(VALU_DEP_1)
	v_pk_mul_f32 v[2:3], v[4:5], v[2:3] op_sel_hi:[0,1]
	v_dual_mov_b32 v4, v3 :: v_dual_mov_b32 v5, v2
	ds_store_b64 v14, v[4:5]
	s_wait_storecnt_dscnt 0x0
	ds_load_b64 v[4:5], v13
	ds_load_b64 v[6:7], v10
	s_wait_dscnt 0x0
	v_pk_fma_f32 v[6:7], v[2:3], v[4:5], v[6:7] op_sel:[1,0,0] op_sel_hi:[0,0,1]
	s_delay_alu instid0(VALU_DEP_1)
	v_pk_fma_f32 v[2:3], v[2:3], v[4:5], v[6:7] op_sel:[0,1,0] neg_hi:[0,1,0]
	ds_store_b64 v10, v[2:3]
	s_wait_dscnt 0x0
	ds_load_b64 v[2:3], v24 offset:48
	s_wait_dscnt 0x0
	v_readfirstlane_b32 s20, v2
	v_readfirstlane_b32 s21, v3
	ds_load_b64 v[2:3], v14 offset:8
	s_cmp_neq_f32 s20, 0
	s_cselect_b32 s22, -1, 0
	s_cmp_neq_f32 s21, 0
	s_cselect_b32 s23, -1, 0
	s_delay_alu instid0(SALU_CYCLE_1) | instskip(NEXT) | instid1(SALU_CYCLE_1)
	s_or_b32 s22, s22, s23
	s_nor_b32 s23, s22, s0
	s_and_b32 s22, s22, exec_lo
	s_cselect_b32 s20, s20, 1.0
	s_cselect_b32 s21, s21, 0
	s_delay_alu instid0(SALU_CYCLE_1)
	v_dual_mov_b32 v4, s20 :: v_dual_mov_b32 v6, s21
	s_and_saveexec_b32 s20, s23
	s_cbranch_execz .LBB43_53
; %bb.50:                               ;   in Loop: Header=BB43_23 Depth=1
	v_mbcnt_lo_u32_b32 v4, exec_lo, 0
	s_mov_b32 s21, exec_lo
	s_delay_alu instid0(VALU_DEP_1)
	v_cmpx_eq_u32_e32 0, v4
	s_cbranch_execz .LBB43_52
; %bb.51:                               ;   in Loop: Header=BB43_23 Depth=1
	v_mov_b32_e32 v4, s19
	global_atomic_min_i32 v24, v4, s[10:11] scope:SCOPE_DEV
.LBB43_52:                              ;   in Loop: Header=BB43_23 Depth=1
	s_wait_xcnt 0x0
	s_or_b32 exec_lo, exec_lo, s21
	v_dual_mov_b32 v6, 0 :: v_dual_mov_b32 v4, 1.0
.LBB43_53:                              ;   in Loop: Header=BB43_23 Depth=1
	s_or_b32 exec_lo, exec_lo, s20
	s_delay_alu instid0(VALU_DEP_1)
	v_mul_f32_e32 v5, v6, v6
	ds_load_b64 v[26:27], v14
	ds_load_b64 v[28:29], v24 offset:40
	ds_load_b64 v[30:31], v19 offset:8
	s_wait_dscnt 0x3
	v_dual_mov_b32 v33, v2 :: v_dual_fmac_f32 v5, v4, v4
	s_delay_alu instid0(VALU_DEP_1) | instskip(SKIP_1) | instid1(VALU_DEP_2)
	v_div_scale_f32 v7, null, v5, v5, 1.0
	v_div_scale_f32 v34, vcc_lo, 1.0, v5, 1.0
	v_rcp_f32_e32 v25, v7
	s_wait_dscnt 0x0
	v_pk_fma_f32 v[30:31], v[28:29], v[26:27], v[30:31] op_sel_hi:[1,0,1]
	s_delay_alu instid0(TRANS32_DEP_1) | instskip(NEXT) | instid1(VALU_DEP_1)
	v_fma_f32 v32, -v7, v25, 1.0
	v_dual_fmac_f32 v25, v32, v25 :: v_dual_mov_b32 v32, v3
	s_delay_alu instid0(VALU_DEP_3) | instskip(NEXT) | instid1(VALU_DEP_2)
	v_pk_fma_f32 v[2:3], v[28:29], v[26:27], v[30:31] op_sel:[0,1,1] op_sel_hi:[1,1,0] neg_lo:[0,1,0]
	v_mul_f32_e32 v35, v34, v25
	s_delay_alu instid0(VALU_DEP_2) | instskip(NEXT) | instid1(VALU_DEP_2)
	v_pk_add_f32 v[2:3], v[32:33], v[2:3] neg_lo:[0,1] neg_hi:[0,1]
	v_fma_f32 v36, -v7, v35, v34
	s_delay_alu instid0(VALU_DEP_1) | instskip(NEXT) | instid1(VALU_DEP_1)
	v_fmac_f32_e32 v35, v36, v25
	v_fma_f32 v26, -v7, v35, v34
	s_delay_alu instid0(VALU_DEP_4) | instskip(NEXT) | instid1(VALU_DEP_2)
	v_pk_mul_f32 v[6:7], v[6:7], v[2:3] op_sel:[0,1] op_sel_hi:[0,0] neg_lo:[0,1]
	v_div_fmas_f32 v25, v26, v25, v35
	s_delay_alu instid0(VALU_DEP_2) | instskip(NEXT) | instid1(VALU_DEP_2)
	v_pk_fma_f32 v[2:3], v[2:3], v[4:5], v[6:7] op_sel_hi:[1,0,1]
	v_div_fixup_f32 v4, v25, v5, 1.0
	s_delay_alu instid0(VALU_DEP_1) | instskip(NEXT) | instid1(VALU_DEP_1)
	v_pk_mul_f32 v[2:3], v[4:5], v[2:3] op_sel_hi:[0,1]
	v_dual_mov_b32 v4, v3 :: v_dual_mov_b32 v5, v2
	ds_store_b64 v14, v[4:5] offset:8
	s_wait_storecnt_dscnt 0x0
	ds_load_b64 v[4:5], v13 offset:8
	ds_load_b64 v[6:7], v10
	s_wait_dscnt 0x0
	v_pk_fma_f32 v[6:7], v[2:3], v[4:5], v[6:7] op_sel:[1,0,0] op_sel_hi:[0,0,1]
	s_delay_alu instid0(VALU_DEP_1)
	v_pk_fma_f32 v[2:3], v[2:3], v[4:5], v[6:7] op_sel:[0,1,0] neg_hi:[0,1,0]
	ds_store_b64 v10, v[2:3]
	s_wait_dscnt 0x0
	ds_load_b64 v[2:3], v24 offset:96
	s_wait_dscnt 0x0
	v_readfirstlane_b32 s20, v2
	v_readfirstlane_b32 s21, v3
	ds_load_b64 v[2:3], v14 offset:16
	s_cmp_neq_f32 s20, 0
	s_cselect_b32 s22, -1, 0
	s_cmp_neq_f32 s21, 0
	s_cselect_b32 s23, -1, 0
	s_delay_alu instid0(SALU_CYCLE_1) | instskip(NEXT) | instid1(SALU_CYCLE_1)
	s_or_b32 s22, s22, s23
	s_nor_b32 s23, s22, s0
	s_and_b32 s22, s22, exec_lo
	s_cselect_b32 s20, s20, 1.0
	s_cselect_b32 s21, s21, 0
	s_delay_alu instid0(SALU_CYCLE_1)
	v_dual_mov_b32 v4, s20 :: v_dual_mov_b32 v6, s21
	s_and_saveexec_b32 s20, s23
	s_cbranch_execz .LBB43_57
; %bb.54:                               ;   in Loop: Header=BB43_23 Depth=1
	v_mbcnt_lo_u32_b32 v4, exec_lo, 0
	s_mov_b32 s21, exec_lo
	s_delay_alu instid0(VALU_DEP_1)
	v_cmpx_eq_u32_e32 0, v4
	s_cbranch_execz .LBB43_56
; %bb.55:                               ;   in Loop: Header=BB43_23 Depth=1
	v_mov_b32_e32 v4, s19
	global_atomic_min_i32 v24, v4, s[10:11] scope:SCOPE_DEV
.LBB43_56:                              ;   in Loop: Header=BB43_23 Depth=1
	s_wait_xcnt 0x0
	s_or_b32 exec_lo, exec_lo, s21
	v_dual_mov_b32 v6, 0 :: v_dual_mov_b32 v4, 1.0
.LBB43_57:                              ;   in Loop: Header=BB43_23 Depth=1
	s_or_b32 exec_lo, exec_lo, s20
	ds_load_2addr_b64 v[26:29], v14 offset1:1
	ds_load_b128 v[30:33], v24 offset:80
	ds_load_b64 v[34:35], v19 offset:16
	s_wait_dscnt 0x1
	v_dual_mul_f32 v5, v6, v6 :: v_dual_mov_b32 v36, v33
	s_delay_alu instid0(VALU_DEP_1) | instskip(SKIP_2) | instid1(VALU_DEP_2)
	v_fmac_f32_e32 v5, v4, v4
	s_wait_dscnt 0x0
	v_pk_fma_f32 v[34:35], v[30:31], v[26:27], v[34:35] op_sel_hi:[1,0,1]
	v_div_scale_f32 v7, null, v5, v5, 1.0
	v_div_scale_f32 v38, vcc_lo, 1.0, v5, 1.0
	s_delay_alu instid0(VALU_DEP_3) | instskip(NEXT) | instid1(VALU_DEP_3)
	v_pk_fma_f32 v[26:27], v[30:31], v[26:27], v[34:35] op_sel:[0,1,1] op_sel_hi:[1,1,0] neg_lo:[0,1,0]
	v_rcp_f32_e32 v25, v7
	v_mov_b32_e32 v30, v29
	s_delay_alu instid0(TRANS32_DEP_1) | instskip(NEXT) | instid1(VALU_DEP_1)
	v_fma_f32 v37, -v7, v25, 1.0
	v_dual_fmac_f32 v25, v37, v25 :: v_dual_mov_b32 v37, v32
	s_delay_alu instid0(VALU_DEP_1) | instskip(NEXT) | instid1(VALU_DEP_2)
	v_mul_f32_e32 v31, v38, v25
	v_pk_fma_f32 v[26:27], v[36:37], v[28:29], v[26:27] op_sel_hi:[1,0,1]
	v_dual_mov_b32 v28, v3 :: v_dual_mov_b32 v29, v2
	s_delay_alu instid0(VALU_DEP_3) | instskip(NEXT) | instid1(VALU_DEP_3)
	v_fma_f32 v34, -v7, v31, v38
	v_pk_fma_f32 v[2:3], v[32:33], v[30:31], v[26:27] op_sel_hi:[1,0,1] neg_lo:[0,1,0]
	s_delay_alu instid0(VALU_DEP_2) | instskip(NEXT) | instid1(VALU_DEP_2)
	v_fmac_f32_e32 v31, v34, v25
	v_pk_add_f32 v[2:3], v[28:29], v[2:3] neg_lo:[0,1] neg_hi:[0,1]
	s_delay_alu instid0(VALU_DEP_2) | instskip(NEXT) | instid1(VALU_DEP_2)
	v_fma_f32 v26, -v7, v31, v38
	v_pk_mul_f32 v[6:7], v[6:7], v[2:3] op_sel:[0,1] op_sel_hi:[0,0] neg_lo:[0,1]
	s_delay_alu instid0(VALU_DEP_2) | instskip(NEXT) | instid1(VALU_DEP_2)
	v_div_fmas_f32 v25, v26, v25, v31
	v_pk_fma_f32 v[2:3], v[2:3], v[4:5], v[6:7] op_sel_hi:[1,0,1]
	s_delay_alu instid0(VALU_DEP_2) | instskip(NEXT) | instid1(VALU_DEP_1)
	v_div_fixup_f32 v4, v25, v5, 1.0
	v_pk_mul_f32 v[2:3], v[4:5], v[2:3] op_sel_hi:[0,1]
	s_delay_alu instid0(VALU_DEP_1)
	v_dual_mov_b32 v4, v3 :: v_dual_mov_b32 v5, v2
	ds_store_b64 v14, v[4:5] offset:16
	s_wait_storecnt_dscnt 0x0
	ds_load_b64 v[4:5], v13 offset:16
	ds_load_b64 v[6:7], v10
	s_wait_dscnt 0x0
	v_pk_fma_f32 v[6:7], v[2:3], v[4:5], v[6:7] op_sel:[1,0,0] op_sel_hi:[0,0,1]
	s_delay_alu instid0(VALU_DEP_1)
	v_pk_fma_f32 v[2:3], v[2:3], v[4:5], v[6:7] op_sel:[0,1,0] neg_hi:[0,1,0]
	ds_store_b64 v10, v[2:3]
	s_wait_dscnt 0x0
	ds_load_b64 v[2:3], v24 offset:144
	s_wait_dscnt 0x0
	v_readfirstlane_b32 s20, v2
	v_readfirstlane_b32 s21, v3
	ds_load_b64 v[2:3], v14 offset:24
	s_cmp_neq_f32 s20, 0
	s_cselect_b32 s22, -1, 0
	s_cmp_neq_f32 s21, 0
	s_cselect_b32 s23, -1, 0
	s_delay_alu instid0(SALU_CYCLE_1) | instskip(NEXT) | instid1(SALU_CYCLE_1)
	s_or_b32 s22, s22, s23
	s_nor_b32 s23, s22, s0
	s_and_b32 s22, s22, exec_lo
	s_cselect_b32 s20, s20, 1.0
	s_cselect_b32 s21, s21, 0
	s_delay_alu instid0(SALU_CYCLE_1)
	v_dual_mov_b32 v4, s20 :: v_dual_mov_b32 v6, s21
	s_and_saveexec_b32 s20, s23
	s_cbranch_execz .LBB43_21
; %bb.58:                               ;   in Loop: Header=BB43_23 Depth=1
	v_mbcnt_lo_u32_b32 v4, exec_lo, 0
	s_mov_b32 s21, exec_lo
	s_delay_alu instid0(VALU_DEP_1)
	v_cmpx_eq_u32_e32 0, v4
	s_cbranch_execz .LBB43_20
; %bb.59:                               ;   in Loop: Header=BB43_23 Depth=1
	v_mov_b32_e32 v4, s19
	global_atomic_min_i32 v24, v4, s[10:11] scope:SCOPE_DEV
	s_branch .LBB43_20
.LBB43_60:
	s_wait_kmcnt 0x0
	s_cmp_eq_u32 s1, 0
	v_lshl_add_u32 v3, v8, 3, v14
	s_cselect_b32 vcc_lo, -1, 0
	v_cmp_ne_u32_e64 s1, 0, v9
	v_cndmask_b32_e32 v0, v17, v15, vcc_lo
	s_mov_b32 s0, exec_lo
	s_delay_alu instid0(VALU_DEP_1)
	v_lshl_add_u32 v0, s26, 4, v0
	global_load_b64 v[4:5], v0, s[16:17] scale_offset
	v_ashrrev_i32_e32 v1, 31, v0
	s_wait_loadcnt 0x0
	ds_store_b64 v3, v[4:5]
	s_wait_dscnt 0x0
	v_cmpx_eq_u32_e32 0, v9
	s_cbranch_execz .LBB43_68
; %bb.61:
	v_mov_b32_e32 v2, 0
	ds_load_2addr_b64 v[4:7], v2 offset0:40 offset1:60
	s_wait_dscnt 0x0
	v_readfirstlane_b32 s4, v6
	v_readfirstlane_b32 s5, v4
	;; [unrolled: 1-line block ×3, first 2 shown]
	s_sub_f32 s4, s5, s4
	v_readfirstlane_b32 s5, v7
	s_delay_alu instid0(SALU_CYCLE_2) | instskip(SKIP_3) | instid1(SALU_CYCLE_2)
	s_xor_b32 s13, s4, 0x80000000
	s_cmp_lt_f32 s4, 0
	s_sub_f32 s12, s12, s5
	s_cselect_b32 s4, s13, s4
	s_xor_b32 s5, s12, 0x80000000
	s_cmp_lt_f32 s12, 0
	s_cselect_b32 s5, s5, s12
	s_delay_alu instid0(SALU_CYCLE_1)
	s_cmp_ngt_f32 s4, s5
	s_cbranch_scc0 .LBB43_64
; %bb.62:
	s_cmp_eq_f32 s12, 0
	s_mov_b32 s12, 0
	s_mov_b32 s13, 0
	s_cbranch_scc1 .LBB43_65
; %bb.63:
	v_div_scale_f32 v2, null, s5, s5, s4
	v_div_scale_f32 v6, vcc_lo, s4, s5, s4
	s_delay_alu instid0(VALU_DEP_2)
	v_rcp_f32_e32 v4, v2
	v_nop
	v_xor_b32_e32 v2, 0x80000000, v2
	s_delay_alu instid0(TRANS32_DEP_1) | instid1(VALU_DEP_1)
	v_fma_f32 v5, v2, v4, 1.0
	s_delay_alu instid0(VALU_DEP_1) | instskip(NEXT) | instid1(VALU_DEP_1)
	v_fmac_f32_e32 v4, v5, v4
	v_mul_f32_e32 v5, v6, v4
	s_delay_alu instid0(VALU_DEP_1) | instskip(NEXT) | instid1(VALU_DEP_1)
	v_fma_f32 v7, v2, v5, v6
	v_fmac_f32_e32 v5, v7, v4
	s_delay_alu instid0(VALU_DEP_1) | instskip(NEXT) | instid1(VALU_DEP_1)
	v_fmac_f32_e32 v6, v2, v5
	v_div_fmas_f32 v2, v6, v4, v5
	s_delay_alu instid0(VALU_DEP_1) | instskip(NEXT) | instid1(VALU_DEP_1)
	v_div_fixup_f32 v2, v2, s5, s4
	v_readfirstlane_b32 s13, v2
	s_fmaak_f32 s13, s13, s13, 0x3f800000
	s_delay_alu instid0(SALU_CYCLE_3) | instskip(SKIP_1) | instid1(SALU_CYCLE_2)
	s_mul_f32 s14, s13, 0x4f800000
	s_cmp_lt_f32 s13, 0xf800000
	s_cselect_b32 s14, s14, s13
	s_delay_alu instid0(SALU_CYCLE_1) | instskip(SKIP_1) | instid1(TRANS32_DEP_1)
	v_s_sqrt_f32 s15, s14
	s_mov_b32 s19, s14
	s_add_co_i32 s18, s15, -1
	s_delay_alu instid0(SALU_CYCLE_1) | instskip(NEXT) | instid1(SALU_CYCLE_1)
	s_xor_b32 s20, s18, 0x80000000
	s_fmac_f32 s19, s20, s15
	s_mov_b32 s20, s14
	s_delay_alu instid0(SALU_CYCLE_2) | instskip(SKIP_2) | instid1(SALU_CYCLE_1)
	s_cmp_le_f32 s19, 0
	s_cselect_b32 s18, s18, s15
	s_add_co_i32 s19, s15, 1
	s_xor_b32 s21, s19, 0x80000000
	s_delay_alu instid0(SALU_CYCLE_1) | instskip(NEXT) | instid1(SALU_CYCLE_3)
	s_fmac_f32 s20, s21, s15
	s_cmp_gt_f32 s20, 0
	s_cselect_b32 s15, s19, s18
	s_cmp_lt_f32 s13, 0xf800000
	s_mul_f32 s13, s15, 0x37800000
	v_cmp_class_f32_e64 s18, s14, 0x260
	s_delay_alu instid0(SALU_CYCLE_2) | instskip(SKIP_2) | instid1(SALU_CYCLE_1)
	s_cselect_b32 s13, s13, s15
	s_and_b32 s15, s18, exec_lo
	s_cselect_b32 s13, s14, s13
	s_mul_f32 s13, s5, s13
	s_branch .LBB43_65
.LBB43_64:
	s_mov_b32 s12, -1
                                        ; implicit-def: $sgpr13
.LBB43_65:
	s_delay_alu instid0(SALU_CYCLE_1)
	s_and_not1_b32 vcc_lo, exec_lo, s12
	s_cbranch_vccnz .LBB43_67
; %bb.66:
	v_div_scale_f32 v2, null, s4, s4, s5
	v_div_scale_f32 v6, vcc_lo, s5, s4, s5
	s_delay_alu instid0(VALU_DEP_2)
	v_rcp_f32_e32 v4, v2
	v_nop
	v_xor_b32_e32 v2, 0x80000000, v2
	s_delay_alu instid0(TRANS32_DEP_1) | instid1(VALU_DEP_1)
	v_fma_f32 v5, v2, v4, 1.0
	s_delay_alu instid0(VALU_DEP_1) | instskip(NEXT) | instid1(VALU_DEP_1)
	v_fmac_f32_e32 v4, v5, v4
	v_mul_f32_e32 v5, v6, v4
	s_delay_alu instid0(VALU_DEP_1) | instskip(NEXT) | instid1(VALU_DEP_1)
	v_fma_f32 v7, v2, v5, v6
	v_fmac_f32_e32 v5, v7, v4
	s_delay_alu instid0(VALU_DEP_1) | instskip(NEXT) | instid1(VALU_DEP_1)
	v_fmac_f32_e32 v6, v2, v5
	v_div_fmas_f32 v2, v6, v4, v5
	s_delay_alu instid0(VALU_DEP_1) | instskip(NEXT) | instid1(VALU_DEP_1)
	v_div_fixup_f32 v2, v2, s4, s5
	v_readfirstlane_b32 s5, v2
	s_fmaak_f32 s5, s5, s5, 0x3f800000
	s_delay_alu instid0(SALU_CYCLE_3) | instskip(SKIP_1) | instid1(SALU_CYCLE_2)
	s_mul_f32 s12, s5, 0x4f800000
	s_cmp_lt_f32 s5, 0xf800000
	s_cselect_b32 s12, s12, s5
	s_delay_alu instid0(SALU_CYCLE_1) | instskip(SKIP_1) | instid1(TRANS32_DEP_1)
	v_s_sqrt_f32 s13, s12
	s_mov_b32 s15, s12
	s_add_co_i32 s14, s13, -1
	s_delay_alu instid0(SALU_CYCLE_1) | instskip(NEXT) | instid1(SALU_CYCLE_1)
	s_xor_b32 s18, s14, 0x80000000
	s_fmac_f32 s15, s18, s13
	s_mov_b32 s18, s12
	s_delay_alu instid0(SALU_CYCLE_2) | instskip(SKIP_2) | instid1(SALU_CYCLE_1)
	s_cmp_le_f32 s15, 0
	s_cselect_b32 s14, s14, s13
	s_add_co_i32 s15, s13, 1
	s_xor_b32 s19, s15, 0x80000000
	s_delay_alu instid0(SALU_CYCLE_1) | instskip(NEXT) | instid1(SALU_CYCLE_3)
	s_fmac_f32 s18, s19, s13
	s_cmp_gt_f32 s18, 0
	s_cselect_b32 s13, s15, s14
	s_cmp_lt_f32 s5, 0xf800000
	s_mul_f32 s5, s13, 0x37800000
	v_cmp_class_f32_e64 s14, s12, 0x260
	s_delay_alu instid0(SALU_CYCLE_2) | instskip(SKIP_2) | instid1(SALU_CYCLE_1)
	s_cselect_b32 s5, s5, s13
	s_and_b32 s13, s14, exec_lo
	s_cselect_b32 s5, s12, s5
	s_mul_f32 s13, s4, s5
.LBB43_67:
	s_delay_alu instid0(SALU_CYCLE_3) | instskip(SKIP_2) | instid1(SALU_CYCLE_1)
	s_mul_f32 s4, s13, 0x4f800000
	s_cmp_lt_f32 s13, 0xf800000
	v_mov_b32_e32 v5, 0
	s_cselect_b32 s4, s4, s13
	s_delay_alu instid0(SALU_CYCLE_1) | instskip(SKIP_1) | instid1(TRANS32_DEP_1)
	v_s_sqrt_f32 s5, s4
	s_mov_b32 s14, s4
	s_add_co_i32 s12, s5, -1
	s_delay_alu instid0(SALU_CYCLE_1) | instskip(NEXT) | instid1(SALU_CYCLE_1)
	s_xor_b32 s15, s12, 0x80000000
	s_fmac_f32 s14, s15, s5
	s_mov_b32 s15, s4
	s_delay_alu instid0(SALU_CYCLE_2) | instskip(SKIP_2) | instid1(SALU_CYCLE_1)
	s_cmp_le_f32 s14, 0
	s_cselect_b32 s12, s12, s5
	s_add_co_i32 s14, s5, 1
	s_xor_b32 s18, s14, 0x80000000
	s_delay_alu instid0(SALU_CYCLE_1) | instskip(SKIP_1) | instid1(SALU_CYCLE_2)
	s_fmac_f32 s15, s18, s5
	v_cmp_class_f32_e64 s5, s4, 0x260
	s_cmp_gt_f32 s15, 0
	s_cselect_b32 s12, s14, s12
	s_cmp_lt_f32 s13, 0xf800000
	s_mul_f32 s13, s12, 0x37800000
	s_delay_alu instid0(SALU_CYCLE_3) | instskip(SKIP_2) | instid1(SALU_CYCLE_1)
	s_cselect_b32 s12, s13, s12
	s_and_b32 s5, s5, exec_lo
	s_cselect_b32 s4, s4, s12
	v_mov_b32_e32 v4, s4
	ds_store_b64 v5, v[4:5] offset:320
.LBB43_68:
	s_or_b32 exec_lo, exec_lo, s0
	v_mov_b32_e32 v2, 0
	s_wait_dscnt 0x0
	s_add_co_i32 s4, s8, s9
	v_cmp_ne_u32_e64 s0, 0, v11
	v_lshl_add_u64 v[0:1], v[0:1], 3, s[16:17]
	ds_load_b64 v[4:5], v2 offset:320
	s_wait_dscnt 0x0
	v_readfirstlane_b32 s5, v4
	v_readfirstlane_b32 s12, v5
	s_cmp_neq_f32 s5, 0
	s_cselect_b32 s13, -1, 0
	s_cmp_neq_f32 s12, 0
	s_cselect_b32 s14, -1, 0
	s_delay_alu instid0(SALU_CYCLE_1) | instskip(NEXT) | instid1(SALU_CYCLE_1)
	s_or_b32 s13, s13, s14
	s_nor_b32 s14, s13, s0
	s_and_b32 s13, s13, exec_lo
	s_cselect_b32 s5, s5, 1.0
	s_cselect_b32 s12, s12, 0
	s_delay_alu instid0(SALU_CYCLE_1)
	v_dual_mov_b32 v2, s5 :: v_dual_mov_b32 v4, s12
	s_and_saveexec_b32 s5, s14
	s_cbranch_execz .LBB43_72
; %bb.69:
	v_mbcnt_lo_u32_b32 v2, exec_lo, 0
	s_mov_b32 s12, exec_lo
	s_delay_alu instid0(VALU_DEP_1)
	v_cmpx_eq_u32_e32 0, v2
	s_cbranch_execz .LBB43_71
; %bb.70:
	v_dual_mov_b32 v2, 0 :: v_dual_mov_b32 v4, s4
	global_atomic_min_i32 v2, v4, s[10:11] scope:SCOPE_DEV
.LBB43_71:
	s_wait_xcnt 0x0
	s_or_b32 exec_lo, exec_lo, s12
	v_dual_mov_b32 v4, 0 :: v_dual_mov_b32 v2, 1.0
.LBB43_72:
	s_or_b32 exec_lo, exec_lo, s5
	s_and_saveexec_b32 s5, s1
	s_cbranch_execz .LBB43_74
; %bb.73:
	s_delay_alu instid0(VALU_DEP_1) | instskip(SKIP_3) | instid1(VALU_DEP_1)
	v_mul_f32_e32 v15, v4, v4
	ds_load_b64 v[6:7], v14
	ds_load_b64 v[16:17], v12
	v_fmac_f32_e32 v15, v2, v2
	v_div_scale_f32 v5, null, v15, v15, 1.0
	v_div_scale_f32 v20, vcc_lo, 1.0, v15, 1.0
	s_delay_alu instid0(VALU_DEP_2) | instskip(SKIP_2) | instid1(TRANS32_DEP_1)
	v_rcp_f32_e32 v18, v5
	s_wait_dscnt 0x0
	v_pk_add_f32 v[6:7], v[6:7], v[16:17] op_sel:[1,1] op_sel_hi:[0,0] neg_lo:[0,1] neg_hi:[0,1]
	v_fma_f32 v19, -v5, v18, 1.0
	s_delay_alu instid0(VALU_DEP_1) | instskip(NEXT) | instid1(VALU_DEP_1)
	v_fmac_f32_e32 v18, v19, v18
	v_mul_f32_e32 v19, v20, v18
	s_delay_alu instid0(VALU_DEP_1) | instskip(NEXT) | instid1(VALU_DEP_1)
	v_fma_f32 v21, -v5, v19, v20
	v_fmac_f32_e32 v19, v21, v18
	s_delay_alu instid0(VALU_DEP_1) | instskip(SKIP_1) | instid1(VALU_DEP_2)
	v_fma_f32 v16, -v5, v19, v20
	v_pk_mul_f32 v[4:5], v[4:5], v[6:7] op_sel:[0,1] op_sel_hi:[0,0] neg_lo:[0,1]
	v_div_fmas_f32 v16, v16, v18, v19
	s_delay_alu instid0(VALU_DEP_2) | instskip(NEXT) | instid1(VALU_DEP_2)
	v_pk_fma_f32 v[4:5], v[6:7], v[2:3], v[4:5] op_sel_hi:[1,0,1]
	v_div_fixup_f32 v2, v16, v15, 1.0
	s_delay_alu instid0(VALU_DEP_1) | instskip(NEXT) | instid1(VALU_DEP_1)
	v_pk_mul_f32 v[4:5], v[2:3], v[4:5] op_sel_hi:[0,1]
	v_dual_mov_b32 v6, v5 :: v_dual_mov_b32 v7, v4
	ds_store_b64 v14, v[6:7]
	s_wait_storecnt_dscnt 0x0
	ds_load_b64 v[6:7], v13
	ds_load_b64 v[16:17], v10
	s_wait_dscnt 0x0
	v_pk_fma_f32 v[16:17], v[4:5], v[6:7], v[16:17] op_sel:[1,0,0] op_sel_hi:[0,0,1]
	s_delay_alu instid0(VALU_DEP_1)
	v_pk_fma_f32 v[4:5], v[4:5], v[6:7], v[16:17] op_sel:[0,1,0] neg_hi:[0,1,0]
	ds_store_b64 v10, v[4:5]
.LBB43_74:
	s_or_b32 exec_lo, exec_lo, s5
	s_delay_alu instid0(SALU_CYCLE_1)
	s_mov_b32 s1, exec_lo
	s_wait_storecnt_dscnt 0x0
	v_cmpx_eq_u32_e32 1, v9
	s_cbranch_execz .LBB43_82
; %bb.75:
	v_mov_b32_e32 v2, 0
	ds_load_2addr_b64 v[4:7], v2 offset0:46 offset1:66
	s_wait_dscnt 0x0
	v_readfirstlane_b32 s5, v6
	v_readfirstlane_b32 s12, v4
	;; [unrolled: 1-line block ×3, first 2 shown]
	s_sub_f32 s5, s12, s5
	v_readfirstlane_b32 s12, v7
	s_delay_alu instid0(SALU_CYCLE_2) | instskip(SKIP_4) | instid1(SALU_CYCLE_1)
	s_xor_b32 s15, s5, 0x80000000
	s_cmp_lt_f32 s5, 0
	s_sub_f32 s14, s13, s12
	s_mov_b32 s13, 0
	s_cselect_b32 s5, s15, s5
	s_xor_b32 s12, s14, 0x80000000
	s_cmp_lt_f32 s14, 0
	s_cselect_b32 s12, s12, s14
	s_delay_alu instid0(SALU_CYCLE_1)
	s_cmp_gt_f32 s5, s12
	s_cbranch_scc1 .LBB43_79
; %bb.76:
	s_cmp_eq_f32 s14, 0
	s_cbranch_scc1 .LBB43_78
; %bb.77:
	v_div_scale_f32 v2, null, s12, s12, s5
	v_div_scale_f32 v6, vcc_lo, s5, s12, s5
	s_delay_alu instid0(VALU_DEP_2)
	v_rcp_f32_e32 v4, v2
	v_nop
	v_xor_b32_e32 v2, 0x80000000, v2
	s_delay_alu instid0(TRANS32_DEP_1) | instid1(VALU_DEP_1)
	v_fma_f32 v5, v2, v4, 1.0
	s_delay_alu instid0(VALU_DEP_1) | instskip(NEXT) | instid1(VALU_DEP_1)
	v_fmac_f32_e32 v4, v5, v4
	v_mul_f32_e32 v5, v6, v4
	s_delay_alu instid0(VALU_DEP_1) | instskip(NEXT) | instid1(VALU_DEP_1)
	v_fma_f32 v7, v2, v5, v6
	v_fmac_f32_e32 v5, v7, v4
	s_delay_alu instid0(VALU_DEP_1) | instskip(NEXT) | instid1(VALU_DEP_1)
	v_fmac_f32_e32 v6, v2, v5
	v_div_fmas_f32 v2, v6, v4, v5
	s_delay_alu instid0(VALU_DEP_1) | instskip(NEXT) | instid1(VALU_DEP_1)
	v_div_fixup_f32 v2, v2, s12, s5
	v_readfirstlane_b32 s13, v2
	s_fmaak_f32 s13, s13, s13, 0x3f800000
	s_delay_alu instid0(SALU_CYCLE_3) | instskip(SKIP_1) | instid1(SALU_CYCLE_2)
	s_mul_f32 s14, s13, 0x4f800000
	s_cmp_lt_f32 s13, 0xf800000
	s_cselect_b32 s14, s14, s13
	s_delay_alu instid0(SALU_CYCLE_1) | instskip(SKIP_1) | instid1(TRANS32_DEP_1)
	v_s_sqrt_f32 s15, s14
	s_mov_b32 s17, s14
	s_add_co_i32 s16, s15, -1
	s_delay_alu instid0(SALU_CYCLE_1) | instskip(NEXT) | instid1(SALU_CYCLE_1)
	s_xor_b32 s18, s16, 0x80000000
	s_fmac_f32 s17, s18, s15
	s_mov_b32 s18, s14
	s_delay_alu instid0(SALU_CYCLE_2) | instskip(SKIP_2) | instid1(SALU_CYCLE_1)
	s_cmp_le_f32 s17, 0
	s_cselect_b32 s16, s16, s15
	s_add_co_i32 s17, s15, 1
	s_xor_b32 s19, s17, 0x80000000
	s_delay_alu instid0(SALU_CYCLE_1) | instskip(NEXT) | instid1(SALU_CYCLE_3)
	s_fmac_f32 s18, s19, s15
	s_cmp_gt_f32 s18, 0
	s_cselect_b32 s15, s17, s16
	s_cmp_lt_f32 s13, 0xf800000
	s_mul_f32 s13, s15, 0x37800000
	v_cmp_class_f32_e64 s16, s14, 0x260
	s_delay_alu instid0(SALU_CYCLE_2) | instskip(SKIP_2) | instid1(SALU_CYCLE_1)
	s_cselect_b32 s13, s13, s15
	s_and_b32 s15, s16, exec_lo
	s_cselect_b32 s13, s14, s13
	s_mul_f32 s13, s12, s13
.LBB43_78:
	s_cbranch_execz .LBB43_80
	s_branch .LBB43_81
.LBB43_79:
                                        ; implicit-def: $sgpr13
.LBB43_80:
	v_div_scale_f32 v2, null, s5, s5, s12
	v_div_scale_f32 v6, vcc_lo, s12, s5, s12
	s_delay_alu instid0(VALU_DEP_2)
	v_rcp_f32_e32 v4, v2
	v_nop
	v_xor_b32_e32 v2, 0x80000000, v2
	s_delay_alu instid0(TRANS32_DEP_1) | instid1(VALU_DEP_1)
	v_fma_f32 v5, v2, v4, 1.0
	s_delay_alu instid0(VALU_DEP_1) | instskip(NEXT) | instid1(VALU_DEP_1)
	v_fmac_f32_e32 v4, v5, v4
	v_mul_f32_e32 v5, v6, v4
	s_delay_alu instid0(VALU_DEP_1) | instskip(NEXT) | instid1(VALU_DEP_1)
	v_fma_f32 v7, v2, v5, v6
	v_fmac_f32_e32 v5, v7, v4
	s_delay_alu instid0(VALU_DEP_1) | instskip(NEXT) | instid1(VALU_DEP_1)
	v_fmac_f32_e32 v6, v2, v5
	v_div_fmas_f32 v2, v6, v4, v5
	s_delay_alu instid0(VALU_DEP_1) | instskip(NEXT) | instid1(VALU_DEP_1)
	v_div_fixup_f32 v2, v2, s5, s12
	v_readfirstlane_b32 s12, v2
	s_fmaak_f32 s12, s12, s12, 0x3f800000
	s_delay_alu instid0(SALU_CYCLE_3) | instskip(SKIP_1) | instid1(SALU_CYCLE_2)
	s_mul_f32 s13, s12, 0x4f800000
	s_cmp_lt_f32 s12, 0xf800000
	s_cselect_b32 s13, s13, s12
	s_delay_alu instid0(SALU_CYCLE_1) | instskip(SKIP_1) | instid1(TRANS32_DEP_1)
	v_s_sqrt_f32 s14, s13
	s_mov_b32 s16, s13
	s_add_co_i32 s15, s14, -1
	s_delay_alu instid0(SALU_CYCLE_1) | instskip(NEXT) | instid1(SALU_CYCLE_1)
	s_xor_b32 s17, s15, 0x80000000
	s_fmac_f32 s16, s17, s14
	s_mov_b32 s17, s13
	s_delay_alu instid0(SALU_CYCLE_2) | instskip(SKIP_2) | instid1(SALU_CYCLE_1)
	s_cmp_le_f32 s16, 0
	s_cselect_b32 s15, s15, s14
	s_add_co_i32 s16, s14, 1
	s_xor_b32 s18, s16, 0x80000000
	s_delay_alu instid0(SALU_CYCLE_1) | instskip(NEXT) | instid1(SALU_CYCLE_3)
	s_fmac_f32 s17, s18, s14
	s_cmp_gt_f32 s17, 0
	s_cselect_b32 s14, s16, s15
	s_cmp_lt_f32 s12, 0xf800000
	s_mul_f32 s12, s14, 0x37800000
	v_cmp_class_f32_e64 s15, s13, 0x260
	s_delay_alu instid0(SALU_CYCLE_2) | instskip(SKIP_2) | instid1(SALU_CYCLE_1)
	s_cselect_b32 s12, s12, s14
	s_and_b32 s14, s15, exec_lo
	s_cselect_b32 s12, s13, s12
	s_mul_f32 s13, s5, s12
.LBB43_81:
	s_delay_alu instid0(SALU_CYCLE_3) | instskip(SKIP_2) | instid1(SALU_CYCLE_1)
	s_mul_f32 s5, s13, 0x4f800000
	s_cmp_lt_f32 s13, 0xf800000
	v_mov_b32_e32 v5, 0
	s_cselect_b32 s5, s5, s13
	s_delay_alu instid0(SALU_CYCLE_1) | instskip(SKIP_1) | instid1(TRANS32_DEP_1)
	v_s_sqrt_f32 s12, s5
	s_mov_b32 s15, s5
	s_add_co_i32 s14, s12, -1
	s_delay_alu instid0(SALU_CYCLE_1) | instskip(NEXT) | instid1(SALU_CYCLE_1)
	s_xor_b32 s16, s14, 0x80000000
	s_fmac_f32 s15, s16, s12
	s_mov_b32 s16, s5
	s_delay_alu instid0(SALU_CYCLE_2) | instskip(SKIP_2) | instid1(SALU_CYCLE_1)
	s_cmp_le_f32 s15, 0
	s_cselect_b32 s14, s14, s12
	s_add_co_i32 s15, s12, 1
	s_xor_b32 s17, s15, 0x80000000
	s_delay_alu instid0(SALU_CYCLE_1) | instskip(SKIP_1) | instid1(SALU_CYCLE_2)
	s_fmac_f32 s16, s17, s12
	v_cmp_class_f32_e64 s12, s5, 0x260
	s_cmp_gt_f32 s16, 0
	s_cselect_b32 s14, s15, s14
	s_cmp_lt_f32 s13, 0xf800000
	s_mul_f32 s13, s14, 0x37800000
	s_delay_alu instid0(SALU_CYCLE_3) | instskip(SKIP_2) | instid1(SALU_CYCLE_1)
	s_cselect_b32 s13, s13, s14
	s_and_b32 s12, s12, exec_lo
	s_cselect_b32 s5, s5, s13
	v_mov_b32_e32 v4, s5
	ds_store_b64 v5, v[4:5] offset:368
.LBB43_82:
	s_or_b32 exec_lo, exec_lo, s1
	v_mov_b32_e32 v2, 0
	s_wait_dscnt 0x0
	ds_load_b64 v[4:5], v2 offset:368
	s_wait_dscnt 0x0
	v_readfirstlane_b32 s1, v4
	v_readfirstlane_b32 s5, v5
	s_cmp_neq_f32 s1, 0
	s_cselect_b32 s12, -1, 0
	s_cmp_neq_f32 s5, 0
	s_cselect_b32 s13, -1, 0
	s_delay_alu instid0(SALU_CYCLE_1) | instskip(NEXT) | instid1(SALU_CYCLE_1)
	s_or_b32 s12, s12, s13
	s_nor_b32 s13, s12, s0
	s_and_b32 s12, s12, exec_lo
	s_cselect_b32 s1, s1, 1.0
	s_cselect_b32 s5, s5, 0
	s_delay_alu instid0(SALU_CYCLE_1)
	v_dual_mov_b32 v2, s1 :: v_dual_mov_b32 v4, s5
	s_and_saveexec_b32 s1, s13
	s_cbranch_execz .LBB43_86
; %bb.83:
	v_mbcnt_lo_u32_b32 v2, exec_lo, 0
	s_mov_b32 s5, exec_lo
	s_delay_alu instid0(VALU_DEP_1)
	v_cmpx_eq_u32_e32 0, v2
	s_cbranch_execz .LBB43_85
; %bb.84:
	v_dual_mov_b32 v2, 0 :: v_dual_mov_b32 v4, s4
	global_atomic_min_i32 v2, v4, s[10:11] scope:SCOPE_DEV
.LBB43_85:
	s_wait_xcnt 0x0
	s_or_b32 exec_lo, exec_lo, s5
	v_dual_mov_b32 v4, 0 :: v_dual_mov_b32 v2, 1.0
.LBB43_86:
	s_or_b32 exec_lo, exec_lo, s1
	s_delay_alu instid0(SALU_CYCLE_1)
	s_mov_b32 s1, exec_lo
	v_cmpx_lt_u32_e32 1, v9
	s_cbranch_execz .LBB43_88
; %bb.87:
	v_mul_f32_e32 v15, v4, v4
	ds_load_b64 v[6:7], v14 offset:8
	ds_load_b64 v[16:17], v12 offset:8
	v_fmac_f32_e32 v15, v2, v2
	s_delay_alu instid0(VALU_DEP_1) | instskip(SKIP_1) | instid1(VALU_DEP_2)
	v_div_scale_f32 v5, null, v15, v15, 1.0
	v_div_scale_f32 v20, vcc_lo, 1.0, v15, 1.0
	v_rcp_f32_e32 v18, v5
	s_wait_dscnt 0x0
	v_pk_add_f32 v[6:7], v[6:7], v[16:17] op_sel:[1,1] op_sel_hi:[0,0] neg_lo:[0,1] neg_hi:[0,1]
	s_delay_alu instid0(TRANS32_DEP_1) | instskip(NEXT) | instid1(VALU_DEP_1)
	v_fma_f32 v19, -v5, v18, 1.0
	v_fmac_f32_e32 v18, v19, v18
	s_delay_alu instid0(VALU_DEP_1) | instskip(NEXT) | instid1(VALU_DEP_1)
	v_mul_f32_e32 v19, v20, v18
	v_fma_f32 v21, -v5, v19, v20
	s_delay_alu instid0(VALU_DEP_1) | instskip(NEXT) | instid1(VALU_DEP_1)
	v_fmac_f32_e32 v19, v21, v18
	v_fma_f32 v16, -v5, v19, v20
	v_pk_mul_f32 v[4:5], v[4:5], v[6:7] op_sel:[0,1] op_sel_hi:[0,0] neg_lo:[0,1]
	s_delay_alu instid0(VALU_DEP_2) | instskip(NEXT) | instid1(VALU_DEP_2)
	v_div_fmas_f32 v16, v16, v18, v19
	v_pk_fma_f32 v[4:5], v[6:7], v[2:3], v[4:5] op_sel_hi:[1,0,1]
	s_delay_alu instid0(VALU_DEP_2) | instskip(NEXT) | instid1(VALU_DEP_1)
	v_div_fixup_f32 v2, v16, v15, 1.0
	v_pk_mul_f32 v[4:5], v[2:3], v[4:5] op_sel_hi:[0,1]
	s_delay_alu instid0(VALU_DEP_1)
	v_dual_mov_b32 v6, v5 :: v_dual_mov_b32 v7, v4
	ds_store_b64 v14, v[6:7] offset:8
	s_wait_storecnt_dscnt 0x0
	ds_load_b64 v[6:7], v13 offset:8
	ds_load_b64 v[16:17], v10
	s_wait_dscnt 0x0
	v_pk_fma_f32 v[16:17], v[4:5], v[6:7], v[16:17] op_sel:[1,0,0] op_sel_hi:[0,0,1]
	s_delay_alu instid0(VALU_DEP_1)
	v_pk_fma_f32 v[4:5], v[4:5], v[6:7], v[16:17] op_sel:[0,1,0] neg_hi:[0,1,0]
	ds_store_b64 v10, v[4:5]
.LBB43_88:
	s_or_b32 exec_lo, exec_lo, s1
	s_delay_alu instid0(SALU_CYCLE_1)
	s_mov_b32 s1, exec_lo
	s_wait_storecnt_dscnt 0x0
	v_cmpx_eq_u32_e32 2, v9
	s_cbranch_execz .LBB43_96
; %bb.89:
	v_mov_b32_e32 v2, 0
	ds_load_2addr_b64 v[4:7], v2 offset0:52 offset1:72
	s_wait_dscnt 0x0
	v_readfirstlane_b32 s5, v6
	v_readfirstlane_b32 s12, v4
	;; [unrolled: 1-line block ×3, first 2 shown]
	s_sub_f32 s5, s12, s5
	v_readfirstlane_b32 s12, v7
	s_delay_alu instid0(SALU_CYCLE_2) | instskip(SKIP_4) | instid1(SALU_CYCLE_1)
	s_xor_b32 s15, s5, 0x80000000
	s_cmp_lt_f32 s5, 0
	s_sub_f32 s14, s13, s12
	s_mov_b32 s13, 0
	s_cselect_b32 s5, s15, s5
	s_xor_b32 s12, s14, 0x80000000
	s_cmp_lt_f32 s14, 0
	s_cselect_b32 s12, s12, s14
	s_delay_alu instid0(SALU_CYCLE_1)
	s_cmp_gt_f32 s5, s12
	s_cbranch_scc1 .LBB43_93
; %bb.90:
	s_cmp_eq_f32 s14, 0
	s_cbranch_scc1 .LBB43_92
; %bb.91:
	v_div_scale_f32 v2, null, s12, s12, s5
	v_div_scale_f32 v6, vcc_lo, s5, s12, s5
	s_delay_alu instid0(VALU_DEP_2)
	v_rcp_f32_e32 v4, v2
	v_nop
	v_xor_b32_e32 v2, 0x80000000, v2
	s_delay_alu instid0(TRANS32_DEP_1) | instid1(VALU_DEP_1)
	v_fma_f32 v5, v2, v4, 1.0
	s_delay_alu instid0(VALU_DEP_1) | instskip(NEXT) | instid1(VALU_DEP_1)
	v_fmac_f32_e32 v4, v5, v4
	v_mul_f32_e32 v5, v6, v4
	s_delay_alu instid0(VALU_DEP_1) | instskip(NEXT) | instid1(VALU_DEP_1)
	v_fma_f32 v7, v2, v5, v6
	v_fmac_f32_e32 v5, v7, v4
	s_delay_alu instid0(VALU_DEP_1) | instskip(NEXT) | instid1(VALU_DEP_1)
	v_fmac_f32_e32 v6, v2, v5
	v_div_fmas_f32 v2, v6, v4, v5
	s_delay_alu instid0(VALU_DEP_1) | instskip(NEXT) | instid1(VALU_DEP_1)
	v_div_fixup_f32 v2, v2, s12, s5
	v_readfirstlane_b32 s13, v2
	s_fmaak_f32 s13, s13, s13, 0x3f800000
	s_delay_alu instid0(SALU_CYCLE_3) | instskip(SKIP_1) | instid1(SALU_CYCLE_2)
	s_mul_f32 s14, s13, 0x4f800000
	s_cmp_lt_f32 s13, 0xf800000
	s_cselect_b32 s14, s14, s13
	s_delay_alu instid0(SALU_CYCLE_1) | instskip(SKIP_1) | instid1(TRANS32_DEP_1)
	v_s_sqrt_f32 s15, s14
	s_mov_b32 s17, s14
	s_add_co_i32 s16, s15, -1
	s_delay_alu instid0(SALU_CYCLE_1) | instskip(NEXT) | instid1(SALU_CYCLE_1)
	s_xor_b32 s18, s16, 0x80000000
	s_fmac_f32 s17, s18, s15
	s_mov_b32 s18, s14
	s_delay_alu instid0(SALU_CYCLE_2) | instskip(SKIP_2) | instid1(SALU_CYCLE_1)
	s_cmp_le_f32 s17, 0
	s_cselect_b32 s16, s16, s15
	s_add_co_i32 s17, s15, 1
	s_xor_b32 s19, s17, 0x80000000
	s_delay_alu instid0(SALU_CYCLE_1) | instskip(NEXT) | instid1(SALU_CYCLE_3)
	s_fmac_f32 s18, s19, s15
	s_cmp_gt_f32 s18, 0
	s_cselect_b32 s15, s17, s16
	s_cmp_lt_f32 s13, 0xf800000
	s_mul_f32 s13, s15, 0x37800000
	v_cmp_class_f32_e64 s16, s14, 0x260
	s_delay_alu instid0(SALU_CYCLE_2) | instskip(SKIP_2) | instid1(SALU_CYCLE_1)
	s_cselect_b32 s13, s13, s15
	s_and_b32 s15, s16, exec_lo
	s_cselect_b32 s13, s14, s13
	s_mul_f32 s13, s12, s13
.LBB43_92:
	s_cbranch_execz .LBB43_94
	s_branch .LBB43_95
.LBB43_93:
                                        ; implicit-def: $sgpr13
.LBB43_94:
	v_div_scale_f32 v2, null, s5, s5, s12
	v_div_scale_f32 v6, vcc_lo, s12, s5, s12
	s_delay_alu instid0(VALU_DEP_2)
	v_rcp_f32_e32 v4, v2
	v_nop
	v_xor_b32_e32 v2, 0x80000000, v2
	s_delay_alu instid0(TRANS32_DEP_1) | instid1(VALU_DEP_1)
	v_fma_f32 v5, v2, v4, 1.0
	s_delay_alu instid0(VALU_DEP_1) | instskip(NEXT) | instid1(VALU_DEP_1)
	v_fmac_f32_e32 v4, v5, v4
	v_mul_f32_e32 v5, v6, v4
	s_delay_alu instid0(VALU_DEP_1) | instskip(NEXT) | instid1(VALU_DEP_1)
	v_fma_f32 v7, v2, v5, v6
	v_fmac_f32_e32 v5, v7, v4
	s_delay_alu instid0(VALU_DEP_1) | instskip(NEXT) | instid1(VALU_DEP_1)
	v_fmac_f32_e32 v6, v2, v5
	v_div_fmas_f32 v2, v6, v4, v5
	s_delay_alu instid0(VALU_DEP_1) | instskip(NEXT) | instid1(VALU_DEP_1)
	v_div_fixup_f32 v2, v2, s5, s12
	v_readfirstlane_b32 s12, v2
	s_fmaak_f32 s12, s12, s12, 0x3f800000
	s_delay_alu instid0(SALU_CYCLE_3) | instskip(SKIP_1) | instid1(SALU_CYCLE_2)
	s_mul_f32 s13, s12, 0x4f800000
	s_cmp_lt_f32 s12, 0xf800000
	s_cselect_b32 s13, s13, s12
	s_delay_alu instid0(SALU_CYCLE_1) | instskip(SKIP_1) | instid1(TRANS32_DEP_1)
	v_s_sqrt_f32 s14, s13
	s_mov_b32 s16, s13
	s_add_co_i32 s15, s14, -1
	s_delay_alu instid0(SALU_CYCLE_1) | instskip(NEXT) | instid1(SALU_CYCLE_1)
	s_xor_b32 s17, s15, 0x80000000
	s_fmac_f32 s16, s17, s14
	s_mov_b32 s17, s13
	s_delay_alu instid0(SALU_CYCLE_2) | instskip(SKIP_2) | instid1(SALU_CYCLE_1)
	s_cmp_le_f32 s16, 0
	s_cselect_b32 s15, s15, s14
	s_add_co_i32 s16, s14, 1
	s_xor_b32 s18, s16, 0x80000000
	s_delay_alu instid0(SALU_CYCLE_1) | instskip(NEXT) | instid1(SALU_CYCLE_3)
	s_fmac_f32 s17, s18, s14
	s_cmp_gt_f32 s17, 0
	s_cselect_b32 s14, s16, s15
	s_cmp_lt_f32 s12, 0xf800000
	s_mul_f32 s12, s14, 0x37800000
	v_cmp_class_f32_e64 s15, s13, 0x260
	s_delay_alu instid0(SALU_CYCLE_2) | instskip(SKIP_2) | instid1(SALU_CYCLE_1)
	s_cselect_b32 s12, s12, s14
	s_and_b32 s14, s15, exec_lo
	s_cselect_b32 s12, s13, s12
	s_mul_f32 s13, s5, s12
.LBB43_95:
	s_delay_alu instid0(SALU_CYCLE_3) | instskip(SKIP_2) | instid1(SALU_CYCLE_1)
	s_mul_f32 s5, s13, 0x4f800000
	s_cmp_lt_f32 s13, 0xf800000
	v_mov_b32_e32 v5, 0
	s_cselect_b32 s5, s5, s13
	s_delay_alu instid0(SALU_CYCLE_1) | instskip(SKIP_1) | instid1(TRANS32_DEP_1)
	v_s_sqrt_f32 s12, s5
	s_mov_b32 s15, s5
	s_add_co_i32 s14, s12, -1
	s_delay_alu instid0(SALU_CYCLE_1) | instskip(NEXT) | instid1(SALU_CYCLE_1)
	s_xor_b32 s16, s14, 0x80000000
	s_fmac_f32 s15, s16, s12
	s_mov_b32 s16, s5
	s_delay_alu instid0(SALU_CYCLE_2) | instskip(SKIP_2) | instid1(SALU_CYCLE_1)
	s_cmp_le_f32 s15, 0
	s_cselect_b32 s14, s14, s12
	s_add_co_i32 s15, s12, 1
	s_xor_b32 s17, s15, 0x80000000
	s_delay_alu instid0(SALU_CYCLE_1) | instskip(SKIP_1) | instid1(SALU_CYCLE_2)
	s_fmac_f32 s16, s17, s12
	v_cmp_class_f32_e64 s12, s5, 0x260
	s_cmp_gt_f32 s16, 0
	s_cselect_b32 s14, s15, s14
	s_cmp_lt_f32 s13, 0xf800000
	s_mul_f32 s13, s14, 0x37800000
	s_delay_alu instid0(SALU_CYCLE_3) | instskip(SKIP_2) | instid1(SALU_CYCLE_1)
	s_cselect_b32 s13, s13, s14
	s_and_b32 s12, s12, exec_lo
	s_cselect_b32 s5, s5, s13
	v_mov_b32_e32 v4, s5
	ds_store_b64 v5, v[4:5] offset:416
.LBB43_96:
	s_or_b32 exec_lo, exec_lo, s1
	v_mov_b32_e32 v2, 0
	s_wait_dscnt 0x0
	ds_load_b64 v[4:5], v2 offset:416
	s_wait_dscnt 0x0
	v_readfirstlane_b32 s1, v4
	v_readfirstlane_b32 s5, v5
	s_cmp_neq_f32 s1, 0
	s_cselect_b32 s12, -1, 0
	s_cmp_neq_f32 s5, 0
	s_cselect_b32 s13, -1, 0
	s_delay_alu instid0(SALU_CYCLE_1) | instskip(NEXT) | instid1(SALU_CYCLE_1)
	s_or_b32 s12, s12, s13
	s_nor_b32 s13, s12, s0
	s_and_b32 s12, s12, exec_lo
	s_cselect_b32 s1, s1, 1.0
	s_cselect_b32 s5, s5, 0
	s_delay_alu instid0(SALU_CYCLE_1)
	v_dual_mov_b32 v2, s1 :: v_dual_mov_b32 v4, s5
	s_and_saveexec_b32 s1, s13
	s_cbranch_execz .LBB43_100
; %bb.97:
	v_mbcnt_lo_u32_b32 v2, exec_lo, 0
	s_mov_b32 s5, exec_lo
	s_delay_alu instid0(VALU_DEP_1)
	v_cmpx_eq_u32_e32 0, v2
	s_cbranch_execz .LBB43_99
; %bb.98:
	v_dual_mov_b32 v2, 0 :: v_dual_mov_b32 v4, s4
	global_atomic_min_i32 v2, v4, s[10:11] scope:SCOPE_DEV
.LBB43_99:
	s_wait_xcnt 0x0
	s_or_b32 exec_lo, exec_lo, s5
	v_dual_mov_b32 v4, 0 :: v_dual_mov_b32 v2, 1.0
.LBB43_100:
	s_or_b32 exec_lo, exec_lo, s1
	s_delay_alu instid0(SALU_CYCLE_1)
	s_mov_b32 s1, exec_lo
	v_cmpx_lt_u32_e32 2, v9
	s_cbranch_execz .LBB43_102
; %bb.101:
	v_mul_f32_e32 v15, v4, v4
	ds_load_b64 v[6:7], v14 offset:16
	ds_load_b64 v[16:17], v12 offset:16
	v_fmac_f32_e32 v15, v2, v2
	s_delay_alu instid0(VALU_DEP_1) | instskip(SKIP_1) | instid1(VALU_DEP_2)
	v_div_scale_f32 v5, null, v15, v15, 1.0
	v_div_scale_f32 v20, vcc_lo, 1.0, v15, 1.0
	v_rcp_f32_e32 v18, v5
	s_wait_dscnt 0x0
	v_pk_add_f32 v[6:7], v[6:7], v[16:17] op_sel:[1,1] op_sel_hi:[0,0] neg_lo:[0,1] neg_hi:[0,1]
	s_delay_alu instid0(TRANS32_DEP_1) | instskip(NEXT) | instid1(VALU_DEP_1)
	v_fma_f32 v19, -v5, v18, 1.0
	v_fmac_f32_e32 v18, v19, v18
	s_delay_alu instid0(VALU_DEP_1) | instskip(NEXT) | instid1(VALU_DEP_1)
	v_mul_f32_e32 v19, v20, v18
	v_fma_f32 v21, -v5, v19, v20
	s_delay_alu instid0(VALU_DEP_1) | instskip(NEXT) | instid1(VALU_DEP_1)
	v_fmac_f32_e32 v19, v21, v18
	v_fma_f32 v16, -v5, v19, v20
	v_pk_mul_f32 v[4:5], v[4:5], v[6:7] op_sel:[0,1] op_sel_hi:[0,0] neg_lo:[0,1]
	s_delay_alu instid0(VALU_DEP_2) | instskip(NEXT) | instid1(VALU_DEP_2)
	v_div_fmas_f32 v16, v16, v18, v19
	v_pk_fma_f32 v[4:5], v[6:7], v[2:3], v[4:5] op_sel_hi:[1,0,1]
	s_delay_alu instid0(VALU_DEP_2) | instskip(NEXT) | instid1(VALU_DEP_1)
	v_div_fixup_f32 v2, v16, v15, 1.0
	v_pk_mul_f32 v[4:5], v[2:3], v[4:5] op_sel_hi:[0,1]
	s_delay_alu instid0(VALU_DEP_1)
	v_dual_mov_b32 v6, v5 :: v_dual_mov_b32 v7, v4
	ds_store_b64 v14, v[6:7] offset:16
	s_wait_storecnt_dscnt 0x0
	ds_load_b64 v[6:7], v13 offset:16
	ds_load_b64 v[16:17], v10
	s_wait_dscnt 0x0
	v_pk_fma_f32 v[16:17], v[4:5], v[6:7], v[16:17] op_sel:[1,0,0] op_sel_hi:[0,0,1]
	s_delay_alu instid0(VALU_DEP_1)
	v_pk_fma_f32 v[4:5], v[4:5], v[6:7], v[16:17] op_sel:[0,1,0] neg_hi:[0,1,0]
	ds_store_b64 v10, v[4:5]
.LBB43_102:
	s_or_b32 exec_lo, exec_lo, s1
	s_delay_alu instid0(SALU_CYCLE_1)
	s_mov_b32 s1, exec_lo
	s_wait_storecnt_dscnt 0x0
	v_cmpx_eq_u32_e32 3, v9
	s_cbranch_execz .LBB43_110
; %bb.103:
	v_mov_b32_e32 v2, 0
	ds_load_2addr_b64 v[4:7], v2 offset0:58 offset1:78
	s_wait_dscnt 0x0
	v_readfirstlane_b32 s5, v6
	v_readfirstlane_b32 s12, v4
	;; [unrolled: 1-line block ×3, first 2 shown]
	s_sub_f32 s5, s12, s5
	v_readfirstlane_b32 s12, v7
	s_delay_alu instid0(SALU_CYCLE_2) | instskip(SKIP_4) | instid1(SALU_CYCLE_1)
	s_xor_b32 s15, s5, 0x80000000
	s_cmp_lt_f32 s5, 0
	s_sub_f32 s14, s13, s12
	s_mov_b32 s13, 0
	s_cselect_b32 s5, s15, s5
	s_xor_b32 s12, s14, 0x80000000
	s_cmp_lt_f32 s14, 0
	s_cselect_b32 s12, s12, s14
	s_delay_alu instid0(SALU_CYCLE_1)
	s_cmp_gt_f32 s5, s12
	s_cbranch_scc1 .LBB43_107
; %bb.104:
	s_cmp_eq_f32 s14, 0
	s_cbranch_scc1 .LBB43_106
; %bb.105:
	v_div_scale_f32 v2, null, s12, s12, s5
	v_div_scale_f32 v6, vcc_lo, s5, s12, s5
	s_delay_alu instid0(VALU_DEP_2)
	v_rcp_f32_e32 v4, v2
	v_nop
	v_xor_b32_e32 v2, 0x80000000, v2
	s_delay_alu instid0(TRANS32_DEP_1) | instid1(VALU_DEP_1)
	v_fma_f32 v5, v2, v4, 1.0
	s_delay_alu instid0(VALU_DEP_1) | instskip(NEXT) | instid1(VALU_DEP_1)
	v_fmac_f32_e32 v4, v5, v4
	v_mul_f32_e32 v5, v6, v4
	s_delay_alu instid0(VALU_DEP_1) | instskip(NEXT) | instid1(VALU_DEP_1)
	v_fma_f32 v7, v2, v5, v6
	v_fmac_f32_e32 v5, v7, v4
	s_delay_alu instid0(VALU_DEP_1) | instskip(NEXT) | instid1(VALU_DEP_1)
	v_fmac_f32_e32 v6, v2, v5
	v_div_fmas_f32 v2, v6, v4, v5
	s_delay_alu instid0(VALU_DEP_1) | instskip(NEXT) | instid1(VALU_DEP_1)
	v_div_fixup_f32 v2, v2, s12, s5
	v_readfirstlane_b32 s13, v2
	s_fmaak_f32 s13, s13, s13, 0x3f800000
	s_delay_alu instid0(SALU_CYCLE_3) | instskip(SKIP_1) | instid1(SALU_CYCLE_2)
	s_mul_f32 s14, s13, 0x4f800000
	s_cmp_lt_f32 s13, 0xf800000
	s_cselect_b32 s14, s14, s13
	s_delay_alu instid0(SALU_CYCLE_1) | instskip(SKIP_1) | instid1(TRANS32_DEP_1)
	v_s_sqrt_f32 s15, s14
	s_mov_b32 s17, s14
	s_add_co_i32 s16, s15, -1
	s_delay_alu instid0(SALU_CYCLE_1) | instskip(NEXT) | instid1(SALU_CYCLE_1)
	s_xor_b32 s18, s16, 0x80000000
	s_fmac_f32 s17, s18, s15
	s_mov_b32 s18, s14
	s_delay_alu instid0(SALU_CYCLE_2) | instskip(SKIP_2) | instid1(SALU_CYCLE_1)
	s_cmp_le_f32 s17, 0
	s_cselect_b32 s16, s16, s15
	s_add_co_i32 s17, s15, 1
	s_xor_b32 s19, s17, 0x80000000
	s_delay_alu instid0(SALU_CYCLE_1) | instskip(NEXT) | instid1(SALU_CYCLE_3)
	s_fmac_f32 s18, s19, s15
	s_cmp_gt_f32 s18, 0
	s_cselect_b32 s15, s17, s16
	s_cmp_lt_f32 s13, 0xf800000
	s_mul_f32 s13, s15, 0x37800000
	v_cmp_class_f32_e64 s16, s14, 0x260
	s_delay_alu instid0(SALU_CYCLE_2) | instskip(SKIP_2) | instid1(SALU_CYCLE_1)
	s_cselect_b32 s13, s13, s15
	s_and_b32 s15, s16, exec_lo
	s_cselect_b32 s13, s14, s13
	s_mul_f32 s13, s12, s13
.LBB43_106:
	s_cbranch_execz .LBB43_108
	s_branch .LBB43_109
.LBB43_107:
                                        ; implicit-def: $sgpr13
.LBB43_108:
	v_div_scale_f32 v2, null, s5, s5, s12
	v_div_scale_f32 v6, vcc_lo, s12, s5, s12
	s_delay_alu instid0(VALU_DEP_2)
	v_rcp_f32_e32 v4, v2
	v_nop
	v_xor_b32_e32 v2, 0x80000000, v2
	s_delay_alu instid0(TRANS32_DEP_1) | instid1(VALU_DEP_1)
	v_fma_f32 v5, v2, v4, 1.0
	s_delay_alu instid0(VALU_DEP_1) | instskip(NEXT) | instid1(VALU_DEP_1)
	v_fmac_f32_e32 v4, v5, v4
	v_mul_f32_e32 v5, v6, v4
	s_delay_alu instid0(VALU_DEP_1) | instskip(NEXT) | instid1(VALU_DEP_1)
	v_fma_f32 v7, v2, v5, v6
	v_fmac_f32_e32 v5, v7, v4
	s_delay_alu instid0(VALU_DEP_1) | instskip(NEXT) | instid1(VALU_DEP_1)
	v_fmac_f32_e32 v6, v2, v5
	v_div_fmas_f32 v2, v6, v4, v5
	s_delay_alu instid0(VALU_DEP_1) | instskip(NEXT) | instid1(VALU_DEP_1)
	v_div_fixup_f32 v2, v2, s5, s12
	v_readfirstlane_b32 s12, v2
	s_fmaak_f32 s12, s12, s12, 0x3f800000
	s_delay_alu instid0(SALU_CYCLE_3) | instskip(SKIP_1) | instid1(SALU_CYCLE_2)
	s_mul_f32 s13, s12, 0x4f800000
	s_cmp_lt_f32 s12, 0xf800000
	s_cselect_b32 s13, s13, s12
	s_delay_alu instid0(SALU_CYCLE_1) | instskip(SKIP_1) | instid1(TRANS32_DEP_1)
	v_s_sqrt_f32 s14, s13
	s_mov_b32 s16, s13
	s_add_co_i32 s15, s14, -1
	s_delay_alu instid0(SALU_CYCLE_1) | instskip(NEXT) | instid1(SALU_CYCLE_1)
	s_xor_b32 s17, s15, 0x80000000
	s_fmac_f32 s16, s17, s14
	s_mov_b32 s17, s13
	s_delay_alu instid0(SALU_CYCLE_2) | instskip(SKIP_2) | instid1(SALU_CYCLE_1)
	s_cmp_le_f32 s16, 0
	s_cselect_b32 s15, s15, s14
	s_add_co_i32 s16, s14, 1
	s_xor_b32 s18, s16, 0x80000000
	s_delay_alu instid0(SALU_CYCLE_1) | instskip(NEXT) | instid1(SALU_CYCLE_3)
	s_fmac_f32 s17, s18, s14
	s_cmp_gt_f32 s17, 0
	s_cselect_b32 s14, s16, s15
	s_cmp_lt_f32 s12, 0xf800000
	s_mul_f32 s12, s14, 0x37800000
	v_cmp_class_f32_e64 s15, s13, 0x260
	s_delay_alu instid0(SALU_CYCLE_2) | instskip(SKIP_2) | instid1(SALU_CYCLE_1)
	s_cselect_b32 s12, s12, s14
	s_and_b32 s14, s15, exec_lo
	s_cselect_b32 s12, s13, s12
	s_mul_f32 s13, s5, s12
.LBB43_109:
	s_delay_alu instid0(SALU_CYCLE_3) | instskip(SKIP_2) | instid1(SALU_CYCLE_1)
	s_mul_f32 s5, s13, 0x4f800000
	s_cmp_lt_f32 s13, 0xf800000
	v_mov_b32_e32 v5, 0
	s_cselect_b32 s5, s5, s13
	s_delay_alu instid0(SALU_CYCLE_1) | instskip(SKIP_1) | instid1(TRANS32_DEP_1)
	v_s_sqrt_f32 s12, s5
	s_mov_b32 s15, s5
	s_add_co_i32 s14, s12, -1
	s_delay_alu instid0(SALU_CYCLE_1) | instskip(NEXT) | instid1(SALU_CYCLE_1)
	s_xor_b32 s16, s14, 0x80000000
	s_fmac_f32 s15, s16, s12
	s_mov_b32 s16, s5
	s_delay_alu instid0(SALU_CYCLE_2) | instskip(SKIP_2) | instid1(SALU_CYCLE_1)
	s_cmp_le_f32 s15, 0
	s_cselect_b32 s14, s14, s12
	s_add_co_i32 s15, s12, 1
	s_xor_b32 s17, s15, 0x80000000
	s_delay_alu instid0(SALU_CYCLE_1) | instskip(SKIP_1) | instid1(SALU_CYCLE_2)
	s_fmac_f32 s16, s17, s12
	v_cmp_class_f32_e64 s12, s5, 0x260
	s_cmp_gt_f32 s16, 0
	s_cselect_b32 s14, s15, s14
	s_cmp_lt_f32 s13, 0xf800000
	s_mul_f32 s13, s14, 0x37800000
	s_delay_alu instid0(SALU_CYCLE_3) | instskip(SKIP_2) | instid1(SALU_CYCLE_1)
	s_cselect_b32 s13, s13, s14
	s_and_b32 s12, s12, exec_lo
	s_cselect_b32 s5, s5, s13
	v_mov_b32_e32 v4, s5
	ds_store_b64 v5, v[4:5] offset:464
.LBB43_110:
	s_or_b32 exec_lo, exec_lo, s1
	v_mov_b32_e32 v2, 0
	s_wait_dscnt 0x0
	ds_load_b64 v[4:5], v2 offset:464
	s_wait_dscnt 0x0
	v_readfirstlane_b32 s1, v4
	v_readfirstlane_b32 s5, v5
	s_cmp_neq_f32 s1, 0
	s_cselect_b32 s12, -1, 0
	s_cmp_neq_f32 s5, 0
	s_cselect_b32 s13, -1, 0
	s_delay_alu instid0(SALU_CYCLE_1) | instskip(NEXT) | instid1(SALU_CYCLE_1)
	s_or_b32 s12, s12, s13
	s_nor_b32 s13, s12, s0
	s_and_b32 s0, s12, exec_lo
	s_cselect_b32 s0, s1, 1.0
	s_cselect_b32 s1, s5, 0
	s_delay_alu instid0(SALU_CYCLE_1)
	v_dual_mov_b32 v2, s0 :: v_dual_mov_b32 v4, s1
	s_and_saveexec_b32 s0, s13
	s_cbranch_execz .LBB43_114
; %bb.111:
	v_mbcnt_lo_u32_b32 v2, exec_lo, 0
	s_mov_b32 s1, exec_lo
	s_delay_alu instid0(VALU_DEP_1)
	v_cmpx_eq_u32_e32 0, v2
	s_cbranch_execz .LBB43_113
; %bb.112:
	v_dual_mov_b32 v2, 0 :: v_dual_mov_b32 v4, s4
	global_atomic_min_i32 v2, v4, s[10:11] scope:SCOPE_DEV
.LBB43_113:
	s_wait_xcnt 0x0
	s_or_b32 exec_lo, exec_lo, s1
	v_dual_mov_b32 v4, 0 :: v_dual_mov_b32 v2, 1.0
.LBB43_114:
	s_or_b32 exec_lo, exec_lo, s0
	s_delay_alu instid0(SALU_CYCLE_1)
	s_mov_b32 s0, exec_lo
	v_cmpx_lt_u32_e32 3, v9
	s_cbranch_execz .LBB43_116
; %bb.115:
	v_mul_f32_e32 v15, v4, v4
	ds_load_b64 v[6:7], v14 offset:24
	ds_load_b64 v[16:17], v12 offset:24
	v_fmac_f32_e32 v15, v2, v2
	s_delay_alu instid0(VALU_DEP_1) | instskip(SKIP_1) | instid1(VALU_DEP_2)
	v_div_scale_f32 v5, null, v15, v15, 1.0
	v_div_scale_f32 v12, vcc_lo, 1.0, v15, 1.0
	v_rcp_f32_e32 v18, v5
	s_wait_dscnt 0x0
	v_pk_add_f32 v[6:7], v[6:7], v[16:17] op_sel:[1,1] op_sel_hi:[0,0] neg_lo:[0,1] neg_hi:[0,1]
	s_delay_alu instid0(TRANS32_DEP_1) | instskip(NEXT) | instid1(VALU_DEP_1)
	v_fma_f32 v19, -v5, v18, 1.0
	v_fmac_f32_e32 v18, v19, v18
	s_delay_alu instid0(VALU_DEP_1) | instskip(NEXT) | instid1(VALU_DEP_1)
	v_mul_f32_e32 v19, v12, v18
	v_fma_f32 v20, -v5, v19, v12
	s_delay_alu instid0(VALU_DEP_1) | instskip(NEXT) | instid1(VALU_DEP_1)
	v_fmac_f32_e32 v19, v20, v18
	v_fma_f32 v12, -v5, v19, v12
	v_pk_mul_f32 v[4:5], v[4:5], v[6:7] op_sel:[0,1] op_sel_hi:[0,0] neg_lo:[0,1]
	s_delay_alu instid0(VALU_DEP_2) | instskip(NEXT) | instid1(VALU_DEP_2)
	v_div_fmas_f32 v12, v12, v18, v19
	v_pk_fma_f32 v[4:5], v[6:7], v[2:3], v[4:5] op_sel_hi:[1,0,1]
	s_delay_alu instid0(VALU_DEP_2) | instskip(NEXT) | instid1(VALU_DEP_1)
	v_div_fixup_f32 v2, v12, v15, 1.0
	v_pk_mul_f32 v[4:5], v[2:3], v[4:5] op_sel_hi:[0,1]
	s_delay_alu instid0(VALU_DEP_1)
	v_dual_mov_b32 v6, v5 :: v_dual_mov_b32 v7, v4
	ds_store_b64 v14, v[6:7] offset:24
	s_wait_storecnt_dscnt 0x0
	ds_load_b64 v[6:7], v13 offset:24
	ds_load_b64 v[12:13], v10
	s_wait_dscnt 0x0
	v_pk_fma_f32 v[12:13], v[4:5], v[6:7], v[12:13] op_sel:[1,0,0] op_sel_hi:[0,0,1]
	s_delay_alu instid0(VALU_DEP_1)
	v_pk_fma_f32 v[4:5], v[4:5], v[6:7], v[12:13] op_sel:[0,1,0] neg_hi:[0,1,0]
	ds_store_b64 v10, v[4:5]
.LBB43_116:
	s_or_b32 exec_lo, exec_lo, s0
	s_wait_storecnt_dscnt 0x0
	ds_load_b64 v[2:3], v3
	s_mov_b32 s0, 0
	s_mov_b32 s1, exec_lo
	s_wait_dscnt 0x0
	global_store_b64 v[0:1], v[2:3], off
	s_wait_xcnt 0x0
	v_cmpx_eq_u32_e32 0, v11
	s_cbranch_execz .LBB43_118
; %bb.117:
	v_dual_mov_b32 v0, 0 :: v_dual_mov_b32 v1, 1
	s_add_nc_u64 s[4:5], s[6:7], s[2:3]
	global_wb scope:SCOPE_DEV
	s_wait_storecnt 0x0
	global_store_b32 v0, v1, s[4:5] scope:SCOPE_DEV
.LBB43_118:
	s_wait_xcnt 0x0
	s_or_b32 exec_lo, exec_lo, s1
	s_delay_alu instid0(SALU_CYCLE_1)
	s_and_b32 vcc_lo, exec_lo, s0
	s_cbranch_vccz .LBB43_16
.LBB43_119:
	v_or_b32_e32 v0, v8, v9
	s_mov_b32 s0, exec_lo
	s_delay_alu instid0(VALU_DEP_1)
	v_cmpx_eq_u32_e32 0, v0
	s_cbranch_execz .LBB43_16
; %bb.120:
	v_mbcnt_lo_u32_b32 v0, exec_lo, 0
	s_mov_b32 s0, exec_lo
	s_delay_alu instid0(VALU_DEP_1)
	v_cmpx_eq_u32_e32 0, v0
	s_cbranch_execz .LBB43_122
; %bb.121:
	s_add_co_i32 s1, s8, s9
	s_delay_alu instid0(SALU_CYCLE_1)
	v_dual_mov_b32 v0, 0 :: v_dual_mov_b32 v1, s1
	global_atomic_min_i32 v0, v1, s[10:11] scope:SCOPE_DEV
.LBB43_122:
	s_wait_xcnt 0x0
	s_or_b32 exec_lo, exec_lo, s0
	v_dual_mov_b32 v0, 0 :: v_dual_mov_b32 v1, 1
	s_add_nc_u64 s[0:1], s[6:7], s[2:3]
	global_wb scope:SCOPE_DEV
	s_wait_storecnt 0x0
	global_store_b32 v0, v1, s[0:1] scope:SCOPE_DEV
	s_endpgm
	.section	.rodata,"a",@progbits
	.p2align	6, 0x0
	.amdhsa_kernel _ZN9rocsparseL26bsric0_2_8_unrolled_kernelILi16ELi32ELi4E21rocsparse_complex_numIfEEEv20rocsparse_direction_iiPKiS5_PT2_S5_PiS5_S8_21rocsparse_index_base_
		.amdhsa_group_segment_fixed_size 1024
		.amdhsa_private_segment_fixed_size 0
		.amdhsa_kernarg_size 76
		.amdhsa_user_sgpr_count 2
		.amdhsa_user_sgpr_dispatch_ptr 0
		.amdhsa_user_sgpr_queue_ptr 0
		.amdhsa_user_sgpr_kernarg_segment_ptr 1
		.amdhsa_user_sgpr_dispatch_id 0
		.amdhsa_user_sgpr_kernarg_preload_length 0
		.amdhsa_user_sgpr_kernarg_preload_offset 0
		.amdhsa_user_sgpr_private_segment_size 0
		.amdhsa_wavefront_size32 1
		.amdhsa_uses_dynamic_stack 0
		.amdhsa_enable_private_segment 0
		.amdhsa_system_sgpr_workgroup_id_x 1
		.amdhsa_system_sgpr_workgroup_id_y 0
		.amdhsa_system_sgpr_workgroup_id_z 0
		.amdhsa_system_sgpr_workgroup_info 0
		.amdhsa_system_vgpr_workitem_id 1
		.amdhsa_next_free_vgpr 43
		.amdhsa_next_free_sgpr 37
		.amdhsa_named_barrier_count 0
		.amdhsa_reserve_vcc 1
		.amdhsa_float_round_mode_32 0
		.amdhsa_float_round_mode_16_64 0
		.amdhsa_float_denorm_mode_32 3
		.amdhsa_float_denorm_mode_16_64 3
		.amdhsa_fp16_overflow 0
		.amdhsa_memory_ordered 1
		.amdhsa_forward_progress 1
		.amdhsa_inst_pref_size 78
		.amdhsa_round_robin_scheduling 0
		.amdhsa_exception_fp_ieee_invalid_op 0
		.amdhsa_exception_fp_denorm_src 0
		.amdhsa_exception_fp_ieee_div_zero 0
		.amdhsa_exception_fp_ieee_overflow 0
		.amdhsa_exception_fp_ieee_underflow 0
		.amdhsa_exception_fp_ieee_inexact 0
		.amdhsa_exception_int_div_zero 0
	.end_amdhsa_kernel
	.section	.text._ZN9rocsparseL26bsric0_2_8_unrolled_kernelILi16ELi32ELi4E21rocsparse_complex_numIfEEEv20rocsparse_direction_iiPKiS5_PT2_S5_PiS5_S8_21rocsparse_index_base_,"axG",@progbits,_ZN9rocsparseL26bsric0_2_8_unrolled_kernelILi16ELi32ELi4E21rocsparse_complex_numIfEEEv20rocsparse_direction_iiPKiS5_PT2_S5_PiS5_S8_21rocsparse_index_base_,comdat
.Lfunc_end43:
	.size	_ZN9rocsparseL26bsric0_2_8_unrolled_kernelILi16ELi32ELi4E21rocsparse_complex_numIfEEEv20rocsparse_direction_iiPKiS5_PT2_S5_PiS5_S8_21rocsparse_index_base_, .Lfunc_end43-_ZN9rocsparseL26bsric0_2_8_unrolled_kernelILi16ELi32ELi4E21rocsparse_complex_numIfEEEv20rocsparse_direction_iiPKiS5_PT2_S5_PiS5_S8_21rocsparse_index_base_
                                        ; -- End function
	.set _ZN9rocsparseL26bsric0_2_8_unrolled_kernelILi16ELi32ELi4E21rocsparse_complex_numIfEEEv20rocsparse_direction_iiPKiS5_PT2_S5_PiS5_S8_21rocsparse_index_base_.num_vgpr, 43
	.set _ZN9rocsparseL26bsric0_2_8_unrolled_kernelILi16ELi32ELi4E21rocsparse_complex_numIfEEEv20rocsparse_direction_iiPKiS5_PT2_S5_PiS5_S8_21rocsparse_index_base_.num_agpr, 0
	.set _ZN9rocsparseL26bsric0_2_8_unrolled_kernelILi16ELi32ELi4E21rocsparse_complex_numIfEEEv20rocsparse_direction_iiPKiS5_PT2_S5_PiS5_S8_21rocsparse_index_base_.numbered_sgpr, 37
	.set _ZN9rocsparseL26bsric0_2_8_unrolled_kernelILi16ELi32ELi4E21rocsparse_complex_numIfEEEv20rocsparse_direction_iiPKiS5_PT2_S5_PiS5_S8_21rocsparse_index_base_.num_named_barrier, 0
	.set _ZN9rocsparseL26bsric0_2_8_unrolled_kernelILi16ELi32ELi4E21rocsparse_complex_numIfEEEv20rocsparse_direction_iiPKiS5_PT2_S5_PiS5_S8_21rocsparse_index_base_.private_seg_size, 0
	.set _ZN9rocsparseL26bsric0_2_8_unrolled_kernelILi16ELi32ELi4E21rocsparse_complex_numIfEEEv20rocsparse_direction_iiPKiS5_PT2_S5_PiS5_S8_21rocsparse_index_base_.uses_vcc, 1
	.set _ZN9rocsparseL26bsric0_2_8_unrolled_kernelILi16ELi32ELi4E21rocsparse_complex_numIfEEEv20rocsparse_direction_iiPKiS5_PT2_S5_PiS5_S8_21rocsparse_index_base_.uses_flat_scratch, 0
	.set _ZN9rocsparseL26bsric0_2_8_unrolled_kernelILi16ELi32ELi4E21rocsparse_complex_numIfEEEv20rocsparse_direction_iiPKiS5_PT2_S5_PiS5_S8_21rocsparse_index_base_.has_dyn_sized_stack, 0
	.set _ZN9rocsparseL26bsric0_2_8_unrolled_kernelILi16ELi32ELi4E21rocsparse_complex_numIfEEEv20rocsparse_direction_iiPKiS5_PT2_S5_PiS5_S8_21rocsparse_index_base_.has_recursion, 0
	.set _ZN9rocsparseL26bsric0_2_8_unrolled_kernelILi16ELi32ELi4E21rocsparse_complex_numIfEEEv20rocsparse_direction_iiPKiS5_PT2_S5_PiS5_S8_21rocsparse_index_base_.has_indirect_call, 0
	.section	.AMDGPU.csdata,"",@progbits
; Kernel info:
; codeLenInByte = 9968
; TotalNumSgprs: 39
; NumVgprs: 43
; ScratchSize: 0
; MemoryBound: 0
; FloatMode: 240
; IeeeMode: 1
; LDSByteSize: 1024 bytes/workgroup (compile time only)
; SGPRBlocks: 0
; VGPRBlocks: 2
; NumSGPRsForWavesPerEU: 39
; NumVGPRsForWavesPerEU: 43
; NamedBarCnt: 0
; Occupancy: 16
; WaveLimiterHint : 1
; COMPUTE_PGM_RSRC2:SCRATCH_EN: 0
; COMPUTE_PGM_RSRC2:USER_SGPR: 2
; COMPUTE_PGM_RSRC2:TRAP_HANDLER: 0
; COMPUTE_PGM_RSRC2:TGID_X_EN: 1
; COMPUTE_PGM_RSRC2:TGID_Y_EN: 0
; COMPUTE_PGM_RSRC2:TGID_Z_EN: 0
; COMPUTE_PGM_RSRC2:TIDIG_COMP_CNT: 1
	.section	.text._ZN9rocsparseL26bsric0_2_8_unrolled_kernelILi25ELi32ELi5E21rocsparse_complex_numIfEEEv20rocsparse_direction_iiPKiS5_PT2_S5_PiS5_S8_21rocsparse_index_base_,"axG",@progbits,_ZN9rocsparseL26bsric0_2_8_unrolled_kernelILi25ELi32ELi5E21rocsparse_complex_numIfEEEv20rocsparse_direction_iiPKiS5_PT2_S5_PiS5_S8_21rocsparse_index_base_,comdat
	.globl	_ZN9rocsparseL26bsric0_2_8_unrolled_kernelILi25ELi32ELi5E21rocsparse_complex_numIfEEEv20rocsparse_direction_iiPKiS5_PT2_S5_PiS5_S8_21rocsparse_index_base_ ; -- Begin function _ZN9rocsparseL26bsric0_2_8_unrolled_kernelILi25ELi32ELi5E21rocsparse_complex_numIfEEEv20rocsparse_direction_iiPKiS5_PT2_S5_PiS5_S8_21rocsparse_index_base_
	.p2align	8
	.type	_ZN9rocsparseL26bsric0_2_8_unrolled_kernelILi25ELi32ELi5E21rocsparse_complex_numIfEEEv20rocsparse_direction_iiPKiS5_PT2_S5_PiS5_S8_21rocsparse_index_base_,@function
_ZN9rocsparseL26bsric0_2_8_unrolled_kernelILi25ELi32ELi5E21rocsparse_complex_numIfEEEv20rocsparse_direction_iiPKiS5_PT2_S5_PiS5_S8_21rocsparse_index_base_: ; @_ZN9rocsparseL26bsric0_2_8_unrolled_kernelILi25ELi32ELi5E21rocsparse_complex_numIfEEEv20rocsparse_direction_iiPKiS5_PT2_S5_PiS5_S8_21rocsparse_index_base_
; %bb.0:
	s_load_b256 s[4:11], s[0:1], 0x28
	s_bfe_u32 s2, ttmp6, 0x4000c
	s_and_b32 s3, ttmp6, 15
	s_add_co_i32 s2, s2, 1
	s_getreg_b32 s12, hwreg(HW_REG_IB_STS2, 6, 4)
	s_mul_i32 s2, ttmp9, s2
	v_and_b32_e32 v8, 0x3ff, v0
	s_add_co_i32 s3, s3, s2
	s_cmp_eq_u32 s12, 0
	v_bfe_u32 v9, v0, 10, 10
	s_cselect_b32 s2, ttmp9, s3
	s_wait_kmcnt 0x0
	s_load_b32 s8, s[8:9], s2 offset:0x0 scale_offset
	s_wait_kmcnt 0x0
	s_ashr_i32 s9, s8, 31
	s_delay_alu instid0(SALU_CYCLE_1) | instskip(NEXT) | instid1(SALU_CYCLE_1)
	s_lshl_b64 s[2:3], s[8:9], 2
	s_add_nc_u64 s[12:13], s[4:5], s[2:3]
	s_load_b32 s26, s[12:13], 0x0
	s_load_b32 s9, s[0:1], 0x48
	s_wait_kmcnt 0x0
	s_cmp_lg_u32 s26, -1
	s_cbranch_scc0 .LBB44_69
; %bb.1:
	s_clause 0x1
	s_load_b128 s[12:15], s[0:1], 0x10
	s_load_b64 s[16:17], s[0:1], 0x20
	v_mad_u32_u24 v10, v9, 5, v8
	v_mul_u32_u24_e32 v16, 5, v9
	s_wait_kmcnt 0x0
	s_add_nc_u64 s[18:19], s[12:13], s[2:3]
	s_load_b32 s19, s[18:19], 0x0
	s_wait_xcnt 0x0
	s_mov_b32 s18, exec_lo
	s_wait_kmcnt 0x0
	s_sub_co_i32 s27, s19, s9
	s_delay_alu instid0(SALU_CYCLE_1) | instskip(NEXT) | instid1(VALU_DEP_1)
	v_add_nc_u32_e32 v0, s27, v10
	v_cmpx_ge_i32_e64 s26, v0
	s_cbranch_execz .LBB44_14
; %bb.2:
	v_add_nc_u32_e32 v1, s19, v8
	s_add_co_i32 s20, s26, 1
	s_mov_b32 s21, -1
	s_delay_alu instid0(VALU_DEP_1) | instskip(NEXT) | instid1(VALU_DEP_1)
	v_add_nc_u32_e32 v2, v1, v16
	v_subrev_nc_u32_e32 v2, s9, v2
	s_delay_alu instid0(VALU_DEP_1) | instskip(SKIP_1) | instid1(VALU_DEP_1)
	v_add_max_i32_e64 v2, v2, 25, s20
	s_mov_b32 s20, exec_lo
	v_add_nc_u32_e32 v2, s9, v2
	s_delay_alu instid0(VALU_DEP_1) | instskip(NEXT) | instid1(VALU_DEP_1)
	v_sub_nc_u32_e32 v1, v2, v1
	v_subrev_nc_u32_e32 v1, 25, v1
	s_delay_alu instid0(VALU_DEP_1) | instskip(SKIP_1) | instid1(VALU_DEP_1)
	v_cmp_ne_u32_e32 vcc_lo, v1, v16
	v_add_co_ci_u32_e64 v2, null, 0, v16, vcc_lo
	v_sub_nc_u32_e32 v1, v1, v2
	s_delay_alu instid0(VALU_DEP_1) | instskip(NEXT) | instid1(VALU_DEP_1)
	v_mul_hi_u32 v1, 0x51eb851f, v1
	v_lshrrev_b32_e32 v1, 3, v1
	s_delay_alu instid0(VALU_DEP_1) | instskip(NEXT) | instid1(VALU_DEP_1)
	v_add_co_ci_u32_e64 v4, null, 0, v1, vcc_lo
	v_cmpx_ne_u32_e32 0, v4
	s_cbranch_execz .LBB44_11
; %bb.3:
	v_add_nc_u32_e32 v1, -1, v4
	s_mov_b32 s21, exec_lo
	s_delay_alu instid0(VALU_DEP_1) | instskip(NEXT) | instid1(VALU_DEP_1)
	v_dual_lshrrev_b32 v2, 1, v1 :: v_dual_add_nc_u32 v1, 25, v0
	v_add_nc_u32_e32 v5, 1, v2
	s_delay_alu instid0(VALU_DEP_2)
	v_mov_b64_e32 v[2:3], v[0:1]
	v_cmpx_lt_u32_e32 14, v4
	s_cbranch_execz .LBB44_7
; %bb.4:
	v_mov_b64_e32 v[2:3], v[0:1]
	v_and_b32_e32 v6, -8, v5
	s_mov_b32 s22, 0
.LBB44_5:                               ; =>This Inner Loop Header: Depth=1
	s_clause 0x1
	global_load_b32 v1, v2, s[14:15] scale_offset
	global_load_b32 v7, v3, s[14:15] scale_offset
	v_add_nc_u32_e32 v18, 0xc8, v3
	v_add_nc_u32_e32 v15, 0x96, v3
	;; [unrolled: 1-line block ×3, first 2 shown]
	v_dual_add_nc_u32 v11, 50, v3 :: v_dual_add_nc_u32 v12, 50, v2
	v_add_nc_u32_e32 v14, 0x64, v2
	v_add_nc_u32_e32 v17, 0x96, v2
	;; [unrolled: 1-line block ×9, first 2 shown]
	s_clause 0xd
	global_load_b32 v26, v18, s[14:15] scale_offset
	global_load_b32 v27, v15, s[14:15] scale_offset
	;; [unrolled: 1-line block ×14, first 2 shown]
	v_subrev_nc_u32_e32 v40, s27, v2
	v_subrev_nc_u32_e32 v41, s27, v3
	v_add_nc_u32_e32 v6, -8, v6
	s_wait_xcnt 0x9
	v_subrev_nc_u32_e32 v12, s27, v12
	v_subrev_nc_u32_e32 v11, s27, v11
	v_dual_lshlrev_b32 v40, 2, v40 :: v_dual_lshlrev_b32 v41, 2, v41
	s_wait_xcnt 0x8
	v_subrev_nc_u32_e32 v14, s27, v14
	v_subrev_nc_u32_e32 v13, s27, v13
	v_cmp_eq_u32_e32 vcc_lo, 0, v6
	s_wait_xcnt 0x7
	v_subrev_nc_u32_e32 v17, s27, v17
	v_add_nc_u32_e32 v3, 0x190, v3
	v_subrev_nc_u32_e32 v15, s27, v15
	v_subrev_nc_u32_e32 v18, s27, v18
	s_wait_xcnt 0x6
	v_subrev_nc_u32_e32 v19, s27, v19
	s_wait_xcnt 0x3
	;; [unrolled: 2-line block ×3, first 2 shown]
	v_subrev_nc_u32_e32 v21, s27, v21
	v_subrev_nc_u32_e32 v22, s27, v22
	s_wait_xcnt 0x1
	v_subrev_nc_u32_e32 v23, s27, v23
	v_subrev_nc_u32_e32 v24, s27, v24
	s_wait_xcnt 0x0
	v_subrev_nc_u32_e32 v25, s27, v25
	v_add_nc_u32_e32 v2, 0x190, v2
	v_dual_lshlrev_b32 v12, 2, v12 :: v_dual_lshlrev_b32 v11, 2, v11
	v_dual_lshlrev_b32 v14, 2, v14 :: v_dual_lshlrev_b32 v13, 2, v13
	v_lshlrev_b32_e32 v15, 2, v15
	s_or_b32 s22, vcc_lo, s22
	v_dual_lshlrev_b32 v17, 2, v17 :: v_dual_lshlrev_b32 v19, 2, v19
	v_dual_lshlrev_b32 v18, 2, v18 :: v_dual_lshlrev_b32 v21, 2, v21
	;; [unrolled: 1-line block ×4, first 2 shown]
	v_lshlrev_b32_e32 v24, 2, v24
	s_wait_loadcnt 0xf
	v_subrev_nc_u32_e32 v1, s9, v1
	s_wait_loadcnt 0xe
	v_subrev_nc_u32_e32 v7, s9, v7
	ds_store_b32 v40, v1 offset:1216
	ds_store_b32 v41, v7 offset:1216
	s_wait_loadcnt 0xa
	v_subrev_nc_u32_e32 v1, s9, v29
	s_wait_loadcnt 0x9
	v_subrev_nc_u32_e32 v7, s9, v30
	;; [unrolled: 2-line block ×3, first 2 shown]
	v_subrev_nc_u32_e32 v28, s9, v28
	s_wait_loadcnt 0x7
	v_subrev_nc_u32_e32 v30, s9, v32
	v_subrev_nc_u32_e32 v27, s9, v27
	;; [unrolled: 1-line block ×3, first 2 shown]
	s_wait_loadcnt 0x6
	v_subrev_nc_u32_e32 v31, s9, v33
	s_wait_loadcnt 0x3
	v_subrev_nc_u32_e32 v32, s9, v36
	;; [unrolled: 2-line block ×3, first 2 shown]
	v_subrev_nc_u32_e32 v35, s9, v35
	s_wait_loadcnt 0x1
	v_subrev_nc_u32_e32 v36, s9, v38
	v_subrev_nc_u32_e32 v34, s9, v34
	s_wait_loadcnt 0x0
	v_subrev_nc_u32_e32 v37, s9, v39
	ds_store_b32 v12, v7 offset:1216
	ds_store_b32 v11, v1 offset:1216
	ds_store_b32 v14, v29 offset:1216
	ds_store_b32 v13, v28 offset:1216
	ds_store_b32 v17, v30 offset:1216
	ds_store_b32 v15, v27 offset:1216
	ds_store_b32 v19, v31 offset:1216
	ds_store_b32 v18, v26 offset:1216
	ds_store_b32 v21, v33 offset:1216
	ds_store_b32 v20, v32 offset:1216
	ds_store_b32 v23, v36 offset:1216
	ds_store_b32 v22, v35 offset:1216
	ds_store_b32 v25, v37 offset:1216
	ds_store_b32 v24, v34 offset:1216
	s_and_not1_b32 exec_lo, exec_lo, s22
	s_cbranch_execnz .LBB44_5
; %bb.6:
	s_or_b32 exec_lo, exec_lo, s22
.LBB44_7:
	s_delay_alu instid0(SALU_CYCLE_1) | instskip(SKIP_3) | instid1(VALU_DEP_1)
	s_or_b32 exec_lo, exec_lo, s21
	v_and_b32_e32 v1, 7, v5
	s_mov_b32 s22, 0
	s_mov_b32 s21, exec_lo
	v_cmpx_ne_u32_e32 0, v1
	s_cbranch_execz .LBB44_10
; %bb.8:
	v_sub_nc_u32_e32 v1, 0, v1
.LBB44_9:                               ; =>This Inner Loop Header: Depth=1
	s_clause 0x1
	global_load_b32 v5, v3, s[14:15] scale_offset
	global_load_b32 v6, v2, s[14:15] scale_offset
	v_subrev_nc_u32_e32 v7, s27, v2
	v_subrev_nc_u32_e32 v11, s27, v3
	s_wait_xcnt 0x0
	v_dual_add_nc_u32 v3, 50, v3 :: v_dual_add_nc_u32 v2, 50, v2
	v_add_co_u32 v1, s23, v1, 1
	v_lshlrev_b32_e32 v7, 2, v7
	v_lshlrev_b32_e32 v11, 2, v11
	s_or_b32 s22, s23, s22
	s_wait_loadcnt 0x1
	v_subrev_nc_u32_e32 v5, s9, v5
	s_wait_loadcnt 0x0
	v_subrev_nc_u32_e32 v6, s9, v6
	ds_store_b32 v7, v6 offset:1216
	ds_store_b32 v11, v5 offset:1216
	s_and_not1_b32 exec_lo, exec_lo, s22
	s_cbranch_execnz .LBB44_9
.LBB44_10:
	s_or_b32 exec_lo, exec_lo, s21
	v_add_nc_u32_e32 v1, 1, v4
	s_delay_alu instid0(VALU_DEP_1) | instskip(NEXT) | instid1(VALU_DEP_1)
	v_and_b32_e32 v2, 0x3ffffffe, v1
	v_mad_u32 v0, v2, 25, v0
	v_cmp_ne_u32_e32 vcc_lo, v1, v2
	s_or_not1_b32 s21, vcc_lo, exec_lo
.LBB44_11:
	s_or_b32 exec_lo, exec_lo, s20
	s_delay_alu instid0(SALU_CYCLE_1)
	s_and_b32 exec_lo, exec_lo, s21
	s_cbranch_execz .LBB44_14
; %bb.12:
	s_delay_alu instid0(VALU_DEP_2) | instskip(NEXT) | instid1(VALU_DEP_1)
	v_add_nc_u32_e32 v1, s9, v0
	v_subrev_nc_u32_e32 v2, s19, v1
	v_ashrrev_i32_e32 v1, 31, v0
	s_mov_b32 s19, 0
	s_delay_alu instid0(VALU_DEP_2) | instskip(NEXT) | instid1(VALU_DEP_2)
	v_lshl_add_u32 v4, v2, 2, 0x4c0
	v_lshl_add_u64 v[2:3], v[0:1], 2, s[14:15]
.LBB44_13:                              ; =>This Inner Loop Header: Depth=1
	global_load_b32 v1, v[2:3], off
	v_add_nc_u32_e32 v0, 25, v0
	s_wait_xcnt 0x0
	v_add_nc_u64_e32 v[2:3], 0x64, v[2:3]
	s_delay_alu instid0(VALU_DEP_2)
	v_cmp_lt_i32_e32 vcc_lo, s26, v0
	s_or_b32 s19, vcc_lo, s19
	s_wait_loadcnt 0x0
	v_subrev_nc_u32_e32 v1, s9, v1
	ds_store_b32 v4, v1
	v_add_nc_u32_e32 v4, 0x64, v4
	s_and_not1_b32 exec_lo, exec_lo, s19
	s_cbranch_execnz .LBB44_13
.LBB44_14:
	s_or_b32 exec_lo, exec_lo, s18
	s_load_b32 s1, s[0:1], 0x0
	v_mad_u32_u24 v15, v9, 48, 0x2d0
	v_mov_b64_e32 v[0:1], 0
	v_mad_u32_u24 v11, v8, 5, v9
	v_mad_u32_u24 v14, v9, 48, 0x1e0
	;; [unrolled: 1-line block ×3, first 2 shown]
	v_lshl_add_u32 v12, v8, 3, v15
	s_cmp_ge_i32 s27, s26
	ds_store_b64 v12, v[0:1]
	s_wait_dscnt 0x0
	s_cbranch_scc1 .LBB44_62
; %bb.15:
	s_wait_kmcnt 0x0
	s_cmp_lg_u32 s1, 0
	v_dual_lshlrev_b32 v0, 3, v8 :: v_dual_bitop2_b32 v1, v8, v9 bitop3:0x54
	v_mad_u32_u24 v18, v9, 48, 0xf0
	v_mad_u32_u24 v2, v8, 5, v9
	s_cselect_b32 s28, -1, 0
	s_cmp_eq_u32 s1, 0
	v_mul_u32_u24_e32 v17, 5, v8
	s_cselect_b32 vcc_lo, -1, 0
	v_dual_add_nc_u32 v19, v14, v0 :: v_dual_mov_b32 v23, 0
	v_mad_u32_u24 v20, v9, 48, v0
	v_add_nc_u32_e32 v21, v18, v0
	v_cmp_ne_u32_e64 s0, 0, v1
	v_cndmask_b32_e32 v22, v2, v10, vcc_lo
	s_mov_b32 s18, s27
	s_branch .LBB44_19
.LBB44_16:                              ;   in Loop: Header=BB44_19 Depth=1
	s_wait_xcnt 0x0
	s_or_b32 exec_lo, exec_lo, s21
	v_dual_mov_b32 v6, 0 :: v_dual_mov_b32 v4, 1.0
.LBB44_17:                              ;   in Loop: Header=BB44_19 Depth=1
	s_or_b32 exec_lo, exec_lo, s20
	ds_load_b128 v[24:27], v14
	ds_load_b128 v[28:31], v23 offset:192
	ds_load_b64 v[40:41], v18 offset:32
	v_mul_f32_e32 v5, v6, v6
	ds_load_b128 v[32:35], v14 offset:16
	ds_load_b128 v[36:39], v23 offset:208
	s_add_co_i32 s18, s18, 1
	s_delay_alu instid0(SALU_CYCLE_1)
	s_cmp_ge_i32 s18, s26
	s_cselect_b32 s24, -1, 0
	s_wait_dscnt 0x3
	v_dual_mov_b32 v42, v31 :: v_dual_fmac_f32 v5, v4, v4
	v_mov_b32_e32 v43, v30
	s_wait_dscnt 0x2
	v_pk_fma_f32 v[40:41], v[28:29], v[24:25], v[40:41] op_sel_hi:[1,0,1]
	s_delay_alu instid0(VALU_DEP_3) | instskip(NEXT) | instid1(VALU_DEP_2)
	v_div_scale_f32 v7, null, v5, v5, 1.0
	v_pk_fma_f32 v[24:25], v[28:29], v[24:25], v[40:41] op_sel:[0,1,1] op_sel_hi:[1,1,0] neg_lo:[0,1,0]
	s_delay_alu instid0(VALU_DEP_2) | instskip(NEXT) | instid1(VALU_DEP_1)
	v_rcp_f32_e32 v29, v7
	v_pk_fma_f32 v[24:25], v[42:43], v[26:27], v[24:25] op_sel_hi:[1,0,1]
	s_delay_alu instid0(TRANS32_DEP_1) | instskip(SKIP_2) | instid1(VALU_DEP_1)
	v_fma_f32 v26, -v7, v29, 1.0
	s_wait_dscnt 0x0
	v_dual_mov_b32 v28, v27 :: v_dual_mov_b32 v27, v38
	v_pk_fma_f32 v[24:25], v[30:31], v[28:29], v[24:25] op_sel_hi:[1,0,1] neg_lo:[0,1,0]
	v_div_scale_f32 v30, vcc_lo, 1.0, v5, 1.0
	v_dual_fmac_f32 v29, v26, v29 :: v_dual_mov_b32 v26, v39
	s_delay_alu instid0(VALU_DEP_3) | instskip(NEXT) | instid1(VALU_DEP_2)
	v_pk_fma_f32 v[24:25], v[36:37], v[32:33], v[24:25] op_sel:[1,0,0] op_sel_hi:[0,0,1]
	v_dual_mov_b32 v28, v35 :: v_dual_mul_f32 v31, v30, v29
	s_delay_alu instid0(VALU_DEP_2) | instskip(NEXT) | instid1(VALU_DEP_2)
	v_pk_fma_f32 v[24:25], v[36:37], v[32:33], v[24:25] op_sel:[0,1,0] neg_lo:[0,1,0]
	v_fma_f32 v32, -v7, v31, v30
	s_delay_alu instid0(VALU_DEP_2) | instskip(SKIP_1) | instid1(VALU_DEP_3)
	v_pk_fma_f32 v[24:25], v[26:27], v[34:35], v[24:25] op_sel_hi:[1,0,1]
	v_dual_mov_b32 v27, v2 :: v_dual_mov_b32 v26, v3
	v_fmac_f32_e32 v31, v32, v29
	s_delay_alu instid0(VALU_DEP_3) | instskip(NEXT) | instid1(VALU_DEP_2)
	v_pk_fma_f32 v[2:3], v[38:39], v[28:29], v[24:25] op_sel_hi:[1,0,1] neg_lo:[0,1,0]
	v_fma_f32 v7, -v7, v31, v30
	s_delay_alu instid0(VALU_DEP_2) | instskip(NEXT) | instid1(VALU_DEP_2)
	v_pk_add_f32 v[2:3], v[26:27], v[2:3] neg_lo:[0,1] neg_hi:[0,1]
	v_div_fmas_f32 v24, v7, v29, v31
	s_delay_alu instid0(VALU_DEP_2) | instskip(NEXT) | instid1(VALU_DEP_2)
	v_pk_mul_f32 v[6:7], v[6:7], v[2:3] op_sel:[0,1] op_sel_hi:[0,0] neg_lo:[0,1]
	v_div_fixup_f32 v24, v24, v5, 1.0
	s_delay_alu instid0(VALU_DEP_2) | instskip(NEXT) | instid1(VALU_DEP_1)
	v_pk_fma_f32 v[2:3], v[2:3], v[4:5], v[6:7] op_sel_hi:[1,0,1]
	v_pk_mul_f32 v[2:3], v[24:25], v[2:3] op_sel_hi:[0,1]
	s_delay_alu instid0(VALU_DEP_1)
	v_dual_mov_b32 v4, v3 :: v_dual_mov_b32 v5, v2
	ds_store_b64 v14, v[4:5] offset:32
	s_wait_storecnt_dscnt 0x0
	ds_load_b64 v[4:5], v13 offset:32
	ds_load_b64 v[6:7], v12
	s_wait_dscnt 0x0
	v_pk_fma_f32 v[6:7], v[2:3], v[4:5], v[6:7] op_sel:[1,0,0] op_sel_hi:[0,0,1]
	s_delay_alu instid0(VALU_DEP_1)
	v_pk_fma_f32 v[2:3], v[2:3], v[4:5], v[6:7] op_sel:[0,1,0] neg_hi:[0,1,0]
	ds_store_b64 v12, v[2:3]
	s_wait_dscnt 0x0
	ds_load_b64 v[2:3], v19
	s_wait_dscnt 0x0
	global_store_b64 v[0:1], v[2:3], off
	global_wb scope:SCOPE_DEV
	s_wait_storecnt 0x0
	global_inv scope:SCOPE_DEV
.LBB44_18:                              ;   in Loop: Header=BB44_19 Depth=1
	s_and_b32 vcc_lo, exec_lo, s24
	s_cbranch_vccnz .LBB44_62
.LBB44_19:                              ; =>This Loop Header: Depth=1
                                        ;     Child Loop BB44_22 Depth 2
                                        ;     Child Loop BB44_33 Depth 2
	;; [unrolled: 1-line block ×3, first 2 shown]
	s_ashr_i32 s19, s18, 31
	s_delay_alu instid0(SALU_CYCLE_1) | instskip(NEXT) | instid1(SALU_CYCLE_1)
	s_lshl_b64 s[20:21], s[18:19], 2
	s_add_nc_u64 s[20:21], s[14:15], s[20:21]
	s_load_b32 s19, s[20:21], 0x0
	s_wait_kmcnt 0x0
	s_sub_co_i32 s22, s19, s9
	s_delay_alu instid0(SALU_CYCLE_1) | instskip(SKIP_2) | instid1(SALU_CYCLE_1)
	s_ashr_i32 s23, s22, 31
	s_wait_xcnt 0x0
	s_lshl_b64 s[20:21], s[22:23], 2
	s_add_nc_u64 s[24:25], s[4:5], s[20:21]
	s_load_b32 s23, s[24:25], 0x0
	s_wait_xcnt 0x0
	s_mov_b32 s24, -1
	s_wait_kmcnt 0x0
	s_cmp_eq_u32 s23, -1
	s_cbranch_scc1 .LBB44_18
; %bb.20:                               ;   in Loop: Header=BB44_19 Depth=1
	v_mad_u32 v0, s18, 25, v22
	s_add_nc_u64 s[24:25], s[12:13], s[20:21]
	ds_load_b32 v1, v23 offset:1216
	s_load_b32 s24, s[24:25], 0x0
	global_load_b64 v[2:3], v0, s[16:17] scale_offset
	s_wait_dscnt 0x0
	v_cmp_ge_i32_e32 vcc_lo, s22, v1
	s_wait_kmcnt 0x0
	s_sub_co_i32 s24, s24, s9
	s_delay_alu instid0(SALU_CYCLE_1) | instskip(SKIP_1) | instid1(SALU_CYCLE_1)
	s_cmp_le_i32 s24, s23
	s_cselect_b32 s25, -1, 0
	s_and_b32 s25, s25, vcc_lo
	s_delay_alu instid0(SALU_CYCLE_1)
	s_and_not1_b32 vcc_lo, exec_lo, s25
	s_mov_b32 s25, 0
	s_wait_loadcnt 0x0
	ds_store_b64 v19, v[2:3]
	s_cbranch_vccnz .LBB44_32
; %bb.21:                               ;   in Loop: Header=BB44_19 Depth=1
	s_mov_b32 s29, 0
	s_mov_b32 s30, 0
.LBB44_22:                              ;   Parent Loop BB44_19 Depth=1
                                        ; =>  This Inner Loop Header: Depth=2
	s_ashr_i32 s25, s24, 31
	s_lshl_b32 s31, s30, 2
	s_lshl_b64 s[34:35], s[24:25], 2
	v_mov_b32_e32 v1, s31
	s_add_nc_u64 s[34:35], s[14:15], s[34:35]
                                        ; implicit-def: $sgpr33
	s_load_b32 s25, s[34:35], 0x0
	s_wait_xcnt 0x0
	s_mov_b32 s35, -1
	ds_load_b32 v1, v1 offset:1216
                                        ; implicit-def: $sgpr34
	s_wait_kmcnt 0x0
	s_sub_co_i32 s36, s25, s9
                                        ; implicit-def: $sgpr25
	s_wait_dscnt 0x0
	v_readfirstlane_b32 s31, v1
	v_cmp_ge_i32_e32 vcc_lo, s36, v1
	s_cbranch_vccz .LBB44_28
; %bb.23:                               ;   in Loop: Header=BB44_22 Depth=2
	s_cmp_le_i32 s36, s31
                                        ; implicit-def: $sgpr25
                                        ; implicit-def: $sgpr34
                                        ; implicit-def: $sgpr33
	s_cbranch_scc0 .LBB44_25
; %bb.24:                               ;   in Loop: Header=BB44_22 Depth=2
	s_add_co_i32 s25, s30, s27
	s_lshl_b32 s33, s29, 2
	s_mul_i32 s25, s25, 25
	s_mul_i32 s34, s24, 25
	s_delay_alu instid0(SALU_CYCLE_1)
	v_dual_mov_b32 v1, s25 :: v_dual_mov_b32 v2, s34
	v_add_nc_u32_e64 v3, 0x200, s33
	s_add_co_i32 s33, s30, 1
	s_add_co_i32 s34, s24, 1
	;; [unrolled: 1-line block ×3, first 2 shown]
	s_mov_b32 s35, 0
	ds_store_2addr_b32 v3, v2, v1 offset0:112 offset1:144
.LBB44_25:                              ;   in Loop: Header=BB44_22 Depth=2
	s_and_not1_b32 vcc_lo, exec_lo, s35
	s_cbranch_vccnz .LBB44_27
; %bb.26:                               ;   in Loop: Header=BB44_22 Depth=2
	s_add_co_i32 s33, s30, 1
	s_mov_b32 s25, s29
	s_mov_b32 s34, s24
.LBB44_27:                              ;   in Loop: Header=BB44_22 Depth=2
	s_mov_b32 s35, 0
.LBB44_28:                              ;   in Loop: Header=BB44_22 Depth=2
	s_delay_alu instid0(SALU_CYCLE_1)
	s_and_not1_b32 vcc_lo, exec_lo, s35
	s_cbranch_vccnz .LBB44_30
; %bb.29:                               ;   in Loop: Header=BB44_22 Depth=2
	s_add_co_i32 s34, s24, 1
	s_mov_b32 s33, s30
	s_mov_b32 s25, s29
.LBB44_30:                              ;   in Loop: Header=BB44_22 Depth=2
	s_cmp_le_i32 s34, s23
	s_cselect_b32 s24, -1, 0
	s_cmp_le_i32 s31, s22
	s_cselect_b32 s29, -1, 0
	s_delay_alu instid0(SALU_CYCLE_1) | instskip(NEXT) | instid1(SALU_CYCLE_1)
	s_and_b32 s24, s24, s29
	s_and_b32 vcc_lo, exec_lo, s24
	s_cbranch_vccz .LBB44_32
; %bb.31:                               ;   in Loop: Header=BB44_22 Depth=2
	s_mov_b32 s29, s25
	s_mov_b32 s24, s34
	;; [unrolled: 1-line block ×3, first 2 shown]
	s_branch .LBB44_22
.LBB44_32:                              ;   in Loop: Header=BB44_19 Depth=1
	v_ashrrev_i32_e32 v1, 31, v0
	s_add_nc_u64 s[20:21], s[6:7], s[20:21]
	s_wait_dscnt 0x0
	s_wait_xcnt 0x0
	s_delay_alu instid0(VALU_DEP_1)
	v_lshl_add_u64 v[0:1], v[0:1], 3, s[16:17]
.LBB44_33:                              ;   Parent Loop BB44_19 Depth=1
                                        ; =>  This Inner Loop Header: Depth=2
	global_load_b32 v2, v23, s[20:21] scope:SCOPE_DEV
	s_wait_loadcnt 0x0
	v_cmp_eq_u32_e32 vcc_lo, 0, v2
	s_cbranch_vccnz .LBB44_33
; %bb.34:                               ;   in Loop: Header=BB44_19 Depth=1
	v_mad_u32 v2, s23, 25, v22
	global_inv scope:SCOPE_DEV
	v_mov_b32_e32 v3, 0
	s_cmp_lt_i32 s25, 2
	global_load_b64 v[4:5], v2, s[16:17] scale_offset
	s_wait_xcnt 0x0
	v_mov_b32_e32 v2, 0
	s_wait_loadcnt 0x0
	ds_store_b64 v20, v[4:5]
	s_wait_dscnt 0x0
	s_cbranch_scc1 .LBB44_43
; %bb.35:                               ;   in Loop: Header=BB44_19 Depth=1
	v_mov_b64_e32 v[2:3], 0
	s_add_co_i32 s20, s25, -1
	s_movk_i32 s21, 0x3c0
.LBB44_36:                              ;   Parent Loop BB44_19 Depth=1
                                        ; =>  This Inner Loop Header: Depth=2
	s_wait_dscnt 0x0
	v_mov_b32_e32 v4, s21
	s_and_b32 vcc_lo, exec_lo, s28
	s_mov_b32 s22, -1
                                        ; implicit-def: $vgpr6_vgpr7
	ds_load_2addr_b32 v[4:5], v4 offset1:32
	s_cbranch_vccz .LBB44_39
; %bb.37:                               ;   in Loop: Header=BB44_36 Depth=2
	s_wait_dscnt 0x0
	v_dual_add_nc_u32 v38, v4, v8 :: v_dual_add_nc_u32 v39, v5, v9
	s_delay_alu instid0(VALU_DEP_1)
	v_dual_add_nc_u32 v28, 5, v38 :: v_dual_add_nc_u32 v36, 10, v39
	v_dual_add_nc_u32 v40, 10, v38 :: v_dual_add_nc_u32 v42, 20, v39
	v_add_nc_u32_e32 v43, 20, v38
	s_clause 0x2
	global_load_b64 v[6:7], v39, s[16:17] scale_offset
	global_load_b64 v[24:25], v28, s[16:17] scale_offset
	global_load_b64 v[26:27], v38, s[16:17] scale_offset
	s_wait_xcnt 0x1
	v_dual_add_nc_u32 v28, 5, v39 :: v_dual_add_nc_u32 v37, 15, v38
	s_clause 0x3
	global_load_b64 v[28:29], v28, s[16:17] scale_offset
	global_load_b64 v[30:31], v36, s[16:17] scale_offset
	;; [unrolled: 1-line block ×4, first 2 shown]
	s_wait_xcnt 0x2
	v_add_nc_u32_e32 v36, 15, v39
	s_clause 0x2
	global_load_b64 v[36:37], v36, s[16:17] scale_offset
	global_load_b64 v[38:39], v42, s[16:17] scale_offset
	;; [unrolled: 1-line block ×3, first 2 shown]
	s_wait_loadcnt 0x7
	s_wait_xcnt 0x0
	v_pk_fma_f32 v[42:43], v[26:27], v[6:7], v[2:3] op_sel:[1,0,0] op_sel_hi:[0,0,1]
	s_delay_alu instid0(VALU_DEP_1) | instskip(SKIP_1) | instid1(VALU_DEP_1)
	v_pk_fma_f32 v[6:7], v[26:27], v[6:7], v[42:43] op_sel:[0,1,0] neg_lo:[0,1,0]
	s_wait_loadcnt 0x6
	v_pk_fma_f32 v[6:7], v[24:25], v[28:29], v[6:7] op_sel:[1,0,0] op_sel_hi:[0,0,1]
	s_delay_alu instid0(VALU_DEP_1) | instskip(SKIP_1) | instid1(VALU_DEP_1)
	v_pk_fma_f32 v[6:7], v[24:25], v[28:29], v[6:7] op_sel:[0,1,0] neg_lo:[0,1,0]
	s_wait_loadcnt 0x3
	;; [unrolled: 4-line block ×4, first 2 shown]
	v_pk_fma_f32 v[6:7], v[40:41], v[38:39], v[6:7] op_sel:[1,0,0] op_sel_hi:[0,0,1]
	s_delay_alu instid0(VALU_DEP_1)
	v_pk_fma_f32 v[6:7], v[40:41], v[38:39], v[6:7] op_sel:[0,1,0] neg_lo:[0,1,0]
	s_cbranch_execz .LBB44_40
.LBB44_38:                              ;   in Loop: Header=BB44_36 Depth=2
	s_add_co_i32 s20, s20, -1
	s_add_co_i32 s21, s21, 4
	s_cmp_eq_u32 s20, 0
	s_cbranch_scc0 .LBB44_41
	s_branch .LBB44_42
.LBB44_39:                              ;   in Loop: Header=BB44_36 Depth=2
	s_and_not1_b32 vcc_lo, exec_lo, s22
	s_cbranch_vccnz .LBB44_38
.LBB44_40:                              ;   in Loop: Header=BB44_36 Depth=2
	s_wait_dscnt 0x0
	v_dual_add_nc_u32 v36, v4, v17 :: v_dual_add_nc_u32 v38, v5, v16
	s_delay_alu instid0(VALU_DEP_1) | instskip(NEXT) | instid1(VALU_DEP_1)
	v_dual_ashrrev_i32 v37, 31, v36 :: v_dual_ashrrev_i32 v39, 31, v38
	v_lshl_add_u64 v[40:41], v[36:37], 3, s[16:17]
	s_delay_alu instid0(VALU_DEP_2)
	v_lshl_add_u64 v[42:43], v[38:39], 3, s[16:17]
	s_clause 0x5
	global_load_b128 v[4:7], v[40:41], off
	global_load_b128 v[24:27], v[42:43], off
	global_load_b128 v[28:31], v[42:43], off offset:16
	global_load_b128 v[32:35], v[40:41], off offset:16
	global_load_b64 v[44:45], v38, s[16:17] offset:32 scale_offset
	global_load_b64 v[46:47], v36, s[16:17] offset:32 scale_offset
	s_wait_loadcnt 0x5
	s_wait_xcnt 0x0
	v_dual_mov_b32 v36, v7 :: v_dual_mov_b32 v37, v6
	s_wait_loadcnt 0x4
	v_pk_fma_f32 v[2:3], v[4:5], v[24:25], v[2:3] op_sel:[1,0,0] op_sel_hi:[0,0,1]
	s_delay_alu instid0(VALU_DEP_1) | instskip(SKIP_1) | instid1(VALU_DEP_2)
	v_pk_fma_f32 v[2:3], v[4:5], v[24:25], v[2:3] op_sel:[0,1,0] neg_lo:[0,1,0]
	v_mov_b32_e32 v4, v27
	v_pk_fma_f32 v[2:3], v[36:37], v[26:27], v[2:3] op_sel_hi:[1,0,1]
	s_delay_alu instid0(VALU_DEP_1) | instskip(SKIP_2) | instid1(VALU_DEP_2)
	v_pk_fma_f32 v[2:3], v[6:7], v[4:5], v[2:3] op_sel_hi:[1,0,1] neg_lo:[0,1,0]
	s_wait_loadcnt 0x2
	v_dual_mov_b32 v4, v35 :: v_dual_mov_b32 v5, v34
	v_pk_fma_f32 v[2:3], v[32:33], v[28:29], v[2:3] op_sel:[1,0,0] op_sel_hi:[0,0,1]
	s_delay_alu instid0(VALU_DEP_1) | instskip(NEXT) | instid1(VALU_DEP_1)
	v_pk_fma_f32 v[2:3], v[32:33], v[28:29], v[2:3] op_sel:[0,1,0] neg_lo:[0,1,0]
	v_pk_fma_f32 v[2:3], v[4:5], v[30:31], v[2:3] op_sel_hi:[1,0,1]
	v_mov_b32_e32 v4, v31
	s_delay_alu instid0(VALU_DEP_1) | instskip(SKIP_1) | instid1(VALU_DEP_1)
	v_pk_fma_f32 v[2:3], v[34:35], v[4:5], v[2:3] op_sel_hi:[1,0,1] neg_lo:[0,1,0]
	s_wait_loadcnt 0x0
	v_pk_fma_f32 v[2:3], v[46:47], v[44:45], v[2:3] op_sel:[1,0,0] op_sel_hi:[0,0,1]
	s_delay_alu instid0(VALU_DEP_1)
	v_pk_fma_f32 v[6:7], v[46:47], v[44:45], v[2:3] op_sel:[0,1,0] neg_lo:[0,1,0]
	s_add_co_i32 s20, s20, -1
	s_add_co_i32 s21, s21, 4
	s_cmp_eq_u32 s20, 0
	s_cbranch_scc1 .LBB44_42
.LBB44_41:                              ;   in Loop: Header=BB44_36 Depth=2
	v_mov_b64_e32 v[2:3], v[6:7]
	s_branch .LBB44_36
.LBB44_42:                              ;   in Loop: Header=BB44_19 Depth=1
	v_dual_mov_b32 v3, v6 :: v_dual_mov_b32 v2, v7
.LBB44_43:                              ;   in Loop: Header=BB44_19 Depth=1
	ds_store_b64 v21, v[2:3]
	s_wait_dscnt 0x0
	ds_load_b64 v[2:3], v23
	s_wait_dscnt 0x0
	v_readfirstlane_b32 s20, v2
	v_readfirstlane_b32 s21, v3
	ds_load_b64 v[2:3], v14
	s_cmp_neq_f32 s20, 0
	s_cselect_b32 s22, -1, 0
	s_cmp_neq_f32 s21, 0
	s_cselect_b32 s23, -1, 0
	s_delay_alu instid0(SALU_CYCLE_1) | instskip(NEXT) | instid1(SALU_CYCLE_1)
	s_or_b32 s22, s22, s23
	s_nor_b32 s23, s22, s0
	s_and_b32 s22, s22, exec_lo
	s_cselect_b32 s20, s20, 1.0
	s_cselect_b32 s21, s21, 0
	s_delay_alu instid0(SALU_CYCLE_1)
	v_dual_mov_b32 v4, s20 :: v_dual_mov_b32 v6, s21
	s_and_saveexec_b32 s20, s23
	s_cbranch_execz .LBB44_47
; %bb.44:                               ;   in Loop: Header=BB44_19 Depth=1
	v_mbcnt_lo_u32_b32 v4, exec_lo, 0
	s_mov_b32 s21, exec_lo
	s_delay_alu instid0(VALU_DEP_1)
	v_cmpx_eq_u32_e32 0, v4
	s_cbranch_execz .LBB44_46
; %bb.45:                               ;   in Loop: Header=BB44_19 Depth=1
	v_mov_b32_e32 v4, s19
	global_atomic_min_i32 v23, v4, s[10:11] scope:SCOPE_DEV
.LBB44_46:                              ;   in Loop: Header=BB44_19 Depth=1
	s_wait_xcnt 0x0
	s_or_b32 exec_lo, exec_lo, s21
	v_dual_mov_b32 v6, 0 :: v_dual_mov_b32 v4, 1.0
.LBB44_47:                              ;   in Loop: Header=BB44_19 Depth=1
	s_or_b32 exec_lo, exec_lo, s20
	s_delay_alu instid0(VALU_DEP_1) | instskip(SKIP_2) | instid1(VALU_DEP_1)
	v_mul_f32_e32 v5, v6, v6
	ds_load_b64 v[24:25], v18
	v_fmac_f32_e32 v5, v4, v4
	v_div_scale_f32 v7, null, v5, v5, 1.0
	s_delay_alu instid0(VALU_DEP_1) | instskip(SKIP_1) | instid1(TRANS32_DEP_1)
	v_rcp_f32_e32 v28, v7
	v_nop
	v_fma_f32 v26, -v7, v28, 1.0
	s_wait_dscnt 0x1
	s_delay_alu instid0(VALU_DEP_1) | instskip(SKIP_1) | instid1(VALU_DEP_1)
	v_dual_fmac_f32 v28, v26, v28 :: v_dual_mov_b32 v26, v3
	v_div_scale_f32 v29, vcc_lo, 1.0, v5, 1.0
	v_mul_f32_e32 v30, v29, v28
	s_delay_alu instid0(VALU_DEP_1) | instskip(NEXT) | instid1(VALU_DEP_1)
	v_dual_fma_f32 v31, -v7, v30, v29 :: v_dual_mov_b32 v27, v2
	v_fmac_f32_e32 v30, v31, v28
	s_wait_dscnt 0x0
	s_delay_alu instid0(VALU_DEP_2) | instskip(NEXT) | instid1(VALU_DEP_2)
	v_pk_add_f32 v[2:3], v[26:27], v[24:25] op_sel:[0,1] op_sel_hi:[1,0] neg_lo:[0,1] neg_hi:[0,1]
	v_fma_f32 v24, -v7, v30, v29
	s_delay_alu instid0(VALU_DEP_2) | instskip(NEXT) | instid1(VALU_DEP_2)
	v_pk_mul_f32 v[6:7], v[6:7], v[2:3] op_sel:[0,1] op_sel_hi:[0,0] neg_lo:[0,1]
	v_div_fmas_f32 v24, v24, v28, v30
	s_delay_alu instid0(VALU_DEP_2) | instskip(NEXT) | instid1(VALU_DEP_2)
	v_pk_fma_f32 v[2:3], v[2:3], v[4:5], v[6:7] op_sel_hi:[1,0,1]
	v_div_fixup_f32 v4, v24, v5, 1.0
	s_delay_alu instid0(VALU_DEP_1) | instskip(NEXT) | instid1(VALU_DEP_1)
	v_pk_mul_f32 v[2:3], v[4:5], v[2:3] op_sel_hi:[0,1]
	v_dual_mov_b32 v4, v3 :: v_dual_mov_b32 v5, v2
	ds_store_b64 v14, v[4:5]
	s_wait_storecnt_dscnt 0x0
	ds_load_b64 v[4:5], v13
	ds_load_b64 v[6:7], v12
	s_wait_dscnt 0x0
	v_pk_fma_f32 v[6:7], v[2:3], v[4:5], v[6:7] op_sel:[1,0,0] op_sel_hi:[0,0,1]
	s_delay_alu instid0(VALU_DEP_1)
	v_pk_fma_f32 v[2:3], v[2:3], v[4:5], v[6:7] op_sel:[0,1,0] neg_hi:[0,1,0]
	ds_store_b64 v12, v[2:3]
	s_wait_dscnt 0x0
	ds_load_b64 v[2:3], v23 offset:56
	s_wait_dscnt 0x0
	v_readfirstlane_b32 s20, v2
	v_readfirstlane_b32 s21, v3
	ds_load_b64 v[2:3], v14 offset:8
	s_cmp_neq_f32 s20, 0
	s_cselect_b32 s22, -1, 0
	s_cmp_neq_f32 s21, 0
	s_cselect_b32 s23, -1, 0
	s_delay_alu instid0(SALU_CYCLE_1) | instskip(NEXT) | instid1(SALU_CYCLE_1)
	s_or_b32 s22, s22, s23
	s_nor_b32 s23, s22, s0
	s_and_b32 s22, s22, exec_lo
	s_cselect_b32 s20, s20, 1.0
	s_cselect_b32 s21, s21, 0
	s_delay_alu instid0(SALU_CYCLE_1)
	v_dual_mov_b32 v4, s20 :: v_dual_mov_b32 v6, s21
	s_and_saveexec_b32 s20, s23
	s_cbranch_execz .LBB44_51
; %bb.48:                               ;   in Loop: Header=BB44_19 Depth=1
	v_mbcnt_lo_u32_b32 v4, exec_lo, 0
	s_mov_b32 s21, exec_lo
	s_delay_alu instid0(VALU_DEP_1)
	v_cmpx_eq_u32_e32 0, v4
	s_cbranch_execz .LBB44_50
; %bb.49:                               ;   in Loop: Header=BB44_19 Depth=1
	v_mov_b32_e32 v4, s19
	global_atomic_min_i32 v23, v4, s[10:11] scope:SCOPE_DEV
.LBB44_50:                              ;   in Loop: Header=BB44_19 Depth=1
	s_wait_xcnt 0x0
	s_or_b32 exec_lo, exec_lo, s21
	v_dual_mov_b32 v6, 0 :: v_dual_mov_b32 v4, 1.0
.LBB44_51:                              ;   in Loop: Header=BB44_19 Depth=1
	s_or_b32 exec_lo, exec_lo, s20
	s_delay_alu instid0(VALU_DEP_1) | instskip(SKIP_4) | instid1(VALU_DEP_1)
	v_mul_f32_e32 v5, v6, v6
	ds_load_b64 v[24:25], v14
	ds_load_b64 v[26:27], v23 offset:48
	ds_load_b64 v[28:29], v18 offset:8
	v_fmac_f32_e32 v5, v4, v4
	v_div_scale_f32 v7, null, v5, v5, 1.0
	s_delay_alu instid0(VALU_DEP_1) | instskip(SKIP_2) | instid1(TRANS32_DEP_1)
	v_rcp_f32_e32 v32, v7
	s_wait_dscnt 0x0
	v_pk_fma_f32 v[28:29], v[26:27], v[24:25], v[28:29] op_sel_hi:[1,0,1]
	v_fma_f32 v30, -v7, v32, 1.0
	s_delay_alu instid0(VALU_DEP_1) | instskip(SKIP_1) | instid1(VALU_DEP_1)
	v_dual_fmac_f32 v32, v30, v32 :: v_dual_mov_b32 v30, v3
	v_div_scale_f32 v33, vcc_lo, 1.0, v5, 1.0
	v_mul_f32_e32 v34, v33, v32
	s_delay_alu instid0(VALU_DEP_1) | instskip(SKIP_1) | instid1(VALU_DEP_2)
	v_dual_fma_f32 v35, -v7, v34, v33 :: v_dual_mov_b32 v31, v2
	v_pk_fma_f32 v[2:3], v[26:27], v[24:25], v[28:29] op_sel:[0,1,1] op_sel_hi:[1,1,0] neg_lo:[0,1,0]
	v_fmac_f32_e32 v34, v35, v32
	s_delay_alu instid0(VALU_DEP_2) | instskip(NEXT) | instid1(VALU_DEP_2)
	v_pk_add_f32 v[2:3], v[30:31], v[2:3] neg_lo:[0,1] neg_hi:[0,1]
	v_fma_f32 v24, -v7, v34, v33
	s_delay_alu instid0(VALU_DEP_2) | instskip(NEXT) | instid1(VALU_DEP_2)
	v_pk_mul_f32 v[6:7], v[6:7], v[2:3] op_sel:[0,1] op_sel_hi:[0,0] neg_lo:[0,1]
	v_div_fmas_f32 v24, v24, v32, v34
	s_delay_alu instid0(VALU_DEP_2) | instskip(NEXT) | instid1(VALU_DEP_2)
	v_pk_fma_f32 v[2:3], v[2:3], v[4:5], v[6:7] op_sel_hi:[1,0,1]
	v_div_fixup_f32 v4, v24, v5, 1.0
	s_delay_alu instid0(VALU_DEP_1) | instskip(NEXT) | instid1(VALU_DEP_1)
	v_pk_mul_f32 v[2:3], v[4:5], v[2:3] op_sel_hi:[0,1]
	v_dual_mov_b32 v4, v3 :: v_dual_mov_b32 v5, v2
	ds_store_b64 v14, v[4:5] offset:8
	s_wait_storecnt_dscnt 0x0
	ds_load_b64 v[4:5], v13 offset:8
	ds_load_b64 v[6:7], v12
	s_wait_dscnt 0x0
	v_pk_fma_f32 v[6:7], v[2:3], v[4:5], v[6:7] op_sel:[1,0,0] op_sel_hi:[0,0,1]
	s_delay_alu instid0(VALU_DEP_1)
	v_pk_fma_f32 v[2:3], v[2:3], v[4:5], v[6:7] op_sel:[0,1,0] neg_hi:[0,1,0]
	ds_store_b64 v12, v[2:3]
	s_wait_dscnt 0x0
	ds_load_b64 v[2:3], v23 offset:112
	s_wait_dscnt 0x0
	v_readfirstlane_b32 s20, v2
	v_readfirstlane_b32 s21, v3
	ds_load_b64 v[2:3], v14 offset:16
	s_cmp_neq_f32 s20, 0
	s_cselect_b32 s22, -1, 0
	s_cmp_neq_f32 s21, 0
	s_cselect_b32 s23, -1, 0
	s_delay_alu instid0(SALU_CYCLE_1) | instskip(NEXT) | instid1(SALU_CYCLE_1)
	s_or_b32 s22, s22, s23
	s_nor_b32 s23, s22, s0
	s_and_b32 s22, s22, exec_lo
	s_cselect_b32 s20, s20, 1.0
	s_cselect_b32 s21, s21, 0
	s_delay_alu instid0(SALU_CYCLE_1)
	v_dual_mov_b32 v4, s20 :: v_dual_mov_b32 v6, s21
	s_and_saveexec_b32 s20, s23
	s_cbranch_execz .LBB44_55
; %bb.52:                               ;   in Loop: Header=BB44_19 Depth=1
	v_mbcnt_lo_u32_b32 v4, exec_lo, 0
	s_mov_b32 s21, exec_lo
	s_delay_alu instid0(VALU_DEP_1)
	v_cmpx_eq_u32_e32 0, v4
	s_cbranch_execz .LBB44_54
; %bb.53:                               ;   in Loop: Header=BB44_19 Depth=1
	v_mov_b32_e32 v4, s19
	global_atomic_min_i32 v23, v4, s[10:11] scope:SCOPE_DEV
.LBB44_54:                              ;   in Loop: Header=BB44_19 Depth=1
	s_wait_xcnt 0x0
	s_or_b32 exec_lo, exec_lo, s21
	v_dual_mov_b32 v6, 0 :: v_dual_mov_b32 v4, 1.0
.LBB44_55:                              ;   in Loop: Header=BB44_19 Depth=1
	s_or_b32 exec_lo, exec_lo, s20
	ds_load_b128 v[24:27], v14
	ds_load_b128 v[28:31], v23 offset:96
	ds_load_b64 v[32:33], v18 offset:16
	s_wait_dscnt 0x1
	v_dual_mul_f32 v5, v6, v6 :: v_dual_mov_b32 v34, v31
	s_delay_alu instid0(VALU_DEP_1) | instskip(SKIP_2) | instid1(VALU_DEP_2)
	v_fmac_f32_e32 v5, v4, v4
	s_wait_dscnt 0x0
	v_pk_fma_f32 v[32:33], v[28:29], v[24:25], v[32:33] op_sel_hi:[1,0,1]
	v_div_scale_f32 v7, null, v5, v5, 1.0
	s_delay_alu instid0(VALU_DEP_2) | instskip(NEXT) | instid1(VALU_DEP_2)
	v_pk_fma_f32 v[24:25], v[28:29], v[24:25], v[32:33] op_sel:[0,1,1] op_sel_hi:[1,1,0] neg_lo:[0,1,0]
	v_rcp_f32_e32 v36, v7
	v_nop
	s_delay_alu instid0(TRANS32_DEP_1) | instskip(NEXT) | instid1(VALU_DEP_1)
	v_fma_f32 v35, -v7, v36, 1.0
	v_dual_fmac_f32 v36, v35, v36 :: v_dual_mov_b32 v35, v30
	v_div_scale_f32 v37, vcc_lo, 1.0, v5, 1.0
	v_mov_b32_e32 v28, v27
	s_delay_alu instid0(VALU_DEP_3) | instskip(NEXT) | instid1(VALU_DEP_3)
	v_pk_fma_f32 v[24:25], v[34:35], v[26:27], v[24:25] op_sel_hi:[1,0,1]
	v_dual_mov_b32 v27, v2 :: v_dual_mul_f32 v29, v37, v36
	v_mov_b32_e32 v26, v3
	s_delay_alu instid0(VALU_DEP_2) | instskip(NEXT) | instid1(VALU_DEP_4)
	v_fma_f32 v32, -v7, v29, v37
	v_pk_fma_f32 v[2:3], v[30:31], v[28:29], v[24:25] op_sel_hi:[1,0,1] neg_lo:[0,1,0]
	s_delay_alu instid0(VALU_DEP_2) | instskip(NEXT) | instid1(VALU_DEP_2)
	v_fmac_f32_e32 v29, v32, v36
	v_pk_add_f32 v[2:3], v[26:27], v[2:3] neg_lo:[0,1] neg_hi:[0,1]
	s_delay_alu instid0(VALU_DEP_2) | instskip(NEXT) | instid1(VALU_DEP_2)
	v_fma_f32 v24, -v7, v29, v37
	v_pk_mul_f32 v[6:7], v[6:7], v[2:3] op_sel:[0,1] op_sel_hi:[0,0] neg_lo:[0,1]
	s_delay_alu instid0(VALU_DEP_2) | instskip(NEXT) | instid1(VALU_DEP_2)
	v_div_fmas_f32 v24, v24, v36, v29
	v_pk_fma_f32 v[2:3], v[2:3], v[4:5], v[6:7] op_sel_hi:[1,0,1]
	s_delay_alu instid0(VALU_DEP_2) | instskip(NEXT) | instid1(VALU_DEP_1)
	v_div_fixup_f32 v4, v24, v5, 1.0
	v_pk_mul_f32 v[2:3], v[4:5], v[2:3] op_sel_hi:[0,1]
	s_delay_alu instid0(VALU_DEP_1)
	v_dual_mov_b32 v4, v3 :: v_dual_mov_b32 v5, v2
	ds_store_b64 v14, v[4:5] offset:16
	s_wait_storecnt_dscnt 0x0
	ds_load_b64 v[4:5], v13 offset:16
	ds_load_b64 v[6:7], v12
	s_wait_dscnt 0x0
	v_pk_fma_f32 v[6:7], v[2:3], v[4:5], v[6:7] op_sel:[1,0,0] op_sel_hi:[0,0,1]
	s_delay_alu instid0(VALU_DEP_1)
	v_pk_fma_f32 v[2:3], v[2:3], v[4:5], v[6:7] op_sel:[0,1,0] neg_hi:[0,1,0]
	ds_store_b64 v12, v[2:3]
	s_wait_dscnt 0x0
	ds_load_b64 v[2:3], v23 offset:168
	s_wait_dscnt 0x0
	v_readfirstlane_b32 s20, v2
	v_readfirstlane_b32 s21, v3
	ds_load_b64 v[2:3], v14 offset:24
	s_cmp_neq_f32 s20, 0
	s_cselect_b32 s22, -1, 0
	s_cmp_neq_f32 s21, 0
	s_cselect_b32 s23, -1, 0
	s_delay_alu instid0(SALU_CYCLE_1) | instskip(NEXT) | instid1(SALU_CYCLE_1)
	s_or_b32 s22, s22, s23
	s_nor_b32 s23, s22, s0
	s_and_b32 s22, s22, exec_lo
	s_cselect_b32 s20, s20, 1.0
	s_cselect_b32 s21, s21, 0
	s_delay_alu instid0(SALU_CYCLE_1)
	v_dual_mov_b32 v4, s20 :: v_dual_mov_b32 v6, s21
	s_and_saveexec_b32 s20, s23
	s_cbranch_execz .LBB44_59
; %bb.56:                               ;   in Loop: Header=BB44_19 Depth=1
	v_mbcnt_lo_u32_b32 v4, exec_lo, 0
	s_mov_b32 s21, exec_lo
	s_delay_alu instid0(VALU_DEP_1)
	v_cmpx_eq_u32_e32 0, v4
	s_cbranch_execz .LBB44_58
; %bb.57:                               ;   in Loop: Header=BB44_19 Depth=1
	v_mov_b32_e32 v4, s19
	global_atomic_min_i32 v23, v4, s[10:11] scope:SCOPE_DEV
.LBB44_58:                              ;   in Loop: Header=BB44_19 Depth=1
	s_wait_xcnt 0x0
	s_or_b32 exec_lo, exec_lo, s21
	v_dual_mov_b32 v6, 0 :: v_dual_mov_b32 v4, 1.0
.LBB44_59:                              ;   in Loop: Header=BB44_19 Depth=1
	s_or_b32 exec_lo, exec_lo, s20
	ds_load_b128 v[24:27], v14
	ds_load_b128 v[28:31], v23 offset:144
	ds_load_b64 v[32:33], v18 offset:24
	v_mul_f32_e32 v5, v6, v6
	ds_load_b64 v[34:35], v14 offset:16
	ds_load_b64 v[36:37], v23 offset:160
	s_wait_dscnt 0x3
	v_dual_mov_b32 v38, v31 :: v_dual_fmac_f32 v5, v4, v4
	v_mov_b32_e32 v39, v30
	s_wait_dscnt 0x2
	v_pk_fma_f32 v[32:33], v[28:29], v[24:25], v[32:33] op_sel_hi:[1,0,1]
	s_delay_alu instid0(VALU_DEP_3) | instskip(NEXT) | instid1(VALU_DEP_2)
	v_div_scale_f32 v7, null, v5, v5, 1.0
	v_pk_fma_f32 v[24:25], v[28:29], v[24:25], v[32:33] op_sel:[0,1,1] op_sel_hi:[1,1,0] neg_lo:[0,1,0]
	v_div_scale_f32 v29, vcc_lo, 1.0, v5, 1.0
	s_delay_alu instid0(VALU_DEP_3) | instskip(NEXT) | instid1(VALU_DEP_2)
	v_rcp_f32_e32 v40, v7
	v_pk_fma_f32 v[24:25], v[38:39], v[26:27], v[24:25] op_sel_hi:[1,0,1]
	v_mov_b32_e32 v26, v3
	s_delay_alu instid0(TRANS32_DEP_1) | instskip(SKIP_1) | instid1(VALU_DEP_2)
	v_fma_f32 v41, -v7, v40, 1.0
	v_dual_mov_b32 v28, v27 :: v_dual_mov_b32 v27, v2
	v_fmac_f32_e32 v40, v41, v40
	s_delay_alu instid0(VALU_DEP_2) | instskip(NEXT) | instid1(VALU_DEP_2)
	v_pk_fma_f32 v[24:25], v[30:31], v[28:29], v[24:25] op_sel_hi:[1,0,1] neg_lo:[0,1,0]
	v_mul_f32_e32 v32, v29, v40
	s_wait_dscnt 0x0
	s_delay_alu instid0(VALU_DEP_2) | instskip(NEXT) | instid1(VALU_DEP_2)
	v_pk_fma_f32 v[24:25], v[36:37], v[34:35], v[24:25] op_sel:[1,0,0] op_sel_hi:[0,0,1]
	v_fma_f32 v28, -v7, v32, v29
	s_delay_alu instid0(VALU_DEP_2) | instskip(NEXT) | instid1(VALU_DEP_2)
	v_pk_fma_f32 v[2:3], v[36:37], v[34:35], v[24:25] op_sel:[0,1,0] neg_lo:[0,1,0]
	v_fmac_f32_e32 v32, v28, v40
	s_delay_alu instid0(VALU_DEP_2) | instskip(NEXT) | instid1(VALU_DEP_2)
	v_pk_add_f32 v[2:3], v[26:27], v[2:3] neg_lo:[0,1] neg_hi:[0,1]
	v_fma_f32 v7, -v7, v32, v29
	s_delay_alu instid0(VALU_DEP_1) | instskip(NEXT) | instid1(VALU_DEP_3)
	v_div_fmas_f32 v24, v7, v40, v32
	v_pk_mul_f32 v[6:7], v[6:7], v[2:3] op_sel:[0,1] op_sel_hi:[0,0] neg_lo:[0,1]
	s_delay_alu instid0(VALU_DEP_2) | instskip(NEXT) | instid1(VALU_DEP_2)
	v_div_fixup_f32 v24, v24, v5, 1.0
	v_pk_fma_f32 v[2:3], v[2:3], v[4:5], v[6:7] op_sel_hi:[1,0,1]
	s_delay_alu instid0(VALU_DEP_1) | instskip(NEXT) | instid1(VALU_DEP_1)
	v_pk_mul_f32 v[2:3], v[24:25], v[2:3] op_sel_hi:[0,1]
	v_dual_mov_b32 v4, v3 :: v_dual_mov_b32 v5, v2
	ds_store_b64 v14, v[4:5] offset:24
	s_wait_storecnt_dscnt 0x0
	ds_load_b64 v[4:5], v13 offset:24
	ds_load_b64 v[6:7], v12
	s_wait_dscnt 0x0
	v_pk_fma_f32 v[6:7], v[2:3], v[4:5], v[6:7] op_sel:[1,0,0] op_sel_hi:[0,0,1]
	s_delay_alu instid0(VALU_DEP_1)
	v_pk_fma_f32 v[2:3], v[2:3], v[4:5], v[6:7] op_sel:[0,1,0] neg_hi:[0,1,0]
	ds_store_b64 v12, v[2:3]
	s_wait_dscnt 0x0
	ds_load_b64 v[2:3], v23 offset:224
	s_wait_dscnt 0x0
	v_readfirstlane_b32 s20, v2
	v_readfirstlane_b32 s21, v3
	ds_load_b64 v[2:3], v14 offset:32
	s_cmp_neq_f32 s20, 0
	s_cselect_b32 s22, -1, 0
	s_cmp_neq_f32 s21, 0
	s_cselect_b32 s23, -1, 0
	s_delay_alu instid0(SALU_CYCLE_1) | instskip(NEXT) | instid1(SALU_CYCLE_1)
	s_or_b32 s22, s22, s23
	s_nor_b32 s23, s22, s0
	s_and_b32 s22, s22, exec_lo
	s_cselect_b32 s20, s20, 1.0
	s_cselect_b32 s21, s21, 0
	s_delay_alu instid0(SALU_CYCLE_1)
	v_dual_mov_b32 v4, s20 :: v_dual_mov_b32 v6, s21
	s_and_saveexec_b32 s20, s23
	s_cbranch_execz .LBB44_17
; %bb.60:                               ;   in Loop: Header=BB44_19 Depth=1
	v_mbcnt_lo_u32_b32 v4, exec_lo, 0
	s_mov_b32 s21, exec_lo
	s_delay_alu instid0(VALU_DEP_1)
	v_cmpx_eq_u32_e32 0, v4
	s_cbranch_execz .LBB44_16
; %bb.61:                               ;   in Loop: Header=BB44_19 Depth=1
	v_mov_b32_e32 v4, s19
	global_atomic_min_i32 v23, v4, s[10:11] scope:SCOPE_DEV
	s_branch .LBB44_16
.LBB44_62:
	s_wait_xcnt 0x0
	v_mov_b32_e32 v0, v10
	s_wait_kmcnt 0x0
	s_cmp_lg_u32 s1, 0
	s_cselect_b32 s5, -1, 0
	s_cmp_eq_u32 s1, 0
	s_cbranch_scc1 .LBB44_64
; %bb.63:
	v_mad_u32_u24 v0, v8, 5, v9
.LBB44_64:
	s_mul_i32 s4, s26, 25
	v_lshl_add_u32 v1, v8, 3, v14
	s_delay_alu instid0(VALU_DEP_2)
	v_add_nc_u32_e32 v0, s4, v0
	v_cmp_ne_u32_e64 s1, 0, v9
	s_mov_b32 s0, exec_lo
	global_load_b64 v[2:3], v0, s[16:17] scale_offset
	s_wait_loadcnt 0x0
	ds_store_b64 v1, v[2:3]
	s_wait_dscnt 0x0
	v_cmpx_eq_u32_e32 0, v9
	s_cbranch_execz .LBB44_74
; %bb.65:
	v_mov_b32_e32 v0, 0
	ds_load_2addr_b64 v[2:5], v0 offset0:60 offset1:90
	s_wait_dscnt 0x0
	v_readfirstlane_b32 s12, v4
	v_readfirstlane_b32 s13, v2
	;; [unrolled: 1-line block ×3, first 2 shown]
	s_sub_f32 s12, s13, s12
	v_readfirstlane_b32 s13, v5
	s_delay_alu instid0(SALU_CYCLE_2) | instskip(SKIP_4) | instid1(SALU_CYCLE_1)
	s_xor_b32 s18, s12, 0x80000000
	s_cmp_lt_f32 s12, 0
	s_sub_f32 s15, s14, s13
	s_mov_b32 s14, 0
	s_cselect_b32 s12, s18, s12
	s_xor_b32 s13, s15, 0x80000000
	s_cmp_lt_f32 s15, 0
	s_cselect_b32 s13, s13, s15
	s_delay_alu instid0(SALU_CYCLE_1)
	s_cmp_ngt_f32 s12, s13
	s_cbranch_scc0 .LBB44_71
; %bb.66:
	s_cmp_eq_f32 s15, 0
	s_cbranch_scc1 .LBB44_68
; %bb.67:
	v_div_scale_f32 v0, null, s13, s13, s12
	v_div_scale_f32 v4, vcc_lo, s12, s13, s12
	s_delay_alu instid0(VALU_DEP_2)
	v_rcp_f32_e32 v2, v0
	v_nop
	v_xor_b32_e32 v0, 0x80000000, v0
	s_delay_alu instid0(TRANS32_DEP_1) | instid1(VALU_DEP_1)
	v_fma_f32 v3, v0, v2, 1.0
	s_delay_alu instid0(VALU_DEP_1) | instskip(NEXT) | instid1(VALU_DEP_1)
	v_fmac_f32_e32 v2, v3, v2
	v_mul_f32_e32 v3, v4, v2
	s_delay_alu instid0(VALU_DEP_1) | instskip(NEXT) | instid1(VALU_DEP_1)
	v_fma_f32 v5, v0, v3, v4
	v_fmac_f32_e32 v3, v5, v2
	s_delay_alu instid0(VALU_DEP_1) | instskip(NEXT) | instid1(VALU_DEP_1)
	v_fmac_f32_e32 v4, v0, v3
	v_div_fmas_f32 v0, v4, v2, v3
	s_delay_alu instid0(VALU_DEP_1) | instskip(NEXT) | instid1(VALU_DEP_1)
	v_div_fixup_f32 v0, v0, s13, s12
	v_readfirstlane_b32 s14, v0
	s_fmaak_f32 s14, s14, s14, 0x3f800000
	s_delay_alu instid0(SALU_CYCLE_3) | instskip(SKIP_1) | instid1(SALU_CYCLE_2)
	s_mul_f32 s15, s14, 0x4f800000
	s_cmp_lt_f32 s14, 0xf800000
	s_cselect_b32 s15, s15, s14
	s_delay_alu instid0(SALU_CYCLE_1) | instskip(SKIP_1) | instid1(TRANS32_DEP_1)
	v_s_sqrt_f32 s18, s15
	s_mov_b32 s20, s15
	s_add_co_i32 s19, s18, -1
	s_delay_alu instid0(SALU_CYCLE_1) | instskip(NEXT) | instid1(SALU_CYCLE_1)
	s_xor_b32 s21, s19, 0x80000000
	s_fmac_f32 s20, s21, s18
	s_mov_b32 s21, s15
	s_delay_alu instid0(SALU_CYCLE_2) | instskip(SKIP_2) | instid1(SALU_CYCLE_1)
	s_cmp_le_f32 s20, 0
	s_cselect_b32 s19, s19, s18
	s_add_co_i32 s20, s18, 1
	s_xor_b32 s22, s20, 0x80000000
	s_delay_alu instid0(SALU_CYCLE_1) | instskip(NEXT) | instid1(SALU_CYCLE_3)
	s_fmac_f32 s21, s22, s18
	s_cmp_gt_f32 s21, 0
	s_cselect_b32 s18, s20, s19
	s_cmp_lt_f32 s14, 0xf800000
	s_mul_f32 s14, s18, 0x37800000
	v_cmp_class_f32_e64 s19, s15, 0x260
	s_delay_alu instid0(SALU_CYCLE_2) | instskip(SKIP_2) | instid1(SALU_CYCLE_1)
	s_cselect_b32 s14, s14, s18
	s_and_b32 s18, s19, exec_lo
	s_cselect_b32 s14, s15, s14
	s_mul_f32 s14, s13, s14
.LBB44_68:
	s_cbranch_execz .LBB44_72
	s_branch .LBB44_73
.LBB44_69:
	s_cbranch_execnz .LBB44_141
.LBB44_70:
	s_endpgm
.LBB44_71:
                                        ; implicit-def: $sgpr14
.LBB44_72:
	v_div_scale_f32 v0, null, s12, s12, s13
	v_div_scale_f32 v4, vcc_lo, s13, s12, s13
	s_delay_alu instid0(VALU_DEP_2)
	v_rcp_f32_e32 v2, v0
	v_nop
	v_xor_b32_e32 v0, 0x80000000, v0
	s_delay_alu instid0(TRANS32_DEP_1) | instid1(VALU_DEP_1)
	v_fma_f32 v3, v0, v2, 1.0
	s_delay_alu instid0(VALU_DEP_1) | instskip(NEXT) | instid1(VALU_DEP_1)
	v_fmac_f32_e32 v2, v3, v2
	v_mul_f32_e32 v3, v4, v2
	s_delay_alu instid0(VALU_DEP_1) | instskip(NEXT) | instid1(VALU_DEP_1)
	v_fma_f32 v5, v0, v3, v4
	v_fmac_f32_e32 v3, v5, v2
	s_delay_alu instid0(VALU_DEP_1) | instskip(NEXT) | instid1(VALU_DEP_1)
	v_fmac_f32_e32 v4, v0, v3
	v_div_fmas_f32 v0, v4, v2, v3
	s_delay_alu instid0(VALU_DEP_1) | instskip(NEXT) | instid1(VALU_DEP_1)
	v_div_fixup_f32 v0, v0, s12, s13
	v_readfirstlane_b32 s13, v0
	s_fmaak_f32 s13, s13, s13, 0x3f800000
	s_delay_alu instid0(SALU_CYCLE_3) | instskip(SKIP_1) | instid1(SALU_CYCLE_2)
	s_mul_f32 s14, s13, 0x4f800000
	s_cmp_lt_f32 s13, 0xf800000
	s_cselect_b32 s14, s14, s13
	s_delay_alu instid0(SALU_CYCLE_1) | instskip(SKIP_1) | instid1(TRANS32_DEP_1)
	v_s_sqrt_f32 s15, s14
	s_mov_b32 s19, s14
	s_add_co_i32 s18, s15, -1
	s_delay_alu instid0(SALU_CYCLE_1) | instskip(NEXT) | instid1(SALU_CYCLE_1)
	s_xor_b32 s20, s18, 0x80000000
	s_fmac_f32 s19, s20, s15
	s_mov_b32 s20, s14
	s_delay_alu instid0(SALU_CYCLE_2) | instskip(SKIP_2) | instid1(SALU_CYCLE_1)
	s_cmp_le_f32 s19, 0
	s_cselect_b32 s18, s18, s15
	s_add_co_i32 s19, s15, 1
	s_xor_b32 s21, s19, 0x80000000
	s_delay_alu instid0(SALU_CYCLE_1) | instskip(NEXT) | instid1(SALU_CYCLE_3)
	s_fmac_f32 s20, s21, s15
	s_cmp_gt_f32 s20, 0
	s_cselect_b32 s15, s19, s18
	s_cmp_lt_f32 s13, 0xf800000
	s_mul_f32 s13, s15, 0x37800000
	v_cmp_class_f32_e64 s18, s14, 0x260
	s_delay_alu instid0(SALU_CYCLE_2) | instskip(SKIP_2) | instid1(SALU_CYCLE_1)
	s_cselect_b32 s13, s13, s15
	s_and_b32 s15, s18, exec_lo
	s_cselect_b32 s13, s14, s13
	s_mul_f32 s14, s12, s13
.LBB44_73:
	s_delay_alu instid0(SALU_CYCLE_3) | instskip(SKIP_2) | instid1(SALU_CYCLE_1)
	s_mul_f32 s12, s14, 0x4f800000
	s_cmp_lt_f32 s14, 0xf800000
	v_mov_b32_e32 v3, 0
	s_cselect_b32 s12, s12, s14
	s_delay_alu instid0(SALU_CYCLE_1) | instskip(SKIP_1) | instid1(TRANS32_DEP_1)
	v_s_sqrt_f32 s13, s12
	s_mov_b32 s18, s12
	s_add_co_i32 s15, s13, -1
	s_delay_alu instid0(SALU_CYCLE_1) | instskip(NEXT) | instid1(SALU_CYCLE_1)
	s_xor_b32 s19, s15, 0x80000000
	s_fmac_f32 s18, s19, s13
	s_mov_b32 s19, s12
	s_delay_alu instid0(SALU_CYCLE_2) | instskip(SKIP_2) | instid1(SALU_CYCLE_1)
	s_cmp_le_f32 s18, 0
	s_cselect_b32 s15, s15, s13
	s_add_co_i32 s18, s13, 1
	s_xor_b32 s20, s18, 0x80000000
	s_delay_alu instid0(SALU_CYCLE_1) | instskip(SKIP_1) | instid1(SALU_CYCLE_2)
	s_fmac_f32 s19, s20, s13
	v_cmp_class_f32_e64 s13, s12, 0x260
	s_cmp_gt_f32 s19, 0
	s_cselect_b32 s15, s18, s15
	s_cmp_lt_f32 s14, 0xf800000
	s_mul_f32 s14, s15, 0x37800000
	s_delay_alu instid0(SALU_CYCLE_3) | instskip(SKIP_2) | instid1(SALU_CYCLE_1)
	s_cselect_b32 s14, s14, s15
	s_and_b32 s13, s13, exec_lo
	s_cselect_b32 s12, s12, s14
	v_mov_b32_e32 v2, s12
	ds_store_b64 v3, v[2:3] offset:480
.LBB44_74:
	s_or_b32 exec_lo, exec_lo, s0
	v_mov_b32_e32 v0, 0
	s_wait_dscnt 0x0
	s_add_co_i32 s12, s8, s9
	ds_load_b64 v[2:3], v0 offset:480
	s_wait_dscnt 0x0
	v_readfirstlane_b32 s13, v2
	v_readfirstlane_b32 s14, v3
	v_or_b32_e32 v3, v8, v9
	s_cmp_neq_f32 s13, 0
	s_delay_alu instid0(VALU_DEP_1) | instskip(SKIP_3) | instid1(SALU_CYCLE_1)
	v_cmp_ne_u32_e64 s0, 0, v3
	s_cselect_b32 s15, -1, 0
	s_cmp_neq_f32 s14, 0
	s_cselect_b32 s18, -1, 0
	s_or_b32 s15, s15, s18
	s_delay_alu instid0(SALU_CYCLE_1) | instskip(SKIP_3) | instid1(SALU_CYCLE_1)
	s_nor_b32 s18, s15, s0
	s_and_b32 s15, s15, exec_lo
	s_cselect_b32 s13, s13, 1.0
	s_cselect_b32 s14, s14, 0
	v_dual_mov_b32 v0, s13 :: v_dual_mov_b32 v2, s14
	s_and_saveexec_b32 s13, s18
	s_cbranch_execz .LBB44_78
; %bb.75:
	v_mbcnt_lo_u32_b32 v0, exec_lo, 0
	s_mov_b32 s14, exec_lo
	s_delay_alu instid0(VALU_DEP_1)
	v_cmpx_eq_u32_e32 0, v0
	s_cbranch_execz .LBB44_77
; %bb.76:
	v_dual_mov_b32 v0, 0 :: v_dual_mov_b32 v2, s12
	global_atomic_min_i32 v0, v2, s[10:11] scope:SCOPE_DEV
.LBB44_77:
	s_wait_xcnt 0x0
	s_or_b32 exec_lo, exec_lo, s14
	v_dual_mov_b32 v2, 0 :: v_dual_mov_b32 v0, 1.0
.LBB44_78:
	s_or_b32 exec_lo, exec_lo, s13
	s_and_saveexec_b32 s13, s1
	s_cbranch_execz .LBB44_80
; %bb.79:
	s_delay_alu instid0(VALU_DEP_1) | instskip(SKIP_3) | instid1(VALU_DEP_1)
	v_mul_f32_e32 v16, v2, v2
	ds_load_b64 v[4:5], v14
	ds_load_b64 v[6:7], v15
	v_fmac_f32_e32 v16, v0, v0
	v_div_scale_f32 v17, null, v16, v16, 1.0
	s_delay_alu instid0(VALU_DEP_1) | instskip(SKIP_2) | instid1(TRANS32_DEP_1)
	v_rcp_f32_e32 v18, v17
	s_wait_dscnt 0x0
	v_pk_add_f32 v[4:5], v[4:5], v[6:7] op_sel:[1,1] op_sel_hi:[0,0] neg_lo:[0,1] neg_hi:[0,1]
	v_fma_f32 v19, -v17, v18, 1.0
	s_delay_alu instid0(VALU_DEP_2) | instskip(NEXT) | instid1(VALU_DEP_2)
	v_pk_mul_f32 v[6:7], v[2:3], v[4:5] op_sel:[0,1] op_sel_hi:[0,0] neg_lo:[0,1]
	v_fmac_f32_e32 v18, v19, v18
	v_div_scale_f32 v20, vcc_lo, 1.0, v16, 1.0
	s_delay_alu instid0(VALU_DEP_3) | instskip(NEXT) | instid1(VALU_DEP_2)
	v_pk_fma_f32 v[4:5], v[4:5], v[0:1], v[6:7] op_sel_hi:[1,0,1]
	v_mul_f32_e32 v19, v20, v18
	s_delay_alu instid0(VALU_DEP_1) | instskip(NEXT) | instid1(VALU_DEP_1)
	v_fma_f32 v21, -v17, v19, v20
	v_fmac_f32_e32 v19, v21, v18
	s_delay_alu instid0(VALU_DEP_1) | instskip(NEXT) | instid1(VALU_DEP_1)
	v_fma_f32 v17, -v17, v19, v20
	v_div_fmas_f32 v2, v17, v18, v19
	s_delay_alu instid0(VALU_DEP_1) | instskip(NEXT) | instid1(VALU_DEP_1)
	v_div_fixup_f32 v0, v2, v16, 1.0
	v_pk_mul_f32 v[4:5], v[0:1], v[4:5] op_sel_hi:[0,1]
	s_delay_alu instid0(VALU_DEP_1)
	v_dual_mov_b32 v6, v5 :: v_dual_mov_b32 v7, v4
	ds_store_b64 v14, v[6:7]
	s_wait_storecnt_dscnt 0x0
	ds_load_b64 v[6:7], v13
	ds_load_b64 v[16:17], v12
	s_wait_dscnt 0x0
	v_pk_fma_f32 v[16:17], v[4:5], v[6:7], v[16:17] op_sel:[1,0,0] op_sel_hi:[0,0,1]
	s_delay_alu instid0(VALU_DEP_1)
	v_pk_fma_f32 v[4:5], v[4:5], v[6:7], v[16:17] op_sel:[0,1,0] neg_hi:[0,1,0]
	ds_store_b64 v12, v[4:5]
.LBB44_80:
	s_or_b32 exec_lo, exec_lo, s13
	s_delay_alu instid0(SALU_CYCLE_1)
	s_mov_b32 s1, exec_lo
	s_wait_storecnt_dscnt 0x0
	v_cmpx_eq_u32_e32 1, v9
	s_cbranch_execz .LBB44_88
; %bb.81:
	v_mov_b32_e32 v0, 0
	ds_load_2addr_b64 v[4:7], v0 offset0:67 offset1:97
	s_wait_dscnt 0x0
	v_readfirstlane_b32 s13, v6
	v_readfirstlane_b32 s14, v4
	;; [unrolled: 1-line block ×3, first 2 shown]
	s_sub_f32 s13, s14, s13
	v_readfirstlane_b32 s14, v7
	s_delay_alu instid0(SALU_CYCLE_2) | instskip(SKIP_4) | instid1(SALU_CYCLE_1)
	s_xor_b32 s19, s13, 0x80000000
	s_cmp_lt_f32 s13, 0
	s_sub_f32 s18, s15, s14
	s_mov_b32 s15, 0
	s_cselect_b32 s13, s19, s13
	s_xor_b32 s14, s18, 0x80000000
	s_cmp_lt_f32 s18, 0
	s_cselect_b32 s14, s14, s18
	s_delay_alu instid0(SALU_CYCLE_1)
	s_cmp_gt_f32 s13, s14
	s_cbranch_scc1 .LBB44_85
; %bb.82:
	s_cmp_eq_f32 s18, 0
	s_cbranch_scc1 .LBB44_84
; %bb.83:
	v_div_scale_f32 v0, null, s14, s14, s13
	v_div_scale_f32 v5, vcc_lo, s13, s14, s13
	s_delay_alu instid0(VALU_DEP_2)
	v_rcp_f32_e32 v2, v0
	v_nop
	v_xor_b32_e32 v0, 0x80000000, v0
	s_delay_alu instid0(TRANS32_DEP_1) | instid1(VALU_DEP_1)
	v_fma_f32 v4, v0, v2, 1.0
	s_delay_alu instid0(VALU_DEP_1) | instskip(NEXT) | instid1(VALU_DEP_1)
	v_fmac_f32_e32 v2, v4, v2
	v_mul_f32_e32 v4, v5, v2
	s_delay_alu instid0(VALU_DEP_1) | instskip(NEXT) | instid1(VALU_DEP_1)
	v_fma_f32 v6, v0, v4, v5
	v_fmac_f32_e32 v4, v6, v2
	s_delay_alu instid0(VALU_DEP_1) | instskip(NEXT) | instid1(VALU_DEP_1)
	v_fmac_f32_e32 v5, v0, v4
	v_div_fmas_f32 v0, v5, v2, v4
	s_delay_alu instid0(VALU_DEP_1) | instskip(NEXT) | instid1(VALU_DEP_1)
	v_div_fixup_f32 v0, v0, s14, s13
	v_readfirstlane_b32 s15, v0
	s_fmaak_f32 s15, s15, s15, 0x3f800000
	s_delay_alu instid0(SALU_CYCLE_3) | instskip(SKIP_1) | instid1(SALU_CYCLE_2)
	s_mul_f32 s18, s15, 0x4f800000
	s_cmp_lt_f32 s15, 0xf800000
	s_cselect_b32 s18, s18, s15
	s_delay_alu instid0(SALU_CYCLE_1) | instskip(SKIP_1) | instid1(TRANS32_DEP_1)
	v_s_sqrt_f32 s19, s18
	s_mov_b32 s21, s18
	s_add_co_i32 s20, s19, -1
	s_delay_alu instid0(SALU_CYCLE_1) | instskip(NEXT) | instid1(SALU_CYCLE_1)
	s_xor_b32 s22, s20, 0x80000000
	s_fmac_f32 s21, s22, s19
	s_mov_b32 s22, s18
	s_delay_alu instid0(SALU_CYCLE_2) | instskip(SKIP_2) | instid1(SALU_CYCLE_1)
	s_cmp_le_f32 s21, 0
	s_cselect_b32 s20, s20, s19
	s_add_co_i32 s21, s19, 1
	s_xor_b32 s23, s21, 0x80000000
	s_delay_alu instid0(SALU_CYCLE_1) | instskip(NEXT) | instid1(SALU_CYCLE_3)
	s_fmac_f32 s22, s23, s19
	s_cmp_gt_f32 s22, 0
	s_cselect_b32 s19, s21, s20
	s_cmp_lt_f32 s15, 0xf800000
	s_mul_f32 s15, s19, 0x37800000
	v_cmp_class_f32_e64 s20, s18, 0x260
	s_delay_alu instid0(SALU_CYCLE_2) | instskip(SKIP_2) | instid1(SALU_CYCLE_1)
	s_cselect_b32 s15, s15, s19
	s_and_b32 s19, s20, exec_lo
	s_cselect_b32 s15, s18, s15
	s_mul_f32 s15, s14, s15
.LBB44_84:
	s_cbranch_execz .LBB44_86
	s_branch .LBB44_87
.LBB44_85:
                                        ; implicit-def: $sgpr15
.LBB44_86:
	v_div_scale_f32 v0, null, s13, s13, s14
	v_div_scale_f32 v5, vcc_lo, s14, s13, s14
	s_delay_alu instid0(VALU_DEP_2)
	v_rcp_f32_e32 v2, v0
	v_nop
	v_xor_b32_e32 v0, 0x80000000, v0
	s_delay_alu instid0(TRANS32_DEP_1) | instid1(VALU_DEP_1)
	v_fma_f32 v4, v0, v2, 1.0
	s_delay_alu instid0(VALU_DEP_1) | instskip(NEXT) | instid1(VALU_DEP_1)
	v_fmac_f32_e32 v2, v4, v2
	v_mul_f32_e32 v4, v5, v2
	s_delay_alu instid0(VALU_DEP_1) | instskip(NEXT) | instid1(VALU_DEP_1)
	v_fma_f32 v6, v0, v4, v5
	v_fmac_f32_e32 v4, v6, v2
	s_delay_alu instid0(VALU_DEP_1) | instskip(NEXT) | instid1(VALU_DEP_1)
	v_fmac_f32_e32 v5, v0, v4
	v_div_fmas_f32 v0, v5, v2, v4
	s_delay_alu instid0(VALU_DEP_1) | instskip(NEXT) | instid1(VALU_DEP_1)
	v_div_fixup_f32 v0, v0, s13, s14
	v_readfirstlane_b32 s14, v0
	s_fmaak_f32 s14, s14, s14, 0x3f800000
	s_delay_alu instid0(SALU_CYCLE_3) | instskip(SKIP_1) | instid1(SALU_CYCLE_2)
	s_mul_f32 s15, s14, 0x4f800000
	s_cmp_lt_f32 s14, 0xf800000
	s_cselect_b32 s15, s15, s14
	s_delay_alu instid0(SALU_CYCLE_1) | instskip(SKIP_1) | instid1(TRANS32_DEP_1)
	v_s_sqrt_f32 s18, s15
	s_mov_b32 s20, s15
	s_add_co_i32 s19, s18, -1
	s_delay_alu instid0(SALU_CYCLE_1) | instskip(NEXT) | instid1(SALU_CYCLE_1)
	s_xor_b32 s21, s19, 0x80000000
	s_fmac_f32 s20, s21, s18
	s_mov_b32 s21, s15
	s_delay_alu instid0(SALU_CYCLE_2) | instskip(SKIP_2) | instid1(SALU_CYCLE_1)
	s_cmp_le_f32 s20, 0
	s_cselect_b32 s19, s19, s18
	s_add_co_i32 s20, s18, 1
	s_xor_b32 s22, s20, 0x80000000
	s_delay_alu instid0(SALU_CYCLE_1) | instskip(NEXT) | instid1(SALU_CYCLE_3)
	s_fmac_f32 s21, s22, s18
	s_cmp_gt_f32 s21, 0
	s_cselect_b32 s18, s20, s19
	s_cmp_lt_f32 s14, 0xf800000
	s_mul_f32 s14, s18, 0x37800000
	v_cmp_class_f32_e64 s19, s15, 0x260
	s_delay_alu instid0(SALU_CYCLE_2) | instskip(SKIP_2) | instid1(SALU_CYCLE_1)
	s_cselect_b32 s14, s14, s18
	s_and_b32 s18, s19, exec_lo
	s_cselect_b32 s14, s15, s14
	s_mul_f32 s15, s13, s14
.LBB44_87:
	s_delay_alu instid0(SALU_CYCLE_3) | instskip(SKIP_2) | instid1(SALU_CYCLE_1)
	s_mul_f32 s13, s15, 0x4f800000
	s_cmp_lt_f32 s15, 0xf800000
	v_mov_b32_e32 v5, 0
	s_cselect_b32 s13, s13, s15
	s_delay_alu instid0(SALU_CYCLE_1) | instskip(SKIP_1) | instid1(TRANS32_DEP_1)
	v_s_sqrt_f32 s14, s13
	s_mov_b32 s19, s13
	s_add_co_i32 s18, s14, -1
	s_delay_alu instid0(SALU_CYCLE_1) | instskip(NEXT) | instid1(SALU_CYCLE_1)
	s_xor_b32 s20, s18, 0x80000000
	s_fmac_f32 s19, s20, s14
	s_mov_b32 s20, s13
	s_delay_alu instid0(SALU_CYCLE_2) | instskip(SKIP_2) | instid1(SALU_CYCLE_1)
	s_cmp_le_f32 s19, 0
	s_cselect_b32 s18, s18, s14
	s_add_co_i32 s19, s14, 1
	s_xor_b32 s21, s19, 0x80000000
	s_delay_alu instid0(SALU_CYCLE_1) | instskip(SKIP_1) | instid1(SALU_CYCLE_2)
	s_fmac_f32 s20, s21, s14
	v_cmp_class_f32_e64 s14, s13, 0x260
	s_cmp_gt_f32 s20, 0
	s_cselect_b32 s18, s19, s18
	s_cmp_lt_f32 s15, 0xf800000
	s_mul_f32 s15, s18, 0x37800000
	s_delay_alu instid0(SALU_CYCLE_3) | instskip(SKIP_2) | instid1(SALU_CYCLE_1)
	s_cselect_b32 s15, s15, s18
	s_and_b32 s14, s14, exec_lo
	s_cselect_b32 s13, s13, s15
	v_mov_b32_e32 v4, s13
	ds_store_b64 v5, v[4:5] offset:536
.LBB44_88:
	s_or_b32 exec_lo, exec_lo, s1
	v_mov_b32_e32 v0, 0
	s_wait_dscnt 0x0
	ds_load_b64 v[4:5], v0 offset:536
	s_wait_dscnt 0x0
	v_readfirstlane_b32 s1, v4
	v_readfirstlane_b32 s13, v5
	s_cmp_neq_f32 s1, 0
	s_cselect_b32 s14, -1, 0
	s_cmp_neq_f32 s13, 0
	s_cselect_b32 s15, -1, 0
	s_delay_alu instid0(SALU_CYCLE_1) | instskip(NEXT) | instid1(SALU_CYCLE_1)
	s_or_b32 s14, s14, s15
	s_nor_b32 s15, s14, s0
	s_and_b32 s14, s14, exec_lo
	s_cselect_b32 s1, s1, 1.0
	s_cselect_b32 s13, s13, 0
	s_delay_alu instid0(SALU_CYCLE_1)
	v_dual_mov_b32 v0, s1 :: v_dual_mov_b32 v2, s13
	s_and_saveexec_b32 s1, s15
	s_cbranch_execz .LBB44_92
; %bb.89:
	v_mbcnt_lo_u32_b32 v0, exec_lo, 0
	s_mov_b32 s13, exec_lo
	s_delay_alu instid0(VALU_DEP_1)
	v_cmpx_eq_u32_e32 0, v0
	s_cbranch_execz .LBB44_91
; %bb.90:
	v_dual_mov_b32 v0, 0 :: v_dual_mov_b32 v2, s12
	global_atomic_min_i32 v0, v2, s[10:11] scope:SCOPE_DEV
.LBB44_91:
	s_wait_xcnt 0x0
	s_or_b32 exec_lo, exec_lo, s13
	v_dual_mov_b32 v2, 0 :: v_dual_mov_b32 v0, 1.0
.LBB44_92:
	s_or_b32 exec_lo, exec_lo, s1
	s_delay_alu instid0(SALU_CYCLE_1)
	s_mov_b32 s1, exec_lo
	v_cmpx_lt_u32_e32 1, v9
	s_cbranch_execz .LBB44_94
; %bb.93:
	v_mul_f32_e32 v16, v2, v2
	ds_load_b64 v[4:5], v14 offset:8
	ds_load_b64 v[6:7], v15 offset:8
	v_fmac_f32_e32 v16, v0, v0
	s_delay_alu instid0(VALU_DEP_1) | instskip(NEXT) | instid1(VALU_DEP_1)
	v_div_scale_f32 v17, null, v16, v16, 1.0
	v_rcp_f32_e32 v18, v17
	s_wait_dscnt 0x0
	v_pk_add_f32 v[4:5], v[4:5], v[6:7] op_sel:[1,1] op_sel_hi:[0,0] neg_lo:[0,1] neg_hi:[0,1]
	s_delay_alu instid0(TRANS32_DEP_1) | instskip(NEXT) | instid1(VALU_DEP_2)
	v_fma_f32 v19, -v17, v18, 1.0
	v_pk_mul_f32 v[6:7], v[2:3], v[4:5] op_sel:[0,1] op_sel_hi:[0,0] neg_lo:[0,1]
	s_delay_alu instid0(VALU_DEP_2) | instskip(SKIP_1) | instid1(VALU_DEP_3)
	v_fmac_f32_e32 v18, v19, v18
	v_div_scale_f32 v20, vcc_lo, 1.0, v16, 1.0
	v_pk_fma_f32 v[4:5], v[4:5], v[0:1], v[6:7] op_sel_hi:[1,0,1]
	s_delay_alu instid0(VALU_DEP_2) | instskip(NEXT) | instid1(VALU_DEP_1)
	v_mul_f32_e32 v19, v20, v18
	v_fma_f32 v21, -v17, v19, v20
	s_delay_alu instid0(VALU_DEP_1) | instskip(NEXT) | instid1(VALU_DEP_1)
	v_fmac_f32_e32 v19, v21, v18
	v_fma_f32 v17, -v17, v19, v20
	s_delay_alu instid0(VALU_DEP_1) | instskip(NEXT) | instid1(VALU_DEP_1)
	v_div_fmas_f32 v2, v17, v18, v19
	v_div_fixup_f32 v0, v2, v16, 1.0
	s_delay_alu instid0(VALU_DEP_1) | instskip(NEXT) | instid1(VALU_DEP_1)
	v_pk_mul_f32 v[4:5], v[0:1], v[4:5] op_sel_hi:[0,1]
	v_dual_mov_b32 v6, v5 :: v_dual_mov_b32 v7, v4
	ds_store_b64 v14, v[6:7] offset:8
	s_wait_storecnt_dscnt 0x0
	ds_load_b64 v[6:7], v13 offset:8
	ds_load_b64 v[16:17], v12
	s_wait_dscnt 0x0
	v_pk_fma_f32 v[16:17], v[4:5], v[6:7], v[16:17] op_sel:[1,0,0] op_sel_hi:[0,0,1]
	s_delay_alu instid0(VALU_DEP_1)
	v_pk_fma_f32 v[4:5], v[4:5], v[6:7], v[16:17] op_sel:[0,1,0] neg_hi:[0,1,0]
	ds_store_b64 v12, v[4:5]
.LBB44_94:
	s_or_b32 exec_lo, exec_lo, s1
	s_delay_alu instid0(SALU_CYCLE_1)
	s_mov_b32 s1, exec_lo
	s_wait_storecnt_dscnt 0x0
	v_cmpx_eq_u32_e32 2, v9
	s_cbranch_execz .LBB44_102
; %bb.95:
	v_mov_b32_e32 v0, 0
	ds_load_2addr_b64 v[4:7], v0 offset0:74 offset1:104
	s_wait_dscnt 0x0
	v_readfirstlane_b32 s13, v6
	v_readfirstlane_b32 s14, v4
	;; [unrolled: 1-line block ×3, first 2 shown]
	s_sub_f32 s13, s14, s13
	v_readfirstlane_b32 s14, v7
	s_delay_alu instid0(SALU_CYCLE_2) | instskip(SKIP_4) | instid1(SALU_CYCLE_1)
	s_xor_b32 s19, s13, 0x80000000
	s_cmp_lt_f32 s13, 0
	s_sub_f32 s18, s15, s14
	s_mov_b32 s15, 0
	s_cselect_b32 s13, s19, s13
	s_xor_b32 s14, s18, 0x80000000
	s_cmp_lt_f32 s18, 0
	s_cselect_b32 s14, s14, s18
	s_delay_alu instid0(SALU_CYCLE_1)
	s_cmp_gt_f32 s13, s14
	s_cbranch_scc1 .LBB44_99
; %bb.96:
	s_cmp_eq_f32 s18, 0
	s_cbranch_scc1 .LBB44_98
; %bb.97:
	v_div_scale_f32 v0, null, s14, s14, s13
	v_div_scale_f32 v5, vcc_lo, s13, s14, s13
	s_delay_alu instid0(VALU_DEP_2)
	v_rcp_f32_e32 v2, v0
	v_nop
	v_xor_b32_e32 v0, 0x80000000, v0
	s_delay_alu instid0(TRANS32_DEP_1) | instid1(VALU_DEP_1)
	v_fma_f32 v4, v0, v2, 1.0
	s_delay_alu instid0(VALU_DEP_1) | instskip(NEXT) | instid1(VALU_DEP_1)
	v_fmac_f32_e32 v2, v4, v2
	v_mul_f32_e32 v4, v5, v2
	s_delay_alu instid0(VALU_DEP_1) | instskip(NEXT) | instid1(VALU_DEP_1)
	v_fma_f32 v6, v0, v4, v5
	v_fmac_f32_e32 v4, v6, v2
	s_delay_alu instid0(VALU_DEP_1) | instskip(NEXT) | instid1(VALU_DEP_1)
	v_fmac_f32_e32 v5, v0, v4
	v_div_fmas_f32 v0, v5, v2, v4
	s_delay_alu instid0(VALU_DEP_1) | instskip(NEXT) | instid1(VALU_DEP_1)
	v_div_fixup_f32 v0, v0, s14, s13
	v_readfirstlane_b32 s15, v0
	s_fmaak_f32 s15, s15, s15, 0x3f800000
	s_delay_alu instid0(SALU_CYCLE_3) | instskip(SKIP_1) | instid1(SALU_CYCLE_2)
	s_mul_f32 s18, s15, 0x4f800000
	s_cmp_lt_f32 s15, 0xf800000
	s_cselect_b32 s18, s18, s15
	s_delay_alu instid0(SALU_CYCLE_1) | instskip(SKIP_1) | instid1(TRANS32_DEP_1)
	v_s_sqrt_f32 s19, s18
	s_mov_b32 s21, s18
	s_add_co_i32 s20, s19, -1
	s_delay_alu instid0(SALU_CYCLE_1) | instskip(NEXT) | instid1(SALU_CYCLE_1)
	s_xor_b32 s22, s20, 0x80000000
	s_fmac_f32 s21, s22, s19
	s_mov_b32 s22, s18
	s_delay_alu instid0(SALU_CYCLE_2) | instskip(SKIP_2) | instid1(SALU_CYCLE_1)
	s_cmp_le_f32 s21, 0
	s_cselect_b32 s20, s20, s19
	s_add_co_i32 s21, s19, 1
	s_xor_b32 s23, s21, 0x80000000
	s_delay_alu instid0(SALU_CYCLE_1) | instskip(NEXT) | instid1(SALU_CYCLE_3)
	s_fmac_f32 s22, s23, s19
	s_cmp_gt_f32 s22, 0
	s_cselect_b32 s19, s21, s20
	s_cmp_lt_f32 s15, 0xf800000
	s_mul_f32 s15, s19, 0x37800000
	v_cmp_class_f32_e64 s20, s18, 0x260
	s_delay_alu instid0(SALU_CYCLE_2) | instskip(SKIP_2) | instid1(SALU_CYCLE_1)
	s_cselect_b32 s15, s15, s19
	s_and_b32 s19, s20, exec_lo
	s_cselect_b32 s15, s18, s15
	s_mul_f32 s15, s14, s15
.LBB44_98:
	s_cbranch_execz .LBB44_100
	s_branch .LBB44_101
.LBB44_99:
                                        ; implicit-def: $sgpr15
.LBB44_100:
	v_div_scale_f32 v0, null, s13, s13, s14
	v_div_scale_f32 v5, vcc_lo, s14, s13, s14
	s_delay_alu instid0(VALU_DEP_2)
	v_rcp_f32_e32 v2, v0
	v_nop
	v_xor_b32_e32 v0, 0x80000000, v0
	s_delay_alu instid0(TRANS32_DEP_1) | instid1(VALU_DEP_1)
	v_fma_f32 v4, v0, v2, 1.0
	s_delay_alu instid0(VALU_DEP_1) | instskip(NEXT) | instid1(VALU_DEP_1)
	v_fmac_f32_e32 v2, v4, v2
	v_mul_f32_e32 v4, v5, v2
	s_delay_alu instid0(VALU_DEP_1) | instskip(NEXT) | instid1(VALU_DEP_1)
	v_fma_f32 v6, v0, v4, v5
	v_fmac_f32_e32 v4, v6, v2
	s_delay_alu instid0(VALU_DEP_1) | instskip(NEXT) | instid1(VALU_DEP_1)
	v_fmac_f32_e32 v5, v0, v4
	v_div_fmas_f32 v0, v5, v2, v4
	s_delay_alu instid0(VALU_DEP_1) | instskip(NEXT) | instid1(VALU_DEP_1)
	v_div_fixup_f32 v0, v0, s13, s14
	v_readfirstlane_b32 s14, v0
	s_fmaak_f32 s14, s14, s14, 0x3f800000
	s_delay_alu instid0(SALU_CYCLE_3) | instskip(SKIP_1) | instid1(SALU_CYCLE_2)
	s_mul_f32 s15, s14, 0x4f800000
	s_cmp_lt_f32 s14, 0xf800000
	s_cselect_b32 s15, s15, s14
	s_delay_alu instid0(SALU_CYCLE_1) | instskip(SKIP_1) | instid1(TRANS32_DEP_1)
	v_s_sqrt_f32 s18, s15
	s_mov_b32 s20, s15
	s_add_co_i32 s19, s18, -1
	s_delay_alu instid0(SALU_CYCLE_1) | instskip(NEXT) | instid1(SALU_CYCLE_1)
	s_xor_b32 s21, s19, 0x80000000
	s_fmac_f32 s20, s21, s18
	s_mov_b32 s21, s15
	s_delay_alu instid0(SALU_CYCLE_2) | instskip(SKIP_2) | instid1(SALU_CYCLE_1)
	s_cmp_le_f32 s20, 0
	s_cselect_b32 s19, s19, s18
	s_add_co_i32 s20, s18, 1
	s_xor_b32 s22, s20, 0x80000000
	s_delay_alu instid0(SALU_CYCLE_1) | instskip(NEXT) | instid1(SALU_CYCLE_3)
	s_fmac_f32 s21, s22, s18
	s_cmp_gt_f32 s21, 0
	s_cselect_b32 s18, s20, s19
	s_cmp_lt_f32 s14, 0xf800000
	s_mul_f32 s14, s18, 0x37800000
	v_cmp_class_f32_e64 s19, s15, 0x260
	s_delay_alu instid0(SALU_CYCLE_2) | instskip(SKIP_2) | instid1(SALU_CYCLE_1)
	s_cselect_b32 s14, s14, s18
	s_and_b32 s18, s19, exec_lo
	s_cselect_b32 s14, s15, s14
	s_mul_f32 s15, s13, s14
.LBB44_101:
	s_delay_alu instid0(SALU_CYCLE_3) | instskip(SKIP_2) | instid1(SALU_CYCLE_1)
	s_mul_f32 s13, s15, 0x4f800000
	s_cmp_lt_f32 s15, 0xf800000
	v_mov_b32_e32 v5, 0
	s_cselect_b32 s13, s13, s15
	s_delay_alu instid0(SALU_CYCLE_1) | instskip(SKIP_1) | instid1(TRANS32_DEP_1)
	v_s_sqrt_f32 s14, s13
	s_mov_b32 s19, s13
	s_add_co_i32 s18, s14, -1
	s_delay_alu instid0(SALU_CYCLE_1) | instskip(NEXT) | instid1(SALU_CYCLE_1)
	s_xor_b32 s20, s18, 0x80000000
	s_fmac_f32 s19, s20, s14
	s_mov_b32 s20, s13
	s_delay_alu instid0(SALU_CYCLE_2) | instskip(SKIP_2) | instid1(SALU_CYCLE_1)
	s_cmp_le_f32 s19, 0
	s_cselect_b32 s18, s18, s14
	s_add_co_i32 s19, s14, 1
	s_xor_b32 s21, s19, 0x80000000
	s_delay_alu instid0(SALU_CYCLE_1) | instskip(SKIP_1) | instid1(SALU_CYCLE_2)
	s_fmac_f32 s20, s21, s14
	v_cmp_class_f32_e64 s14, s13, 0x260
	s_cmp_gt_f32 s20, 0
	s_cselect_b32 s18, s19, s18
	s_cmp_lt_f32 s15, 0xf800000
	s_mul_f32 s15, s18, 0x37800000
	s_delay_alu instid0(SALU_CYCLE_3) | instskip(SKIP_2) | instid1(SALU_CYCLE_1)
	s_cselect_b32 s15, s15, s18
	s_and_b32 s14, s14, exec_lo
	s_cselect_b32 s13, s13, s15
	v_mov_b32_e32 v4, s13
	ds_store_b64 v5, v[4:5] offset:592
.LBB44_102:
	s_or_b32 exec_lo, exec_lo, s1
	v_mov_b32_e32 v0, 0
	s_wait_dscnt 0x0
	ds_load_b64 v[4:5], v0 offset:592
	s_wait_dscnt 0x0
	v_readfirstlane_b32 s1, v4
	v_readfirstlane_b32 s13, v5
	s_cmp_neq_f32 s1, 0
	s_cselect_b32 s14, -1, 0
	s_cmp_neq_f32 s13, 0
	s_cselect_b32 s15, -1, 0
	s_delay_alu instid0(SALU_CYCLE_1) | instskip(NEXT) | instid1(SALU_CYCLE_1)
	s_or_b32 s14, s14, s15
	s_nor_b32 s15, s14, s0
	s_and_b32 s14, s14, exec_lo
	s_cselect_b32 s1, s1, 1.0
	s_cselect_b32 s13, s13, 0
	s_delay_alu instid0(SALU_CYCLE_1)
	v_dual_mov_b32 v0, s1 :: v_dual_mov_b32 v2, s13
	s_and_saveexec_b32 s1, s15
	s_cbranch_execz .LBB44_106
; %bb.103:
	v_mbcnt_lo_u32_b32 v0, exec_lo, 0
	s_mov_b32 s13, exec_lo
	s_delay_alu instid0(VALU_DEP_1)
	v_cmpx_eq_u32_e32 0, v0
	s_cbranch_execz .LBB44_105
; %bb.104:
	v_dual_mov_b32 v0, 0 :: v_dual_mov_b32 v2, s12
	global_atomic_min_i32 v0, v2, s[10:11] scope:SCOPE_DEV
.LBB44_105:
	s_wait_xcnt 0x0
	s_or_b32 exec_lo, exec_lo, s13
	v_dual_mov_b32 v2, 0 :: v_dual_mov_b32 v0, 1.0
.LBB44_106:
	s_or_b32 exec_lo, exec_lo, s1
	s_delay_alu instid0(SALU_CYCLE_1)
	s_mov_b32 s1, exec_lo
	v_cmpx_lt_u32_e32 2, v9
	s_cbranch_execz .LBB44_108
; %bb.107:
	v_mul_f32_e32 v16, v2, v2
	ds_load_b64 v[4:5], v14 offset:16
	ds_load_b64 v[6:7], v15 offset:16
	v_fmac_f32_e32 v16, v0, v0
	s_delay_alu instid0(VALU_DEP_1) | instskip(NEXT) | instid1(VALU_DEP_1)
	v_div_scale_f32 v17, null, v16, v16, 1.0
	v_rcp_f32_e32 v18, v17
	s_wait_dscnt 0x0
	v_pk_add_f32 v[4:5], v[4:5], v[6:7] op_sel:[1,1] op_sel_hi:[0,0] neg_lo:[0,1] neg_hi:[0,1]
	s_delay_alu instid0(TRANS32_DEP_1) | instskip(NEXT) | instid1(VALU_DEP_2)
	v_fma_f32 v19, -v17, v18, 1.0
	v_pk_mul_f32 v[6:7], v[2:3], v[4:5] op_sel:[0,1] op_sel_hi:[0,0] neg_lo:[0,1]
	s_delay_alu instid0(VALU_DEP_2) | instskip(SKIP_1) | instid1(VALU_DEP_3)
	v_fmac_f32_e32 v18, v19, v18
	v_div_scale_f32 v20, vcc_lo, 1.0, v16, 1.0
	v_pk_fma_f32 v[4:5], v[4:5], v[0:1], v[6:7] op_sel_hi:[1,0,1]
	s_delay_alu instid0(VALU_DEP_2) | instskip(NEXT) | instid1(VALU_DEP_1)
	v_mul_f32_e32 v19, v20, v18
	v_fma_f32 v21, -v17, v19, v20
	s_delay_alu instid0(VALU_DEP_1) | instskip(NEXT) | instid1(VALU_DEP_1)
	v_fmac_f32_e32 v19, v21, v18
	v_fma_f32 v17, -v17, v19, v20
	s_delay_alu instid0(VALU_DEP_1) | instskip(NEXT) | instid1(VALU_DEP_1)
	v_div_fmas_f32 v2, v17, v18, v19
	v_div_fixup_f32 v0, v2, v16, 1.0
	s_delay_alu instid0(VALU_DEP_1) | instskip(NEXT) | instid1(VALU_DEP_1)
	v_pk_mul_f32 v[4:5], v[0:1], v[4:5] op_sel_hi:[0,1]
	v_dual_mov_b32 v6, v5 :: v_dual_mov_b32 v7, v4
	ds_store_b64 v14, v[6:7] offset:16
	s_wait_storecnt_dscnt 0x0
	ds_load_b64 v[6:7], v13 offset:16
	ds_load_b64 v[16:17], v12
	s_wait_dscnt 0x0
	v_pk_fma_f32 v[16:17], v[4:5], v[6:7], v[16:17] op_sel:[1,0,0] op_sel_hi:[0,0,1]
	s_delay_alu instid0(VALU_DEP_1)
	v_pk_fma_f32 v[4:5], v[4:5], v[6:7], v[16:17] op_sel:[0,1,0] neg_hi:[0,1,0]
	ds_store_b64 v12, v[4:5]
.LBB44_108:
	s_or_b32 exec_lo, exec_lo, s1
	s_delay_alu instid0(SALU_CYCLE_1)
	s_mov_b32 s1, exec_lo
	s_wait_storecnt_dscnt 0x0
	v_cmpx_eq_u32_e32 3, v9
	s_cbranch_execz .LBB44_116
; %bb.109:
	v_mov_b32_e32 v0, 0
	ds_load_2addr_b64 v[4:7], v0 offset0:81 offset1:111
	s_wait_dscnt 0x0
	v_readfirstlane_b32 s13, v6
	v_readfirstlane_b32 s14, v4
	;; [unrolled: 1-line block ×3, first 2 shown]
	s_sub_f32 s13, s14, s13
	v_readfirstlane_b32 s14, v7
	s_delay_alu instid0(SALU_CYCLE_2) | instskip(SKIP_4) | instid1(SALU_CYCLE_1)
	s_xor_b32 s19, s13, 0x80000000
	s_cmp_lt_f32 s13, 0
	s_sub_f32 s18, s15, s14
	s_mov_b32 s15, 0
	s_cselect_b32 s13, s19, s13
	s_xor_b32 s14, s18, 0x80000000
	s_cmp_lt_f32 s18, 0
	s_cselect_b32 s14, s14, s18
	s_delay_alu instid0(SALU_CYCLE_1)
	s_cmp_gt_f32 s13, s14
	s_cbranch_scc1 .LBB44_113
; %bb.110:
	s_cmp_eq_f32 s18, 0
	s_cbranch_scc1 .LBB44_112
; %bb.111:
	v_div_scale_f32 v0, null, s14, s14, s13
	v_div_scale_f32 v5, vcc_lo, s13, s14, s13
	s_delay_alu instid0(VALU_DEP_2)
	v_rcp_f32_e32 v2, v0
	v_nop
	v_xor_b32_e32 v0, 0x80000000, v0
	s_delay_alu instid0(TRANS32_DEP_1) | instid1(VALU_DEP_1)
	v_fma_f32 v4, v0, v2, 1.0
	s_delay_alu instid0(VALU_DEP_1) | instskip(NEXT) | instid1(VALU_DEP_1)
	v_fmac_f32_e32 v2, v4, v2
	v_mul_f32_e32 v4, v5, v2
	s_delay_alu instid0(VALU_DEP_1) | instskip(NEXT) | instid1(VALU_DEP_1)
	v_fma_f32 v6, v0, v4, v5
	v_fmac_f32_e32 v4, v6, v2
	s_delay_alu instid0(VALU_DEP_1) | instskip(NEXT) | instid1(VALU_DEP_1)
	v_fmac_f32_e32 v5, v0, v4
	v_div_fmas_f32 v0, v5, v2, v4
	s_delay_alu instid0(VALU_DEP_1) | instskip(NEXT) | instid1(VALU_DEP_1)
	v_div_fixup_f32 v0, v0, s14, s13
	v_readfirstlane_b32 s15, v0
	s_fmaak_f32 s15, s15, s15, 0x3f800000
	s_delay_alu instid0(SALU_CYCLE_3) | instskip(SKIP_1) | instid1(SALU_CYCLE_2)
	s_mul_f32 s18, s15, 0x4f800000
	s_cmp_lt_f32 s15, 0xf800000
	s_cselect_b32 s18, s18, s15
	s_delay_alu instid0(SALU_CYCLE_1) | instskip(SKIP_1) | instid1(TRANS32_DEP_1)
	v_s_sqrt_f32 s19, s18
	s_mov_b32 s21, s18
	s_add_co_i32 s20, s19, -1
	s_delay_alu instid0(SALU_CYCLE_1) | instskip(NEXT) | instid1(SALU_CYCLE_1)
	s_xor_b32 s22, s20, 0x80000000
	s_fmac_f32 s21, s22, s19
	s_mov_b32 s22, s18
	s_delay_alu instid0(SALU_CYCLE_2) | instskip(SKIP_2) | instid1(SALU_CYCLE_1)
	s_cmp_le_f32 s21, 0
	s_cselect_b32 s20, s20, s19
	s_add_co_i32 s21, s19, 1
	s_xor_b32 s23, s21, 0x80000000
	s_delay_alu instid0(SALU_CYCLE_1) | instskip(NEXT) | instid1(SALU_CYCLE_3)
	s_fmac_f32 s22, s23, s19
	s_cmp_gt_f32 s22, 0
	s_cselect_b32 s19, s21, s20
	s_cmp_lt_f32 s15, 0xf800000
	s_mul_f32 s15, s19, 0x37800000
	v_cmp_class_f32_e64 s20, s18, 0x260
	s_delay_alu instid0(SALU_CYCLE_2) | instskip(SKIP_2) | instid1(SALU_CYCLE_1)
	s_cselect_b32 s15, s15, s19
	s_and_b32 s19, s20, exec_lo
	s_cselect_b32 s15, s18, s15
	s_mul_f32 s15, s14, s15
.LBB44_112:
	s_cbranch_execz .LBB44_114
	s_branch .LBB44_115
.LBB44_113:
                                        ; implicit-def: $sgpr15
.LBB44_114:
	v_div_scale_f32 v0, null, s13, s13, s14
	v_div_scale_f32 v5, vcc_lo, s14, s13, s14
	s_delay_alu instid0(VALU_DEP_2)
	v_rcp_f32_e32 v2, v0
	v_nop
	v_xor_b32_e32 v0, 0x80000000, v0
	s_delay_alu instid0(TRANS32_DEP_1) | instid1(VALU_DEP_1)
	v_fma_f32 v4, v0, v2, 1.0
	s_delay_alu instid0(VALU_DEP_1) | instskip(NEXT) | instid1(VALU_DEP_1)
	v_fmac_f32_e32 v2, v4, v2
	v_mul_f32_e32 v4, v5, v2
	s_delay_alu instid0(VALU_DEP_1) | instskip(NEXT) | instid1(VALU_DEP_1)
	v_fma_f32 v6, v0, v4, v5
	v_fmac_f32_e32 v4, v6, v2
	s_delay_alu instid0(VALU_DEP_1) | instskip(NEXT) | instid1(VALU_DEP_1)
	v_fmac_f32_e32 v5, v0, v4
	v_div_fmas_f32 v0, v5, v2, v4
	s_delay_alu instid0(VALU_DEP_1) | instskip(NEXT) | instid1(VALU_DEP_1)
	v_div_fixup_f32 v0, v0, s13, s14
	v_readfirstlane_b32 s14, v0
	s_fmaak_f32 s14, s14, s14, 0x3f800000
	s_delay_alu instid0(SALU_CYCLE_3) | instskip(SKIP_1) | instid1(SALU_CYCLE_2)
	s_mul_f32 s15, s14, 0x4f800000
	s_cmp_lt_f32 s14, 0xf800000
	s_cselect_b32 s15, s15, s14
	s_delay_alu instid0(SALU_CYCLE_1) | instskip(SKIP_1) | instid1(TRANS32_DEP_1)
	v_s_sqrt_f32 s18, s15
	s_mov_b32 s20, s15
	s_add_co_i32 s19, s18, -1
	s_delay_alu instid0(SALU_CYCLE_1) | instskip(NEXT) | instid1(SALU_CYCLE_1)
	s_xor_b32 s21, s19, 0x80000000
	s_fmac_f32 s20, s21, s18
	s_mov_b32 s21, s15
	s_delay_alu instid0(SALU_CYCLE_2) | instskip(SKIP_2) | instid1(SALU_CYCLE_1)
	s_cmp_le_f32 s20, 0
	s_cselect_b32 s19, s19, s18
	s_add_co_i32 s20, s18, 1
	s_xor_b32 s22, s20, 0x80000000
	s_delay_alu instid0(SALU_CYCLE_1) | instskip(NEXT) | instid1(SALU_CYCLE_3)
	s_fmac_f32 s21, s22, s18
	s_cmp_gt_f32 s21, 0
	s_cselect_b32 s18, s20, s19
	s_cmp_lt_f32 s14, 0xf800000
	s_mul_f32 s14, s18, 0x37800000
	v_cmp_class_f32_e64 s19, s15, 0x260
	s_delay_alu instid0(SALU_CYCLE_2) | instskip(SKIP_2) | instid1(SALU_CYCLE_1)
	s_cselect_b32 s14, s14, s18
	s_and_b32 s18, s19, exec_lo
	s_cselect_b32 s14, s15, s14
	s_mul_f32 s15, s13, s14
.LBB44_115:
	s_delay_alu instid0(SALU_CYCLE_3) | instskip(SKIP_2) | instid1(SALU_CYCLE_1)
	s_mul_f32 s13, s15, 0x4f800000
	s_cmp_lt_f32 s15, 0xf800000
	v_mov_b32_e32 v5, 0
	s_cselect_b32 s13, s13, s15
	s_delay_alu instid0(SALU_CYCLE_1) | instskip(SKIP_1) | instid1(TRANS32_DEP_1)
	v_s_sqrt_f32 s14, s13
	s_mov_b32 s19, s13
	s_add_co_i32 s18, s14, -1
	s_delay_alu instid0(SALU_CYCLE_1) | instskip(NEXT) | instid1(SALU_CYCLE_1)
	s_xor_b32 s20, s18, 0x80000000
	s_fmac_f32 s19, s20, s14
	s_mov_b32 s20, s13
	s_delay_alu instid0(SALU_CYCLE_2) | instskip(SKIP_2) | instid1(SALU_CYCLE_1)
	s_cmp_le_f32 s19, 0
	s_cselect_b32 s18, s18, s14
	s_add_co_i32 s19, s14, 1
	s_xor_b32 s21, s19, 0x80000000
	s_delay_alu instid0(SALU_CYCLE_1) | instskip(SKIP_1) | instid1(SALU_CYCLE_2)
	s_fmac_f32 s20, s21, s14
	v_cmp_class_f32_e64 s14, s13, 0x260
	s_cmp_gt_f32 s20, 0
	s_cselect_b32 s18, s19, s18
	s_cmp_lt_f32 s15, 0xf800000
	s_mul_f32 s15, s18, 0x37800000
	s_delay_alu instid0(SALU_CYCLE_3) | instskip(SKIP_2) | instid1(SALU_CYCLE_1)
	s_cselect_b32 s15, s15, s18
	s_and_b32 s14, s14, exec_lo
	s_cselect_b32 s13, s13, s15
	v_mov_b32_e32 v4, s13
	ds_store_b64 v5, v[4:5] offset:648
.LBB44_116:
	s_or_b32 exec_lo, exec_lo, s1
	v_mov_b32_e32 v0, 0
	s_wait_dscnt 0x0
	ds_load_b64 v[4:5], v0 offset:648
	s_wait_dscnt 0x0
	v_readfirstlane_b32 s1, v4
	v_readfirstlane_b32 s13, v5
	s_cmp_neq_f32 s1, 0
	s_cselect_b32 s14, -1, 0
	s_cmp_neq_f32 s13, 0
	s_cselect_b32 s15, -1, 0
	s_delay_alu instid0(SALU_CYCLE_1) | instskip(NEXT) | instid1(SALU_CYCLE_1)
	s_or_b32 s14, s14, s15
	s_nor_b32 s15, s14, s0
	s_and_b32 s14, s14, exec_lo
	s_cselect_b32 s1, s1, 1.0
	s_cselect_b32 s13, s13, 0
	s_delay_alu instid0(SALU_CYCLE_1)
	v_dual_mov_b32 v0, s1 :: v_dual_mov_b32 v2, s13
	s_and_saveexec_b32 s1, s15
	s_cbranch_execz .LBB44_120
; %bb.117:
	v_mbcnt_lo_u32_b32 v0, exec_lo, 0
	s_mov_b32 s13, exec_lo
	s_delay_alu instid0(VALU_DEP_1)
	v_cmpx_eq_u32_e32 0, v0
	s_cbranch_execz .LBB44_119
; %bb.118:
	v_dual_mov_b32 v0, 0 :: v_dual_mov_b32 v2, s12
	global_atomic_min_i32 v0, v2, s[10:11] scope:SCOPE_DEV
.LBB44_119:
	s_wait_xcnt 0x0
	s_or_b32 exec_lo, exec_lo, s13
	v_dual_mov_b32 v2, 0 :: v_dual_mov_b32 v0, 1.0
.LBB44_120:
	s_or_b32 exec_lo, exec_lo, s1
	s_delay_alu instid0(SALU_CYCLE_1)
	s_mov_b32 s1, exec_lo
	v_cmpx_lt_u32_e32 3, v9
	s_cbranch_execz .LBB44_122
; %bb.121:
	v_mul_f32_e32 v16, v2, v2
	ds_load_b64 v[4:5], v14 offset:24
	ds_load_b64 v[6:7], v15 offset:24
	v_fmac_f32_e32 v16, v0, v0
	s_delay_alu instid0(VALU_DEP_1) | instskip(NEXT) | instid1(VALU_DEP_1)
	v_div_scale_f32 v17, null, v16, v16, 1.0
	v_rcp_f32_e32 v18, v17
	s_wait_dscnt 0x0
	v_pk_add_f32 v[4:5], v[4:5], v[6:7] op_sel:[1,1] op_sel_hi:[0,0] neg_lo:[0,1] neg_hi:[0,1]
	s_delay_alu instid0(TRANS32_DEP_1) | instskip(NEXT) | instid1(VALU_DEP_2)
	v_fma_f32 v19, -v17, v18, 1.0
	v_pk_mul_f32 v[6:7], v[2:3], v[4:5] op_sel:[0,1] op_sel_hi:[0,0] neg_lo:[0,1]
	s_delay_alu instid0(VALU_DEP_2) | instskip(SKIP_1) | instid1(VALU_DEP_3)
	v_fmac_f32_e32 v18, v19, v18
	v_div_scale_f32 v20, vcc_lo, 1.0, v16, 1.0
	v_pk_fma_f32 v[4:5], v[4:5], v[0:1], v[6:7] op_sel_hi:[1,0,1]
	s_delay_alu instid0(VALU_DEP_2) | instskip(NEXT) | instid1(VALU_DEP_1)
	v_mul_f32_e32 v19, v20, v18
	v_fma_f32 v21, -v17, v19, v20
	s_delay_alu instid0(VALU_DEP_1) | instskip(NEXT) | instid1(VALU_DEP_1)
	v_fmac_f32_e32 v19, v21, v18
	v_fma_f32 v17, -v17, v19, v20
	s_delay_alu instid0(VALU_DEP_1) | instskip(NEXT) | instid1(VALU_DEP_1)
	v_div_fmas_f32 v2, v17, v18, v19
	v_div_fixup_f32 v0, v2, v16, 1.0
	s_delay_alu instid0(VALU_DEP_1) | instskip(NEXT) | instid1(VALU_DEP_1)
	v_pk_mul_f32 v[4:5], v[0:1], v[4:5] op_sel_hi:[0,1]
	v_dual_mov_b32 v6, v5 :: v_dual_mov_b32 v7, v4
	ds_store_b64 v14, v[6:7] offset:24
	s_wait_storecnt_dscnt 0x0
	ds_load_b64 v[6:7], v13 offset:24
	ds_load_b64 v[16:17], v12
	s_wait_dscnt 0x0
	v_pk_fma_f32 v[16:17], v[4:5], v[6:7], v[16:17] op_sel:[1,0,0] op_sel_hi:[0,0,1]
	s_delay_alu instid0(VALU_DEP_1)
	v_pk_fma_f32 v[4:5], v[4:5], v[6:7], v[16:17] op_sel:[0,1,0] neg_hi:[0,1,0]
	ds_store_b64 v12, v[4:5]
.LBB44_122:
	s_or_b32 exec_lo, exec_lo, s1
	s_delay_alu instid0(SALU_CYCLE_1)
	s_mov_b32 s1, exec_lo
	s_wait_storecnt_dscnt 0x0
	v_cmpx_eq_u32_e32 4, v9
	s_cbranch_execz .LBB44_130
; %bb.123:
	v_mov_b32_e32 v0, 0
	ds_load_2addr_b64 v[4:7], v0 offset0:88 offset1:118
	s_wait_dscnt 0x0
	v_readfirstlane_b32 s13, v6
	v_readfirstlane_b32 s14, v4
	;; [unrolled: 1-line block ×3, first 2 shown]
	s_sub_f32 s13, s14, s13
	v_readfirstlane_b32 s14, v7
	s_delay_alu instid0(SALU_CYCLE_2) | instskip(SKIP_4) | instid1(SALU_CYCLE_1)
	s_xor_b32 s19, s13, 0x80000000
	s_cmp_lt_f32 s13, 0
	s_sub_f32 s18, s15, s14
	s_mov_b32 s15, 0
	s_cselect_b32 s13, s19, s13
	s_xor_b32 s14, s18, 0x80000000
	s_cmp_lt_f32 s18, 0
	s_cselect_b32 s14, s14, s18
	s_delay_alu instid0(SALU_CYCLE_1)
	s_cmp_gt_f32 s13, s14
	s_cbranch_scc1 .LBB44_127
; %bb.124:
	s_cmp_eq_f32 s18, 0
	s_cbranch_scc1 .LBB44_126
; %bb.125:
	v_div_scale_f32 v0, null, s14, s14, s13
	v_div_scale_f32 v5, vcc_lo, s13, s14, s13
	s_delay_alu instid0(VALU_DEP_2)
	v_rcp_f32_e32 v2, v0
	v_nop
	v_xor_b32_e32 v0, 0x80000000, v0
	s_delay_alu instid0(TRANS32_DEP_1) | instid1(VALU_DEP_1)
	v_fma_f32 v4, v0, v2, 1.0
	s_delay_alu instid0(VALU_DEP_1) | instskip(NEXT) | instid1(VALU_DEP_1)
	v_fmac_f32_e32 v2, v4, v2
	v_mul_f32_e32 v4, v5, v2
	s_delay_alu instid0(VALU_DEP_1) | instskip(NEXT) | instid1(VALU_DEP_1)
	v_fma_f32 v6, v0, v4, v5
	v_fmac_f32_e32 v4, v6, v2
	s_delay_alu instid0(VALU_DEP_1) | instskip(NEXT) | instid1(VALU_DEP_1)
	v_fmac_f32_e32 v5, v0, v4
	v_div_fmas_f32 v0, v5, v2, v4
	s_delay_alu instid0(VALU_DEP_1) | instskip(NEXT) | instid1(VALU_DEP_1)
	v_div_fixup_f32 v0, v0, s14, s13
	v_readfirstlane_b32 s15, v0
	s_fmaak_f32 s15, s15, s15, 0x3f800000
	s_delay_alu instid0(SALU_CYCLE_3) | instskip(SKIP_1) | instid1(SALU_CYCLE_2)
	s_mul_f32 s18, s15, 0x4f800000
	s_cmp_lt_f32 s15, 0xf800000
	s_cselect_b32 s18, s18, s15
	s_delay_alu instid0(SALU_CYCLE_1) | instskip(SKIP_1) | instid1(TRANS32_DEP_1)
	v_s_sqrt_f32 s19, s18
	s_mov_b32 s21, s18
	s_add_co_i32 s20, s19, -1
	s_delay_alu instid0(SALU_CYCLE_1) | instskip(NEXT) | instid1(SALU_CYCLE_1)
	s_xor_b32 s22, s20, 0x80000000
	s_fmac_f32 s21, s22, s19
	s_mov_b32 s22, s18
	s_delay_alu instid0(SALU_CYCLE_2) | instskip(SKIP_2) | instid1(SALU_CYCLE_1)
	s_cmp_le_f32 s21, 0
	s_cselect_b32 s20, s20, s19
	s_add_co_i32 s21, s19, 1
	s_xor_b32 s23, s21, 0x80000000
	s_delay_alu instid0(SALU_CYCLE_1) | instskip(NEXT) | instid1(SALU_CYCLE_3)
	s_fmac_f32 s22, s23, s19
	s_cmp_gt_f32 s22, 0
	s_cselect_b32 s19, s21, s20
	s_cmp_lt_f32 s15, 0xf800000
	s_mul_f32 s15, s19, 0x37800000
	v_cmp_class_f32_e64 s20, s18, 0x260
	s_delay_alu instid0(SALU_CYCLE_2) | instskip(SKIP_2) | instid1(SALU_CYCLE_1)
	s_cselect_b32 s15, s15, s19
	s_and_b32 s19, s20, exec_lo
	s_cselect_b32 s15, s18, s15
	s_mul_f32 s15, s14, s15
.LBB44_126:
	s_cbranch_execz .LBB44_128
	s_branch .LBB44_129
.LBB44_127:
                                        ; implicit-def: $sgpr15
.LBB44_128:
	v_div_scale_f32 v0, null, s13, s13, s14
	v_div_scale_f32 v5, vcc_lo, s14, s13, s14
	s_delay_alu instid0(VALU_DEP_2)
	v_rcp_f32_e32 v2, v0
	v_nop
	v_xor_b32_e32 v0, 0x80000000, v0
	s_delay_alu instid0(TRANS32_DEP_1) | instid1(VALU_DEP_1)
	v_fma_f32 v4, v0, v2, 1.0
	s_delay_alu instid0(VALU_DEP_1) | instskip(NEXT) | instid1(VALU_DEP_1)
	v_fmac_f32_e32 v2, v4, v2
	v_mul_f32_e32 v4, v5, v2
	s_delay_alu instid0(VALU_DEP_1) | instskip(NEXT) | instid1(VALU_DEP_1)
	v_fma_f32 v6, v0, v4, v5
	v_fmac_f32_e32 v4, v6, v2
	s_delay_alu instid0(VALU_DEP_1) | instskip(NEXT) | instid1(VALU_DEP_1)
	v_fmac_f32_e32 v5, v0, v4
	v_div_fmas_f32 v0, v5, v2, v4
	s_delay_alu instid0(VALU_DEP_1) | instskip(NEXT) | instid1(VALU_DEP_1)
	v_div_fixup_f32 v0, v0, s13, s14
	v_readfirstlane_b32 s14, v0
	s_fmaak_f32 s14, s14, s14, 0x3f800000
	s_delay_alu instid0(SALU_CYCLE_3) | instskip(SKIP_1) | instid1(SALU_CYCLE_2)
	s_mul_f32 s15, s14, 0x4f800000
	s_cmp_lt_f32 s14, 0xf800000
	s_cselect_b32 s15, s15, s14
	s_delay_alu instid0(SALU_CYCLE_1) | instskip(SKIP_1) | instid1(TRANS32_DEP_1)
	v_s_sqrt_f32 s18, s15
	s_mov_b32 s20, s15
	s_add_co_i32 s19, s18, -1
	s_delay_alu instid0(SALU_CYCLE_1) | instskip(NEXT) | instid1(SALU_CYCLE_1)
	s_xor_b32 s21, s19, 0x80000000
	s_fmac_f32 s20, s21, s18
	s_mov_b32 s21, s15
	s_delay_alu instid0(SALU_CYCLE_2) | instskip(SKIP_2) | instid1(SALU_CYCLE_1)
	s_cmp_le_f32 s20, 0
	s_cselect_b32 s19, s19, s18
	s_add_co_i32 s20, s18, 1
	s_xor_b32 s22, s20, 0x80000000
	s_delay_alu instid0(SALU_CYCLE_1) | instskip(NEXT) | instid1(SALU_CYCLE_3)
	s_fmac_f32 s21, s22, s18
	s_cmp_gt_f32 s21, 0
	s_cselect_b32 s18, s20, s19
	s_cmp_lt_f32 s14, 0xf800000
	s_mul_f32 s14, s18, 0x37800000
	v_cmp_class_f32_e64 s19, s15, 0x260
	s_delay_alu instid0(SALU_CYCLE_2) | instskip(SKIP_2) | instid1(SALU_CYCLE_1)
	s_cselect_b32 s14, s14, s18
	s_and_b32 s18, s19, exec_lo
	s_cselect_b32 s14, s15, s14
	s_mul_f32 s15, s13, s14
.LBB44_129:
	s_delay_alu instid0(SALU_CYCLE_3) | instskip(SKIP_2) | instid1(SALU_CYCLE_1)
	s_mul_f32 s13, s15, 0x4f800000
	s_cmp_lt_f32 s15, 0xf800000
	v_mov_b32_e32 v5, 0
	s_cselect_b32 s13, s13, s15
	s_delay_alu instid0(SALU_CYCLE_1) | instskip(SKIP_1) | instid1(TRANS32_DEP_1)
	v_s_sqrt_f32 s14, s13
	s_mov_b32 s19, s13
	s_add_co_i32 s18, s14, -1
	s_delay_alu instid0(SALU_CYCLE_1) | instskip(NEXT) | instid1(SALU_CYCLE_1)
	s_xor_b32 s20, s18, 0x80000000
	s_fmac_f32 s19, s20, s14
	s_mov_b32 s20, s13
	s_delay_alu instid0(SALU_CYCLE_2) | instskip(SKIP_2) | instid1(SALU_CYCLE_1)
	s_cmp_le_f32 s19, 0
	s_cselect_b32 s18, s18, s14
	s_add_co_i32 s19, s14, 1
	s_xor_b32 s21, s19, 0x80000000
	s_delay_alu instid0(SALU_CYCLE_1) | instskip(SKIP_1) | instid1(SALU_CYCLE_2)
	s_fmac_f32 s20, s21, s14
	v_cmp_class_f32_e64 s14, s13, 0x260
	s_cmp_gt_f32 s20, 0
	s_cselect_b32 s18, s19, s18
	s_cmp_lt_f32 s15, 0xf800000
	s_mul_f32 s15, s18, 0x37800000
	s_delay_alu instid0(SALU_CYCLE_3) | instskip(SKIP_2) | instid1(SALU_CYCLE_1)
	s_cselect_b32 s15, s15, s18
	s_and_b32 s14, s14, exec_lo
	s_cselect_b32 s13, s13, s15
	v_mov_b32_e32 v4, s13
	ds_store_b64 v5, v[4:5] offset:704
.LBB44_130:
	s_or_b32 exec_lo, exec_lo, s1
	v_mov_b32_e32 v0, 0
	s_wait_dscnt 0x0
	ds_load_b64 v[4:5], v0 offset:704
	s_wait_dscnt 0x0
	v_readfirstlane_b32 s1, v4
	v_readfirstlane_b32 s13, v5
	s_cmp_neq_f32 s1, 0
	s_cselect_b32 s14, -1, 0
	s_cmp_neq_f32 s13, 0
	s_cselect_b32 s15, -1, 0
	s_delay_alu instid0(SALU_CYCLE_1) | instskip(NEXT) | instid1(SALU_CYCLE_1)
	s_or_b32 s14, s14, s15
	s_nor_b32 s15, s14, s0
	s_and_b32 s0, s14, exec_lo
	s_cselect_b32 s0, s1, 1.0
	s_cselect_b32 s1, s13, 0
	s_delay_alu instid0(SALU_CYCLE_1)
	v_dual_mov_b32 v0, s0 :: v_dual_mov_b32 v2, s1
	s_and_saveexec_b32 s0, s15
	s_cbranch_execz .LBB44_134
; %bb.131:
	v_mbcnt_lo_u32_b32 v0, exec_lo, 0
	s_mov_b32 s1, exec_lo
	s_delay_alu instid0(VALU_DEP_1)
	v_cmpx_eq_u32_e32 0, v0
	s_cbranch_execz .LBB44_133
; %bb.132:
	v_dual_mov_b32 v0, 0 :: v_dual_mov_b32 v2, s12
	global_atomic_min_i32 v0, v2, s[10:11] scope:SCOPE_DEV
.LBB44_133:
	s_wait_xcnt 0x0
	s_or_b32 exec_lo, exec_lo, s1
	v_dual_mov_b32 v2, 0 :: v_dual_mov_b32 v0, 1.0
.LBB44_134:
	s_or_b32 exec_lo, exec_lo, s0
	s_delay_alu instid0(SALU_CYCLE_1)
	s_mov_b32 s0, exec_lo
	v_cmpx_lt_u32_e32 4, v9
	s_cbranch_execz .LBB44_136
; %bb.135:
	v_mul_f32_e32 v16, v2, v2
	ds_load_b64 v[4:5], v14 offset:32
	ds_load_b64 v[6:7], v15 offset:32
	v_fmac_f32_e32 v16, v0, v0
	s_delay_alu instid0(VALU_DEP_1) | instskip(NEXT) | instid1(VALU_DEP_1)
	v_div_scale_f32 v17, null, v16, v16, 1.0
	v_rcp_f32_e32 v18, v17
	s_wait_dscnt 0x0
	v_pk_add_f32 v[4:5], v[4:5], v[6:7] op_sel:[1,1] op_sel_hi:[0,0] neg_lo:[0,1] neg_hi:[0,1]
	s_delay_alu instid0(TRANS32_DEP_1) | instskip(NEXT) | instid1(VALU_DEP_2)
	v_fma_f32 v19, -v17, v18, 1.0
	v_pk_mul_f32 v[6:7], v[2:3], v[4:5] op_sel:[0,1] op_sel_hi:[0,0] neg_lo:[0,1]
	s_delay_alu instid0(VALU_DEP_2) | instskip(SKIP_1) | instid1(VALU_DEP_3)
	v_fmac_f32_e32 v18, v19, v18
	v_div_scale_f32 v15, vcc_lo, 1.0, v16, 1.0
	v_pk_fma_f32 v[4:5], v[4:5], v[0:1], v[6:7] op_sel_hi:[1,0,1]
	s_delay_alu instid0(VALU_DEP_2) | instskip(NEXT) | instid1(VALU_DEP_1)
	v_mul_f32_e32 v19, v15, v18
	v_fma_f32 v20, -v17, v19, v15
	s_delay_alu instid0(VALU_DEP_1) | instskip(NEXT) | instid1(VALU_DEP_1)
	v_fmac_f32_e32 v19, v20, v18
	v_fma_f32 v15, -v17, v19, v15
	s_delay_alu instid0(VALU_DEP_1) | instskip(NEXT) | instid1(VALU_DEP_1)
	v_div_fmas_f32 v2, v15, v18, v19
	v_div_fixup_f32 v0, v2, v16, 1.0
	s_delay_alu instid0(VALU_DEP_1) | instskip(NEXT) | instid1(VALU_DEP_1)
	v_pk_mul_f32 v[4:5], v[0:1], v[4:5] op_sel_hi:[0,1]
	v_dual_mov_b32 v6, v5 :: v_dual_mov_b32 v7, v4
	ds_store_b64 v14, v[6:7] offset:32
	s_wait_storecnt_dscnt 0x0
	ds_load_b64 v[6:7], v13 offset:32
	ds_load_b64 v[14:15], v12
	s_wait_dscnt 0x0
	v_pk_fma_f32 v[14:15], v[4:5], v[6:7], v[14:15] op_sel:[1,0,0] op_sel_hi:[0,0,1]
	s_delay_alu instid0(VALU_DEP_1)
	v_pk_fma_f32 v[4:5], v[4:5], v[6:7], v[14:15] op_sel:[0,1,0] neg_hi:[0,1,0]
	ds_store_b64 v12, v[4:5]
.LBB44_136:
	s_or_b32 exec_lo, exec_lo, s0
	s_delay_alu instid0(SALU_CYCLE_1)
	s_and_not1_b32 vcc_lo, exec_lo, s5
	s_wait_storecnt_dscnt 0x0
	s_cbranch_vccnz .LBB44_138
; %bb.137:
	v_mov_b32_e32 v10, v11
.LBB44_138:
	ds_load_b64 v[0:1], v1
	v_add_nc_u32_e32 v2, s4, v10
	s_mov_b32 s0, 0
	s_mov_b32 s1, exec_lo
	s_wait_dscnt 0x0
	global_store_b64 v2, v[0:1], s[16:17] scale_offset
	s_wait_xcnt 0x0
	v_cmpx_eq_u32_e32 0, v3
	s_cbranch_execz .LBB44_140
; %bb.139:
	v_dual_mov_b32 v0, 0 :: v_dual_mov_b32 v1, 1
	s_add_nc_u64 s[4:5], s[6:7], s[2:3]
	global_wb scope:SCOPE_DEV
	s_wait_storecnt 0x0
	global_store_b32 v0, v1, s[4:5] scope:SCOPE_DEV
.LBB44_140:
	s_wait_xcnt 0x0
	s_or_b32 exec_lo, exec_lo, s1
	s_delay_alu instid0(SALU_CYCLE_1)
	s_and_b32 vcc_lo, exec_lo, s0
	s_cbranch_vccz .LBB44_70
.LBB44_141:
	v_or_b32_e32 v0, v8, v9
	s_mov_b32 s0, exec_lo
	s_delay_alu instid0(VALU_DEP_1)
	v_cmpx_eq_u32_e32 0, v0
	s_cbranch_execz .LBB44_70
; %bb.142:
	v_mbcnt_lo_u32_b32 v0, exec_lo, 0
	s_mov_b32 s0, exec_lo
	s_delay_alu instid0(VALU_DEP_1)
	v_cmpx_eq_u32_e32 0, v0
	s_cbranch_execz .LBB44_144
; %bb.143:
	s_add_co_i32 s1, s8, s9
	s_delay_alu instid0(SALU_CYCLE_1)
	v_dual_mov_b32 v0, 0 :: v_dual_mov_b32 v1, s1
	global_atomic_min_i32 v0, v1, s[10:11] scope:SCOPE_DEV
.LBB44_144:
	s_wait_xcnt 0x0
	s_or_b32 exec_lo, exec_lo, s0
	v_dual_mov_b32 v0, 0 :: v_dual_mov_b32 v1, 1
	s_add_nc_u64 s[0:1], s[6:7], s[2:3]
	global_wb scope:SCOPE_DEV
	s_wait_storecnt 0x0
	global_store_b32 v0, v1, s[0:1] scope:SCOPE_DEV
	s_endpgm
	.section	.rodata,"a",@progbits
	.p2align	6, 0x0
	.amdhsa_kernel _ZN9rocsparseL26bsric0_2_8_unrolled_kernelILi25ELi32ELi5E21rocsparse_complex_numIfEEEv20rocsparse_direction_iiPKiS5_PT2_S5_PiS5_S8_21rocsparse_index_base_
		.amdhsa_group_segment_fixed_size 1344
		.amdhsa_private_segment_fixed_size 0
		.amdhsa_kernarg_size 76
		.amdhsa_user_sgpr_count 2
		.amdhsa_user_sgpr_dispatch_ptr 0
		.amdhsa_user_sgpr_queue_ptr 0
		.amdhsa_user_sgpr_kernarg_segment_ptr 1
		.amdhsa_user_sgpr_dispatch_id 0
		.amdhsa_user_sgpr_kernarg_preload_length 0
		.amdhsa_user_sgpr_kernarg_preload_offset 0
		.amdhsa_user_sgpr_private_segment_size 0
		.amdhsa_wavefront_size32 1
		.amdhsa_uses_dynamic_stack 0
		.amdhsa_enable_private_segment 0
		.amdhsa_system_sgpr_workgroup_id_x 1
		.amdhsa_system_sgpr_workgroup_id_y 0
		.amdhsa_system_sgpr_workgroup_id_z 0
		.amdhsa_system_sgpr_workgroup_info 0
		.amdhsa_system_vgpr_workitem_id 1
		.amdhsa_next_free_vgpr 48
		.amdhsa_next_free_sgpr 37
		.amdhsa_named_barrier_count 0
		.amdhsa_reserve_vcc 1
		.amdhsa_float_round_mode_32 0
		.amdhsa_float_round_mode_16_64 0
		.amdhsa_float_denorm_mode_32 3
		.amdhsa_float_denorm_mode_16_64 3
		.amdhsa_fp16_overflow 0
		.amdhsa_memory_ordered 1
		.amdhsa_forward_progress 1
		.amdhsa_inst_pref_size 93
		.amdhsa_round_robin_scheduling 0
		.amdhsa_exception_fp_ieee_invalid_op 0
		.amdhsa_exception_fp_denorm_src 0
		.amdhsa_exception_fp_ieee_div_zero 0
		.amdhsa_exception_fp_ieee_overflow 0
		.amdhsa_exception_fp_ieee_underflow 0
		.amdhsa_exception_fp_ieee_inexact 0
		.amdhsa_exception_int_div_zero 0
	.end_amdhsa_kernel
	.section	.text._ZN9rocsparseL26bsric0_2_8_unrolled_kernelILi25ELi32ELi5E21rocsparse_complex_numIfEEEv20rocsparse_direction_iiPKiS5_PT2_S5_PiS5_S8_21rocsparse_index_base_,"axG",@progbits,_ZN9rocsparseL26bsric0_2_8_unrolled_kernelILi25ELi32ELi5E21rocsparse_complex_numIfEEEv20rocsparse_direction_iiPKiS5_PT2_S5_PiS5_S8_21rocsparse_index_base_,comdat
.Lfunc_end44:
	.size	_ZN9rocsparseL26bsric0_2_8_unrolled_kernelILi25ELi32ELi5E21rocsparse_complex_numIfEEEv20rocsparse_direction_iiPKiS5_PT2_S5_PiS5_S8_21rocsparse_index_base_, .Lfunc_end44-_ZN9rocsparseL26bsric0_2_8_unrolled_kernelILi25ELi32ELi5E21rocsparse_complex_numIfEEEv20rocsparse_direction_iiPKiS5_PT2_S5_PiS5_S8_21rocsparse_index_base_
                                        ; -- End function
	.set _ZN9rocsparseL26bsric0_2_8_unrolled_kernelILi25ELi32ELi5E21rocsparse_complex_numIfEEEv20rocsparse_direction_iiPKiS5_PT2_S5_PiS5_S8_21rocsparse_index_base_.num_vgpr, 48
	.set _ZN9rocsparseL26bsric0_2_8_unrolled_kernelILi25ELi32ELi5E21rocsparse_complex_numIfEEEv20rocsparse_direction_iiPKiS5_PT2_S5_PiS5_S8_21rocsparse_index_base_.num_agpr, 0
	.set _ZN9rocsparseL26bsric0_2_8_unrolled_kernelILi25ELi32ELi5E21rocsparse_complex_numIfEEEv20rocsparse_direction_iiPKiS5_PT2_S5_PiS5_S8_21rocsparse_index_base_.numbered_sgpr, 37
	.set _ZN9rocsparseL26bsric0_2_8_unrolled_kernelILi25ELi32ELi5E21rocsparse_complex_numIfEEEv20rocsparse_direction_iiPKiS5_PT2_S5_PiS5_S8_21rocsparse_index_base_.num_named_barrier, 0
	.set _ZN9rocsparseL26bsric0_2_8_unrolled_kernelILi25ELi32ELi5E21rocsparse_complex_numIfEEEv20rocsparse_direction_iiPKiS5_PT2_S5_PiS5_S8_21rocsparse_index_base_.private_seg_size, 0
	.set _ZN9rocsparseL26bsric0_2_8_unrolled_kernelILi25ELi32ELi5E21rocsparse_complex_numIfEEEv20rocsparse_direction_iiPKiS5_PT2_S5_PiS5_S8_21rocsparse_index_base_.uses_vcc, 1
	.set _ZN9rocsparseL26bsric0_2_8_unrolled_kernelILi25ELi32ELi5E21rocsparse_complex_numIfEEEv20rocsparse_direction_iiPKiS5_PT2_S5_PiS5_S8_21rocsparse_index_base_.uses_flat_scratch, 0
	.set _ZN9rocsparseL26bsric0_2_8_unrolled_kernelILi25ELi32ELi5E21rocsparse_complex_numIfEEEv20rocsparse_direction_iiPKiS5_PT2_S5_PiS5_S8_21rocsparse_index_base_.has_dyn_sized_stack, 0
	.set _ZN9rocsparseL26bsric0_2_8_unrolled_kernelILi25ELi32ELi5E21rocsparse_complex_numIfEEEv20rocsparse_direction_iiPKiS5_PT2_S5_PiS5_S8_21rocsparse_index_base_.has_recursion, 0
	.set _ZN9rocsparseL26bsric0_2_8_unrolled_kernelILi25ELi32ELi5E21rocsparse_complex_numIfEEEv20rocsparse_direction_iiPKiS5_PT2_S5_PiS5_S8_21rocsparse_index_base_.has_indirect_call, 0
	.section	.AMDGPU.csdata,"",@progbits
; Kernel info:
; codeLenInByte = 11900
; TotalNumSgprs: 39
; NumVgprs: 48
; ScratchSize: 0
; MemoryBound: 0
; FloatMode: 240
; IeeeMode: 1
; LDSByteSize: 1344 bytes/workgroup (compile time only)
; SGPRBlocks: 0
; VGPRBlocks: 2
; NumSGPRsForWavesPerEU: 39
; NumVGPRsForWavesPerEU: 48
; NamedBarCnt: 0
; Occupancy: 16
; WaveLimiterHint : 1
; COMPUTE_PGM_RSRC2:SCRATCH_EN: 0
; COMPUTE_PGM_RSRC2:USER_SGPR: 2
; COMPUTE_PGM_RSRC2:TRAP_HANDLER: 0
; COMPUTE_PGM_RSRC2:TGID_X_EN: 1
; COMPUTE_PGM_RSRC2:TGID_Y_EN: 0
; COMPUTE_PGM_RSRC2:TGID_Z_EN: 0
; COMPUTE_PGM_RSRC2:TIDIG_COMP_CNT: 1
	.section	.text._ZN9rocsparseL26bsric0_2_8_unrolled_kernelILi36ELi32ELi6E21rocsparse_complex_numIfEEEv20rocsparse_direction_iiPKiS5_PT2_S5_PiS5_S8_21rocsparse_index_base_,"axG",@progbits,_ZN9rocsparseL26bsric0_2_8_unrolled_kernelILi36ELi32ELi6E21rocsparse_complex_numIfEEEv20rocsparse_direction_iiPKiS5_PT2_S5_PiS5_S8_21rocsparse_index_base_,comdat
	.globl	_ZN9rocsparseL26bsric0_2_8_unrolled_kernelILi36ELi32ELi6E21rocsparse_complex_numIfEEEv20rocsparse_direction_iiPKiS5_PT2_S5_PiS5_S8_21rocsparse_index_base_ ; -- Begin function _ZN9rocsparseL26bsric0_2_8_unrolled_kernelILi36ELi32ELi6E21rocsparse_complex_numIfEEEv20rocsparse_direction_iiPKiS5_PT2_S5_PiS5_S8_21rocsparse_index_base_
	.p2align	8
	.type	_ZN9rocsparseL26bsric0_2_8_unrolled_kernelILi36ELi32ELi6E21rocsparse_complex_numIfEEEv20rocsparse_direction_iiPKiS5_PT2_S5_PiS5_S8_21rocsparse_index_base_,@function
_ZN9rocsparseL26bsric0_2_8_unrolled_kernelILi36ELi32ELi6E21rocsparse_complex_numIfEEEv20rocsparse_direction_iiPKiS5_PT2_S5_PiS5_S8_21rocsparse_index_base_: ; @_ZN9rocsparseL26bsric0_2_8_unrolled_kernelILi36ELi32ELi6E21rocsparse_complex_numIfEEEv20rocsparse_direction_iiPKiS5_PT2_S5_PiS5_S8_21rocsparse_index_base_
; %bb.0:
	s_load_b256 s[4:11], s[0:1], 0x28
	s_bfe_u32 s2, ttmp6, 0x4000c
	s_and_b32 s3, ttmp6, 15
	s_add_co_i32 s2, s2, 1
	s_getreg_b32 s12, hwreg(HW_REG_IB_STS2, 6, 4)
	s_mul_i32 s2, ttmp9, s2
	v_and_b32_e32 v8, 0x3ff, v0
	s_add_co_i32 s3, s3, s2
	s_cmp_eq_u32 s12, 0
	v_bfe_u32 v9, v0, 10, 10
	s_cselect_b32 s2, ttmp9, s3
	s_wait_kmcnt 0x0
	s_load_b32 s8, s[8:9], s2 offset:0x0 scale_offset
	s_wait_kmcnt 0x0
	s_ashr_i32 s9, s8, 31
	s_delay_alu instid0(SALU_CYCLE_1) | instskip(NEXT) | instid1(SALU_CYCLE_1)
	s_lshl_b64 s[2:3], s[8:9], 2
	s_add_nc_u64 s[12:13], s[4:5], s[2:3]
	s_load_b32 s26, s[12:13], 0x0
	s_load_b32 s9, s[0:1], 0x48
	s_wait_kmcnt 0x0
	s_cmp_lg_u32 s26, -1
	s_cbranch_scc0 .LBB45_73
; %bb.1:
	s_clause 0x1
	s_load_b128 s[12:15], s[0:1], 0x10
	s_load_b64 s[16:17], s[0:1], 0x20
	v_mad_u32_u24 v10, v9, 6, v8
	v_mul_u32_u24_e32 v16, 6, v9
	s_wait_kmcnt 0x0
	s_add_nc_u64 s[18:19], s[12:13], s[2:3]
	s_load_b32 s19, s[18:19], 0x0
	s_wait_xcnt 0x0
	s_mov_b32 s18, exec_lo
	s_wait_kmcnt 0x0
	s_sub_co_i32 s27, s19, s9
	s_delay_alu instid0(SALU_CYCLE_1) | instskip(NEXT) | instid1(VALU_DEP_1)
	v_add_nc_u32_e32 v0, s27, v10
	v_cmpx_ge_i32_e64 s26, v0
	s_cbranch_execz .LBB45_14
; %bb.2:
	v_add_nc_u32_e32 v1, s19, v8
	s_add_co_i32 s20, s26, 1
	s_mov_b32 s21, -1
	s_delay_alu instid0(VALU_DEP_1) | instskip(NEXT) | instid1(VALU_DEP_1)
	v_add_nc_u32_e32 v2, v1, v16
	v_subrev_nc_u32_e32 v2, s9, v2
	s_delay_alu instid0(VALU_DEP_1) | instskip(SKIP_1) | instid1(VALU_DEP_1)
	v_add_max_i32_e64 v2, v2, 36, s20
	s_mov_b32 s20, exec_lo
	v_add_nc_u32_e32 v2, s9, v2
	s_delay_alu instid0(VALU_DEP_1) | instskip(NEXT) | instid1(VALU_DEP_1)
	v_sub_nc_u32_e32 v1, v2, v1
	v_subrev_nc_u32_e32 v1, 36, v1
	s_delay_alu instid0(VALU_DEP_1) | instskip(SKIP_1) | instid1(VALU_DEP_1)
	v_cmp_ne_u32_e32 vcc_lo, v1, v16
	v_cndmask_b32_e64 v2, 0, 1, vcc_lo
	v_or_b32_e32 v2, v16, v2
	s_delay_alu instid0(VALU_DEP_1) | instskip(NEXT) | instid1(VALU_DEP_1)
	v_sub_nc_u32_e32 v1, v1, v2
	v_mul_hi_u32 v1, 0x38e38e39, v1
	s_delay_alu instid0(VALU_DEP_1) | instskip(NEXT) | instid1(VALU_DEP_1)
	v_lshrrev_b32_e32 v1, 3, v1
	v_add_co_ci_u32_e64 v4, null, 0, v1, vcc_lo
	s_delay_alu instid0(VALU_DEP_1)
	v_cmpx_ne_u32_e32 0, v4
	s_cbranch_execz .LBB45_11
; %bb.3:
	v_add_nc_u32_e32 v1, -1, v4
	s_mov_b32 s21, exec_lo
	s_delay_alu instid0(VALU_DEP_1) | instskip(NEXT) | instid1(VALU_DEP_1)
	v_dual_lshrrev_b32 v2, 1, v1 :: v_dual_add_nc_u32 v1, 36, v0
	v_add_nc_u32_e32 v5, 1, v2
	s_delay_alu instid0(VALU_DEP_2)
	v_mov_b64_e32 v[2:3], v[0:1]
	v_cmpx_lt_u32_e32 14, v4
	s_cbranch_execz .LBB45_7
; %bb.4:
	v_mov_b64_e32 v[2:3], v[0:1]
	v_and_b32_e32 v6, -8, v5
	s_mov_b32 s22, 0
.LBB45_5:                               ; =>This Inner Loop Header: Depth=1
	s_clause 0x1
	global_load_b32 v1, v2, s[14:15] scale_offset
	global_load_b32 v7, v3, s[14:15] scale_offset
	v_add_nc_u32_e32 v18, 0x120, v3
	v_add_nc_u32_e32 v15, 0xd8, v3
	;; [unrolled: 1-line block ×14, first 2 shown]
	s_clause 0xd
	global_load_b32 v26, v18, s[14:15] scale_offset
	global_load_b32 v27, v15, s[14:15] scale_offset
	;; [unrolled: 1-line block ×14, first 2 shown]
	v_subrev_nc_u32_e32 v40, s27, v2
	v_subrev_nc_u32_e32 v41, s27, v3
	v_add_nc_u32_e32 v6, -8, v6
	s_wait_xcnt 0x9
	v_subrev_nc_u32_e32 v12, s27, v12
	v_subrev_nc_u32_e32 v11, s27, v11
	v_dual_lshlrev_b32 v40, 2, v40 :: v_dual_lshlrev_b32 v41, 2, v41
	s_wait_xcnt 0x8
	v_subrev_nc_u32_e32 v14, s27, v14
	v_subrev_nc_u32_e32 v13, s27, v13
	v_cmp_eq_u32_e32 vcc_lo, 0, v6
	s_wait_xcnt 0x7
	v_subrev_nc_u32_e32 v17, s27, v17
	v_add_nc_u32_e32 v3, 0x240, v3
	v_subrev_nc_u32_e32 v15, s27, v15
	v_subrev_nc_u32_e32 v18, s27, v18
	s_wait_xcnt 0x6
	v_subrev_nc_u32_e32 v19, s27, v19
	s_wait_xcnt 0x3
	;; [unrolled: 2-line block ×3, first 2 shown]
	v_subrev_nc_u32_e32 v21, s27, v21
	v_subrev_nc_u32_e32 v22, s27, v22
	s_wait_xcnt 0x1
	v_subrev_nc_u32_e32 v23, s27, v23
	v_subrev_nc_u32_e32 v24, s27, v24
	s_wait_xcnt 0x0
	v_subrev_nc_u32_e32 v25, s27, v25
	v_add_nc_u32_e32 v2, 0x240, v2
	v_dual_lshlrev_b32 v12, 2, v12 :: v_dual_lshlrev_b32 v11, 2, v11
	v_dual_lshlrev_b32 v14, 2, v14 :: v_dual_lshlrev_b32 v13, 2, v13
	v_lshlrev_b32_e32 v15, 2, v15
	s_or_b32 s22, vcc_lo, s22
	v_dual_lshlrev_b32 v17, 2, v17 :: v_dual_lshlrev_b32 v19, 2, v19
	v_dual_lshlrev_b32 v18, 2, v18 :: v_dual_lshlrev_b32 v21, 2, v21
	;; [unrolled: 1-line block ×4, first 2 shown]
	v_lshlrev_b32_e32 v24, 2, v24
	s_wait_loadcnt 0xf
	v_subrev_nc_u32_e32 v1, s9, v1
	s_wait_loadcnt 0xe
	v_subrev_nc_u32_e32 v7, s9, v7
	ds_store_b32 v40, v1 offset:1600
	ds_store_b32 v41, v7 offset:1600
	s_wait_loadcnt 0xa
	v_subrev_nc_u32_e32 v1, s9, v29
	s_wait_loadcnt 0x9
	v_subrev_nc_u32_e32 v7, s9, v30
	;; [unrolled: 2-line block ×3, first 2 shown]
	v_subrev_nc_u32_e32 v28, s9, v28
	s_wait_loadcnt 0x7
	v_subrev_nc_u32_e32 v30, s9, v32
	v_subrev_nc_u32_e32 v27, s9, v27
	;; [unrolled: 1-line block ×3, first 2 shown]
	s_wait_loadcnt 0x6
	v_subrev_nc_u32_e32 v31, s9, v33
	s_wait_loadcnt 0x3
	v_subrev_nc_u32_e32 v32, s9, v36
	;; [unrolled: 2-line block ×3, first 2 shown]
	v_subrev_nc_u32_e32 v35, s9, v35
	s_wait_loadcnt 0x1
	v_subrev_nc_u32_e32 v36, s9, v38
	v_subrev_nc_u32_e32 v34, s9, v34
	s_wait_loadcnt 0x0
	v_subrev_nc_u32_e32 v37, s9, v39
	ds_store_b32 v12, v7 offset:1600
	ds_store_b32 v11, v1 offset:1600
	;; [unrolled: 1-line block ×14, first 2 shown]
	s_and_not1_b32 exec_lo, exec_lo, s22
	s_cbranch_execnz .LBB45_5
; %bb.6:
	s_or_b32 exec_lo, exec_lo, s22
.LBB45_7:
	s_delay_alu instid0(SALU_CYCLE_1) | instskip(SKIP_3) | instid1(VALU_DEP_1)
	s_or_b32 exec_lo, exec_lo, s21
	v_and_b32_e32 v1, 7, v5
	s_mov_b32 s22, 0
	s_mov_b32 s21, exec_lo
	v_cmpx_ne_u32_e32 0, v1
	s_cbranch_execz .LBB45_10
; %bb.8:
	v_sub_nc_u32_e32 v1, 0, v1
.LBB45_9:                               ; =>This Inner Loop Header: Depth=1
	s_clause 0x1
	global_load_b32 v5, v3, s[14:15] scale_offset
	global_load_b32 v6, v2, s[14:15] scale_offset
	v_subrev_nc_u32_e32 v7, s27, v2
	v_subrev_nc_u32_e32 v11, s27, v3
	s_wait_xcnt 0x1
	v_add_nc_u32_e32 v3, 0x48, v3
	s_wait_xcnt 0x0
	v_add_nc_u32_e32 v2, 0x48, v2
	v_add_co_u32 v1, s23, v1, 1
	v_lshlrev_b32_e32 v7, 2, v7
	v_lshlrev_b32_e32 v11, 2, v11
	s_or_b32 s22, s23, s22
	s_wait_loadcnt 0x1
	v_subrev_nc_u32_e32 v5, s9, v5
	s_wait_loadcnt 0x0
	v_subrev_nc_u32_e32 v6, s9, v6
	ds_store_b32 v7, v6 offset:1600
	ds_store_b32 v11, v5 offset:1600
	s_and_not1_b32 exec_lo, exec_lo, s22
	s_cbranch_execnz .LBB45_9
.LBB45_10:
	s_or_b32 exec_lo, exec_lo, s21
	v_add_nc_u32_e32 v1, 1, v4
	s_delay_alu instid0(VALU_DEP_1) | instskip(NEXT) | instid1(VALU_DEP_1)
	v_and_b32_e32 v2, 0x1ffffffe, v1
	v_mad_u32 v0, v2, 36, v0
	v_cmp_ne_u32_e32 vcc_lo, v1, v2
	s_or_not1_b32 s21, vcc_lo, exec_lo
.LBB45_11:
	s_or_b32 exec_lo, exec_lo, s20
	s_delay_alu instid0(SALU_CYCLE_1)
	s_and_b32 exec_lo, exec_lo, s21
	s_cbranch_execz .LBB45_14
; %bb.12:
	s_delay_alu instid0(VALU_DEP_2) | instskip(NEXT) | instid1(VALU_DEP_1)
	v_add_nc_u32_e32 v1, s9, v0
	v_subrev_nc_u32_e32 v2, s19, v1
	v_ashrrev_i32_e32 v1, 31, v0
	s_mov_b32 s19, 0
	s_delay_alu instid0(VALU_DEP_2) | instskip(NEXT) | instid1(VALU_DEP_2)
	v_lshl_add_u32 v4, v2, 2, 0x640
	v_lshl_add_u64 v[2:3], v[0:1], 2, s[14:15]
.LBB45_13:                              ; =>This Inner Loop Header: Depth=1
	global_load_b32 v1, v[2:3], off
	v_add_nc_u32_e32 v0, 36, v0
	s_wait_xcnt 0x0
	v_add_nc_u64_e32 v[2:3], 0x90, v[2:3]
	s_delay_alu instid0(VALU_DEP_2)
	v_cmp_lt_i32_e32 vcc_lo, s26, v0
	s_or_b32 s19, vcc_lo, s19
	s_wait_loadcnt 0x0
	v_subrev_nc_u32_e32 v1, s9, v1
	ds_store_b32 v4, v1
	v_add_nc_u32_e32 v4, 0x90, v4
	s_and_not1_b32 exec_lo, exec_lo, s19
	s_cbranch_execnz .LBB45_13
.LBB45_14:
	s_or_b32 exec_lo, exec_lo, s18
	s_load_b32 s1, s[0:1], 0x0
	v_mad_u32_u24 v15, v9, 56, 0x3f0
	v_mov_b64_e32 v[0:1], 0
	v_mad_u32_u24 v11, v8, 6, v9
	v_mad_u32_u24 v14, v9, 56, 0x2a0
	;; [unrolled: 1-line block ×3, first 2 shown]
	v_lshl_add_u32 v12, v8, 3, v15
	s_cmp_ge_i32 s27, s26
	ds_store_b64 v12, v[0:1]
	s_wait_dscnt 0x0
	s_cbranch_scc1 .LBB45_66
; %bb.15:
	s_wait_kmcnt 0x0
	s_cmp_lg_u32 s1, 0
	v_dual_lshlrev_b32 v0, 3, v8 :: v_dual_bitop2_b32 v1, v8, v9 bitop3:0x54
	v_mad_u32_u24 v18, v9, 56, 0x150
	v_mad_u32_u24 v2, v8, 6, v9
	s_cselect_b32 s28, -1, 0
	s_cmp_eq_u32 s1, 0
	v_mul_u32_u24_e32 v17, 6, v8
	s_cselect_b32 vcc_lo, -1, 0
	v_dual_add_nc_u32 v19, v14, v0 :: v_dual_mov_b32 v23, 0
	v_mad_u32_u24 v20, v9, 56, v0
	v_add_nc_u32_e32 v21, v18, v0
	v_cmp_ne_u32_e64 s0, 0, v1
	v_cndmask_b32_e32 v22, v2, v10, vcc_lo
	s_mov_b32 s18, s27
	s_branch .LBB45_19
.LBB45_16:                              ;   in Loop: Header=BB45_19 Depth=1
	s_wait_xcnt 0x0
	s_or_b32 exec_lo, exec_lo, s21
	v_dual_mov_b32 v6, 0 :: v_dual_mov_b32 v4, 1.0
.LBB45_17:                              ;   in Loop: Header=BB45_19 Depth=1
	s_or_b32 exec_lo, exec_lo, s20
	ds_load_2addr_b64 v[24:27], v23 offset0:35 offset1:36
	ds_load_b64 v[40:41], v18 offset:40
	ds_load_2addr_b64 v[28:31], v14 offset1:1
	ds_load_2addr_b64 v[32:35], v14 offset0:2 offset1:3
	ds_load_2addr_b64 v[36:39], v23 offset0:37 offset1:38
	v_mul_f32_e32 v5, v6, v6
	s_add_co_i32 s18, s18, 1
	s_delay_alu instid0(SALU_CYCLE_1) | instskip(SKIP_3) | instid1(VALU_DEP_1)
	s_cmp_ge_i32 s18, s26
	s_cselect_b32 s24, -1, 0
	s_wait_dscnt 0x2
	v_pk_fma_f32 v[40:41], v[24:25], v[28:29], v[40:41] op_sel_hi:[1,0,1]
	v_pk_fma_f32 v[24:25], v[24:25], v[28:29], v[40:41] op_sel:[1,1,0] op_sel_hi:[0,1,1] neg_hi:[0,1,0]
	v_dual_mov_b32 v28, v31 :: v_dual_fmac_f32 v5, v4, v4
	s_delay_alu instid0(VALU_DEP_2) | instskip(SKIP_2) | instid1(VALU_DEP_3)
	v_pk_fma_f32 v[24:25], v[26:27], v[30:31], v[24:25] op_sel_hi:[1,0,1]
	s_wait_dscnt 0x0
	v_mov_b32_e32 v30, v39
	v_div_scale_f32 v7, null, v5, v5, 1.0
	v_mov_b32_e32 v31, v38
	v_pk_fma_f32 v[24:25], v[26:27], v[28:29], v[24:25] op_sel:[0,0,1] op_sel_hi:[1,0,0] neg_lo:[0,1,0]
	ds_load_b64 v[26:27], v23 offset:312
	ds_load_b64 v[28:29], v14 offset:32
	v_rcp_f32_e32 v40, v7
	v_pk_fma_f32 v[24:25], v[36:37], v[32:33], v[24:25] op_sel:[1,0,0] op_sel_hi:[0,0,1]
	s_delay_alu instid0(TRANS32_DEP_1) | instskip(NEXT) | instid1(VALU_DEP_2)
	v_fma_f32 v41, -v7, v40, 1.0
	v_pk_fma_f32 v[24:25], v[36:37], v[32:33], v[24:25] op_sel:[0,1,0] neg_lo:[0,1,0]
	v_div_scale_f32 v33, vcc_lo, 1.0, v5, 1.0
	s_delay_alu instid0(VALU_DEP_3) | instskip(NEXT) | instid1(VALU_DEP_3)
	v_dual_mov_b32 v32, v35 :: v_dual_fmac_f32 v40, v41, v40
	v_pk_fma_f32 v[24:25], v[30:31], v[34:35], v[24:25] op_sel_hi:[1,0,1]
	s_delay_alu instid0(VALU_DEP_2) | instskip(NEXT) | instid1(VALU_DEP_2)
	v_dual_mov_b32 v30, v3 :: v_dual_mul_f32 v34, v33, v40
	v_pk_fma_f32 v[24:25], v[38:39], v[32:33], v[24:25] op_sel_hi:[1,0,1] neg_lo:[0,1,0]
	s_delay_alu instid0(VALU_DEP_2) | instskip(SKIP_1) | instid1(VALU_DEP_2)
	v_fma_f32 v32, -v7, v34, v33
	s_wait_dscnt 0x0
	v_pk_fma_f32 v[24:25], v[26:27], v[28:29], v[24:25] op_sel:[1,0,0] op_sel_hi:[0,0,1]
	s_delay_alu instid0(VALU_DEP_2) | instskip(NEXT) | instid1(VALU_DEP_2)
	v_dual_mov_b32 v31, v2 :: v_dual_fmac_f32 v34, v32, v40
	v_pk_fma_f32 v[2:3], v[26:27], v[28:29], v[24:25] op_sel:[0,1,0] neg_lo:[0,1,0]
	s_delay_alu instid0(VALU_DEP_2) | instskip(NEXT) | instid1(VALU_DEP_2)
	v_fma_f32 v7, -v7, v34, v33
	v_pk_add_f32 v[2:3], v[30:31], v[2:3] neg_lo:[0,1] neg_hi:[0,1]
	s_delay_alu instid0(VALU_DEP_2) | instskip(NEXT) | instid1(VALU_DEP_2)
	v_div_fmas_f32 v24, v7, v40, v34
	v_pk_mul_f32 v[6:7], v[6:7], v[2:3] op_sel:[0,1] op_sel_hi:[0,0] neg_lo:[0,1]
	s_delay_alu instid0(VALU_DEP_2) | instskip(NEXT) | instid1(VALU_DEP_2)
	v_div_fixup_f32 v24, v24, v5, 1.0
	v_pk_fma_f32 v[2:3], v[2:3], v[4:5], v[6:7] op_sel_hi:[1,0,1]
	s_delay_alu instid0(VALU_DEP_1) | instskip(NEXT) | instid1(VALU_DEP_1)
	v_pk_mul_f32 v[2:3], v[24:25], v[2:3] op_sel_hi:[0,1]
	v_dual_mov_b32 v4, v3 :: v_dual_mov_b32 v5, v2
	ds_store_b64 v14, v[4:5] offset:40
	s_wait_storecnt_dscnt 0x0
	ds_load_b64 v[4:5], v13 offset:40
	ds_load_b64 v[6:7], v12
	s_wait_dscnt 0x0
	v_pk_fma_f32 v[6:7], v[2:3], v[4:5], v[6:7] op_sel:[1,0,0] op_sel_hi:[0,0,1]
	s_delay_alu instid0(VALU_DEP_1)
	v_pk_fma_f32 v[2:3], v[2:3], v[4:5], v[6:7] op_sel:[0,1,0] neg_hi:[0,1,0]
	ds_store_b64 v12, v[2:3]
	s_wait_dscnt 0x0
	ds_load_b64 v[2:3], v19
	s_wait_dscnt 0x0
	global_store_b64 v[0:1], v[2:3], off
	global_wb scope:SCOPE_DEV
	s_wait_storecnt 0x0
	global_inv scope:SCOPE_DEV
.LBB45_18:                              ;   in Loop: Header=BB45_19 Depth=1
	s_and_b32 vcc_lo, exec_lo, s24
	s_cbranch_vccnz .LBB45_66
.LBB45_19:                              ; =>This Loop Header: Depth=1
                                        ;     Child Loop BB45_22 Depth 2
                                        ;     Child Loop BB45_33 Depth 2
	;; [unrolled: 1-line block ×3, first 2 shown]
	s_ashr_i32 s19, s18, 31
	s_delay_alu instid0(SALU_CYCLE_1) | instskip(NEXT) | instid1(SALU_CYCLE_1)
	s_lshl_b64 s[20:21], s[18:19], 2
	s_add_nc_u64 s[20:21], s[14:15], s[20:21]
	s_load_b32 s19, s[20:21], 0x0
	s_wait_kmcnt 0x0
	s_sub_co_i32 s22, s19, s9
	s_delay_alu instid0(SALU_CYCLE_1) | instskip(SKIP_2) | instid1(SALU_CYCLE_1)
	s_ashr_i32 s23, s22, 31
	s_wait_xcnt 0x0
	s_lshl_b64 s[20:21], s[22:23], 2
	s_add_nc_u64 s[24:25], s[4:5], s[20:21]
	s_load_b32 s23, s[24:25], 0x0
	s_wait_xcnt 0x0
	s_mov_b32 s24, -1
	s_wait_kmcnt 0x0
	s_cmp_eq_u32 s23, -1
	s_cbranch_scc1 .LBB45_18
; %bb.20:                               ;   in Loop: Header=BB45_19 Depth=1
	v_mad_u32 v0, s18, 36, v22
	s_add_nc_u64 s[24:25], s[12:13], s[20:21]
	ds_load_b32 v1, v23 offset:1600
	s_load_b32 s24, s[24:25], 0x0
	global_load_b64 v[2:3], v0, s[16:17] scale_offset
	s_wait_dscnt 0x0
	v_cmp_ge_i32_e32 vcc_lo, s22, v1
	s_wait_kmcnt 0x0
	s_sub_co_i32 s24, s24, s9
	s_delay_alu instid0(SALU_CYCLE_1) | instskip(SKIP_1) | instid1(SALU_CYCLE_1)
	s_cmp_le_i32 s24, s23
	s_cselect_b32 s25, -1, 0
	s_and_b32 s25, s25, vcc_lo
	s_delay_alu instid0(SALU_CYCLE_1)
	s_and_not1_b32 vcc_lo, exec_lo, s25
	s_mov_b32 s25, 0
	s_wait_loadcnt 0x0
	ds_store_b64 v19, v[2:3]
	s_cbranch_vccnz .LBB45_32
; %bb.21:                               ;   in Loop: Header=BB45_19 Depth=1
	s_mov_b32 s29, 0
	s_mov_b32 s30, 0
.LBB45_22:                              ;   Parent Loop BB45_19 Depth=1
                                        ; =>  This Inner Loop Header: Depth=2
	s_ashr_i32 s25, s24, 31
	s_lshl_b32 s31, s30, 2
	s_lshl_b64 s[34:35], s[24:25], 2
	v_mov_b32_e32 v1, s31
	s_add_nc_u64 s[34:35], s[14:15], s[34:35]
                                        ; implicit-def: $sgpr33
	s_load_b32 s25, s[34:35], 0x0
	s_wait_xcnt 0x0
	s_mov_b32 s35, -1
	ds_load_b32 v1, v1 offset:1600
                                        ; implicit-def: $sgpr34
	s_wait_kmcnt 0x0
	s_sub_co_i32 s36, s25, s9
                                        ; implicit-def: $sgpr25
	s_wait_dscnt 0x0
	v_readfirstlane_b32 s31, v1
	v_cmp_ge_i32_e32 vcc_lo, s36, v1
	s_cbranch_vccz .LBB45_28
; %bb.23:                               ;   in Loop: Header=BB45_22 Depth=2
	s_cmp_le_i32 s36, s31
                                        ; implicit-def: $sgpr25
                                        ; implicit-def: $sgpr34
                                        ; implicit-def: $sgpr33
	s_cbranch_scc0 .LBB45_25
; %bb.24:                               ;   in Loop: Header=BB45_22 Depth=2
	s_add_co_i32 s25, s30, s27
	s_lshl_b32 s33, s29, 2
	s_mul_i32 s25, s25, 36
	s_mul_i32 s34, s24, 36
	s_delay_alu instid0(SALU_CYCLE_1)
	v_dual_mov_b32 v1, s25 :: v_dual_mov_b32 v2, s34
	v_add_nc_u32_e64 v3, 0x400, s33
	s_add_co_i32 s33, s30, 1
	s_add_co_i32 s34, s24, 1
	;; [unrolled: 1-line block ×3, first 2 shown]
	s_mov_b32 s35, 0
	ds_store_2addr_b32 v3, v2, v1 offset0:80 offset1:112
.LBB45_25:                              ;   in Loop: Header=BB45_22 Depth=2
	s_and_not1_b32 vcc_lo, exec_lo, s35
	s_cbranch_vccnz .LBB45_27
; %bb.26:                               ;   in Loop: Header=BB45_22 Depth=2
	s_add_co_i32 s33, s30, 1
	s_mov_b32 s25, s29
	s_mov_b32 s34, s24
.LBB45_27:                              ;   in Loop: Header=BB45_22 Depth=2
	s_mov_b32 s35, 0
.LBB45_28:                              ;   in Loop: Header=BB45_22 Depth=2
	s_delay_alu instid0(SALU_CYCLE_1)
	s_and_not1_b32 vcc_lo, exec_lo, s35
	s_cbranch_vccnz .LBB45_30
; %bb.29:                               ;   in Loop: Header=BB45_22 Depth=2
	s_add_co_i32 s34, s24, 1
	s_mov_b32 s33, s30
	s_mov_b32 s25, s29
.LBB45_30:                              ;   in Loop: Header=BB45_22 Depth=2
	s_cmp_le_i32 s34, s23
	s_cselect_b32 s24, -1, 0
	s_cmp_le_i32 s31, s22
	s_cselect_b32 s29, -1, 0
	s_delay_alu instid0(SALU_CYCLE_1) | instskip(NEXT) | instid1(SALU_CYCLE_1)
	s_and_b32 s24, s24, s29
	s_and_b32 vcc_lo, exec_lo, s24
	s_cbranch_vccz .LBB45_32
; %bb.31:                               ;   in Loop: Header=BB45_22 Depth=2
	s_mov_b32 s29, s25
	s_mov_b32 s24, s34
	;; [unrolled: 1-line block ×3, first 2 shown]
	s_branch .LBB45_22
.LBB45_32:                              ;   in Loop: Header=BB45_19 Depth=1
	v_ashrrev_i32_e32 v1, 31, v0
	s_add_nc_u64 s[20:21], s[6:7], s[20:21]
	s_wait_dscnt 0x0
	s_wait_xcnt 0x0
	s_delay_alu instid0(VALU_DEP_1)
	v_lshl_add_u64 v[0:1], v[0:1], 3, s[16:17]
.LBB45_33:                              ;   Parent Loop BB45_19 Depth=1
                                        ; =>  This Inner Loop Header: Depth=2
	global_load_b32 v2, v23, s[20:21] scope:SCOPE_DEV
	s_wait_loadcnt 0x0
	v_cmp_eq_u32_e32 vcc_lo, 0, v2
	s_cbranch_vccnz .LBB45_33
; %bb.34:                               ;   in Loop: Header=BB45_19 Depth=1
	v_mad_u32 v2, s23, 36, v22
	global_inv scope:SCOPE_DEV
	v_mov_b32_e32 v3, 0
	s_cmp_lt_i32 s25, 2
	global_load_b64 v[4:5], v2, s[16:17] scale_offset
	s_wait_xcnt 0x0
	v_mov_b32_e32 v2, 0
	s_wait_loadcnt 0x0
	ds_store_b64 v20, v[4:5]
	s_wait_dscnt 0x0
	s_cbranch_scc1 .LBB45_43
; %bb.35:                               ;   in Loop: Header=BB45_19 Depth=1
	v_mov_b64_e32 v[2:3], 0
	s_add_co_i32 s20, s25, -1
	s_movk_i32 s21, 0x540
.LBB45_36:                              ;   Parent Loop BB45_19 Depth=1
                                        ; =>  This Inner Loop Header: Depth=2
	s_wait_dscnt 0x0
	v_mov_b32_e32 v4, s21
	s_and_b32 vcc_lo, exec_lo, s28
	s_mov_b32 s22, -1
                                        ; implicit-def: $vgpr6_vgpr7
	ds_load_2addr_b32 v[4:5], v4 offset1:32
	s_cbranch_vccz .LBB45_39
; %bb.37:                               ;   in Loop: Header=BB45_36 Depth=2
	s_wait_dscnt 0x0
	v_dual_add_nc_u32 v38, v4, v8 :: v_dual_add_nc_u32 v44, v5, v9
	s_delay_alu instid0(VALU_DEP_1)
	v_dual_add_nc_u32 v28, 6, v38 :: v_dual_add_nc_u32 v36, 12, v44
	v_dual_add_nc_u32 v39, 12, v38 :: v_dual_add_nc_u32 v45, 24, v44
	v_add_nc_u32_e32 v46, 30, v38
	s_clause 0x2
	global_load_b64 v[6:7], v44, s[16:17] scale_offset
	global_load_b64 v[24:25], v28, s[16:17] scale_offset
	;; [unrolled: 1-line block ×3, first 2 shown]
	s_wait_xcnt 0x1
	v_dual_add_nc_u32 v28, 6, v44 :: v_dual_add_nc_u32 v37, 18, v38
	v_add_nc_u32_e32 v47, 24, v38
	s_clause 0x3
	global_load_b64 v[28:29], v28, s[16:17] scale_offset
	global_load_b64 v[30:31], v36, s[16:17] scale_offset
	;; [unrolled: 1-line block ×4, first 2 shown]
	s_wait_xcnt 0x2
	v_dual_add_nc_u32 v36, 18, v44 :: v_dual_add_nc_u32 v44, 30, v44
	s_clause 0x4
	global_load_b64 v[36:37], v36, s[16:17] scale_offset
	global_load_b64 v[38:39], v45, s[16:17] scale_offset
	;; [unrolled: 1-line block ×5, first 2 shown]
	s_wait_loadcnt 0x9
	s_wait_xcnt 0x1
	v_pk_fma_f32 v[46:47], v[26:27], v[6:7], v[2:3] op_sel:[1,0,0] op_sel_hi:[0,0,1]
	s_delay_alu instid0(VALU_DEP_1) | instskip(SKIP_1) | instid1(VALU_DEP_1)
	v_pk_fma_f32 v[6:7], v[26:27], v[6:7], v[46:47] op_sel:[0,1,0] neg_lo:[0,1,0]
	s_wait_loadcnt 0x8
	v_pk_fma_f32 v[6:7], v[24:25], v[28:29], v[6:7] op_sel:[1,0,0] op_sel_hi:[0,0,1]
	s_delay_alu instid0(VALU_DEP_1) | instskip(SKIP_1) | instid1(VALU_DEP_1)
	v_pk_fma_f32 v[6:7], v[24:25], v[28:29], v[6:7] op_sel:[0,1,0] neg_lo:[0,1,0]
	s_wait_loadcnt 0x5
	v_pk_fma_f32 v[6:7], v[34:35], v[30:31], v[6:7] op_sel:[1,0,0] op_sel_hi:[0,0,1]
	s_delay_alu instid0(VALU_DEP_1) | instskip(SKIP_1) | instid1(VALU_DEP_1)
	v_pk_fma_f32 v[6:7], v[34:35], v[30:31], v[6:7] op_sel:[0,1,0] neg_lo:[0,1,0]
	s_wait_loadcnt 0x4
	v_pk_fma_f32 v[6:7], v[32:33], v[36:37], v[6:7] op_sel:[1,0,0] op_sel_hi:[0,0,1]
	s_delay_alu instid0(VALU_DEP_1) | instskip(SKIP_1) | instid1(VALU_DEP_1)
	v_pk_fma_f32 v[6:7], v[32:33], v[36:37], v[6:7] op_sel:[0,1,0] neg_lo:[0,1,0]
	s_wait_loadcnt 0x1
	v_pk_fma_f32 v[6:7], v[42:43], v[38:39], v[6:7] op_sel:[1,0,0] op_sel_hi:[0,0,1]
	s_delay_alu instid0(VALU_DEP_1) | instskip(SKIP_1) | instid1(VALU_DEP_1)
	v_pk_fma_f32 v[6:7], v[42:43], v[38:39], v[6:7] op_sel:[0,1,0] neg_lo:[0,1,0]
	s_wait_loadcnt 0x0
	v_pk_fma_f32 v[6:7], v[40:41], v[44:45], v[6:7] op_sel:[1,0,0] op_sel_hi:[0,0,1]
	s_delay_alu instid0(VALU_DEP_1)
	v_pk_fma_f32 v[6:7], v[40:41], v[44:45], v[6:7] op_sel:[0,1,0] neg_lo:[0,1,0]
	s_cbranch_execz .LBB45_40
.LBB45_38:                              ;   in Loop: Header=BB45_36 Depth=2
	s_add_co_i32 s20, s20, -1
	s_add_co_i32 s21, s21, 4
	s_cmp_eq_u32 s20, 0
	s_cbranch_scc0 .LBB45_41
	s_branch .LBB45_42
.LBB45_39:                              ;   in Loop: Header=BB45_36 Depth=2
	s_and_not1_b32 vcc_lo, exec_lo, s22
	s_cbranch_vccnz .LBB45_38
.LBB45_40:                              ;   in Loop: Header=BB45_36 Depth=2
	s_wait_dscnt 0x0
	v_dual_add_nc_u32 v6, v5, v16 :: v_dual_add_nc_u32 v4, v4, v17
	s_delay_alu instid0(VALU_DEP_1) | instskip(NEXT) | instid1(VALU_DEP_1)
	v_dual_ashrrev_i32 v7, 31, v6 :: v_dual_ashrrev_i32 v5, 31, v4
	v_lshl_add_u64 v[44:45], v[6:7], 3, s[16:17]
	s_delay_alu instid0(VALU_DEP_2)
	v_lshl_add_u64 v[46:47], v[4:5], 3, s[16:17]
	s_clause 0x5
	global_load_b128 v[4:7], v[44:45], off
	global_load_b128 v[24:27], v[46:47], off
	global_load_b128 v[28:31], v[46:47], off offset:16
	global_load_b128 v[32:35], v[44:45], off offset:16
	;; [unrolled: 1-line block ×4, first 2 shown]
	s_wait_loadcnt 0x4
	v_pk_fma_f32 v[2:3], v[24:25], v[4:5], v[2:3] op_sel:[1,0,0] op_sel_hi:[0,0,1]
	s_wait_xcnt 0x1
	v_dual_mov_b32 v44, v27 :: v_dual_mov_b32 v45, v26
	s_delay_alu instid0(VALU_DEP_2) | instskip(SKIP_1) | instid1(VALU_DEP_2)
	v_pk_fma_f32 v[2:3], v[24:25], v[4:5], v[2:3] op_sel:[0,1,0] neg_lo:[0,1,0]
	v_mov_b32_e32 v4, v7
	v_pk_fma_f32 v[2:3], v[44:45], v[6:7], v[2:3] op_sel_hi:[1,0,1]
	s_wait_loadcnt 0x2
	v_mov_b32_e32 v6, v35
	s_delay_alu instid0(VALU_DEP_2) | instskip(SKIP_1) | instid1(VALU_DEP_2)
	v_pk_fma_f32 v[2:3], v[26:27], v[4:5], v[2:3] op_sel_hi:[1,0,1] neg_lo:[0,1,0]
	v_dual_mov_b32 v4, v31 :: v_dual_mov_b32 v5, v30
	v_pk_fma_f32 v[2:3], v[28:29], v[32:33], v[2:3] op_sel:[1,0,0] op_sel_hi:[0,0,1]
	s_delay_alu instid0(VALU_DEP_1) | instskip(NEXT) | instid1(VALU_DEP_1)
	v_pk_fma_f32 v[2:3], v[28:29], v[32:33], v[2:3] op_sel:[0,1,0] neg_lo:[0,1,0]
	v_pk_fma_f32 v[2:3], v[4:5], v[34:35], v[2:3] op_sel_hi:[1,0,1]
	s_wait_loadcnt 0x0
	v_dual_mov_b32 v4, v43 :: v_dual_mov_b32 v5, v42
	s_delay_alu instid0(VALU_DEP_2) | instskip(NEXT) | instid1(VALU_DEP_1)
	v_pk_fma_f32 v[2:3], v[30:31], v[6:7], v[2:3] op_sel_hi:[1,0,1] neg_lo:[0,1,0]
	v_pk_fma_f32 v[2:3], v[40:41], v[36:37], v[2:3] op_sel:[1,0,0] op_sel_hi:[0,0,1]
	s_delay_alu instid0(VALU_DEP_1) | instskip(NEXT) | instid1(VALU_DEP_1)
	v_pk_fma_f32 v[2:3], v[40:41], v[36:37], v[2:3] op_sel:[0,1,0] neg_lo:[0,1,0]
	v_pk_fma_f32 v[2:3], v[4:5], v[38:39], v[2:3] op_sel_hi:[1,0,1]
	v_mov_b32_e32 v4, v39
	s_delay_alu instid0(VALU_DEP_1)
	v_pk_fma_f32 v[6:7], v[42:43], v[4:5], v[2:3] op_sel_hi:[1,0,1] neg_lo:[0,1,0]
	s_add_co_i32 s20, s20, -1
	s_add_co_i32 s21, s21, 4
	s_cmp_eq_u32 s20, 0
	s_cbranch_scc1 .LBB45_42
.LBB45_41:                              ;   in Loop: Header=BB45_36 Depth=2
	v_mov_b64_e32 v[2:3], v[6:7]
	s_branch .LBB45_36
.LBB45_42:                              ;   in Loop: Header=BB45_19 Depth=1
	v_dual_mov_b32 v3, v6 :: v_dual_mov_b32 v2, v7
.LBB45_43:                              ;   in Loop: Header=BB45_19 Depth=1
	ds_store_b64 v21, v[2:3]
	s_wait_dscnt 0x0
	ds_load_b64 v[2:3], v23
	s_wait_dscnt 0x0
	v_readfirstlane_b32 s20, v2
	v_readfirstlane_b32 s21, v3
	ds_load_b64 v[2:3], v14
	s_cmp_neq_f32 s20, 0
	s_cselect_b32 s22, -1, 0
	s_cmp_neq_f32 s21, 0
	s_cselect_b32 s23, -1, 0
	s_delay_alu instid0(SALU_CYCLE_1) | instskip(NEXT) | instid1(SALU_CYCLE_1)
	s_or_b32 s22, s22, s23
	s_nor_b32 s23, s22, s0
	s_and_b32 s22, s22, exec_lo
	s_cselect_b32 s20, s20, 1.0
	s_cselect_b32 s21, s21, 0
	s_delay_alu instid0(SALU_CYCLE_1)
	v_dual_mov_b32 v4, s20 :: v_dual_mov_b32 v6, s21
	s_and_saveexec_b32 s20, s23
	s_cbranch_execz .LBB45_47
; %bb.44:                               ;   in Loop: Header=BB45_19 Depth=1
	v_mbcnt_lo_u32_b32 v4, exec_lo, 0
	s_mov_b32 s21, exec_lo
	s_delay_alu instid0(VALU_DEP_1)
	v_cmpx_eq_u32_e32 0, v4
	s_cbranch_execz .LBB45_46
; %bb.45:                               ;   in Loop: Header=BB45_19 Depth=1
	v_mov_b32_e32 v4, s19
	global_atomic_min_i32 v23, v4, s[10:11] scope:SCOPE_DEV
.LBB45_46:                              ;   in Loop: Header=BB45_19 Depth=1
	s_wait_xcnt 0x0
	s_or_b32 exec_lo, exec_lo, s21
	v_dual_mov_b32 v6, 0 :: v_dual_mov_b32 v4, 1.0
.LBB45_47:                              ;   in Loop: Header=BB45_19 Depth=1
	s_or_b32 exec_lo, exec_lo, s20
	s_delay_alu instid0(VALU_DEP_1) | instskip(SKIP_2) | instid1(VALU_DEP_1)
	v_mul_f32_e32 v5, v6, v6
	ds_load_b64 v[24:25], v18
	v_fmac_f32_e32 v5, v4, v4
	v_div_scale_f32 v7, null, v5, v5, 1.0
	s_delay_alu instid0(VALU_DEP_1) | instskip(SKIP_1) | instid1(TRANS32_DEP_1)
	v_rcp_f32_e32 v28, v7
	v_nop
	v_fma_f32 v26, -v7, v28, 1.0
	s_wait_dscnt 0x1
	s_delay_alu instid0(VALU_DEP_1) | instskip(SKIP_1) | instid1(VALU_DEP_1)
	v_dual_fmac_f32 v28, v26, v28 :: v_dual_mov_b32 v26, v3
	v_div_scale_f32 v29, vcc_lo, 1.0, v5, 1.0
	v_mul_f32_e32 v30, v29, v28
	s_delay_alu instid0(VALU_DEP_1) | instskip(NEXT) | instid1(VALU_DEP_1)
	v_dual_fma_f32 v31, -v7, v30, v29 :: v_dual_mov_b32 v27, v2
	v_fmac_f32_e32 v30, v31, v28
	s_wait_dscnt 0x0
	s_delay_alu instid0(VALU_DEP_2) | instskip(NEXT) | instid1(VALU_DEP_2)
	v_pk_add_f32 v[2:3], v[26:27], v[24:25] op_sel:[0,1] op_sel_hi:[1,0] neg_lo:[0,1] neg_hi:[0,1]
	v_fma_f32 v24, -v7, v30, v29
	s_delay_alu instid0(VALU_DEP_2) | instskip(NEXT) | instid1(VALU_DEP_2)
	v_pk_mul_f32 v[6:7], v[6:7], v[2:3] op_sel:[0,1] op_sel_hi:[0,0] neg_lo:[0,1]
	v_div_fmas_f32 v24, v24, v28, v30
	s_delay_alu instid0(VALU_DEP_2) | instskip(NEXT) | instid1(VALU_DEP_2)
	v_pk_fma_f32 v[2:3], v[2:3], v[4:5], v[6:7] op_sel_hi:[1,0,1]
	v_div_fixup_f32 v4, v24, v5, 1.0
	s_delay_alu instid0(VALU_DEP_1) | instskip(NEXT) | instid1(VALU_DEP_1)
	v_pk_mul_f32 v[2:3], v[4:5], v[2:3] op_sel_hi:[0,1]
	v_dual_mov_b32 v4, v3 :: v_dual_mov_b32 v5, v2
	ds_store_b64 v14, v[4:5]
	s_wait_storecnt_dscnt 0x0
	ds_load_b64 v[4:5], v13
	ds_load_b64 v[6:7], v12
	s_wait_dscnt 0x0
	v_pk_fma_f32 v[6:7], v[2:3], v[4:5], v[6:7] op_sel:[1,0,0] op_sel_hi:[0,0,1]
	s_delay_alu instid0(VALU_DEP_1)
	v_pk_fma_f32 v[2:3], v[2:3], v[4:5], v[6:7] op_sel:[0,1,0] neg_hi:[0,1,0]
	ds_store_b64 v12, v[2:3]
	s_wait_dscnt 0x0
	ds_load_b64 v[2:3], v23 offset:64
	s_wait_dscnt 0x0
	v_readfirstlane_b32 s20, v2
	v_readfirstlane_b32 s21, v3
	ds_load_b64 v[2:3], v14 offset:8
	s_cmp_neq_f32 s20, 0
	s_cselect_b32 s22, -1, 0
	s_cmp_neq_f32 s21, 0
	s_cselect_b32 s23, -1, 0
	s_delay_alu instid0(SALU_CYCLE_1) | instskip(NEXT) | instid1(SALU_CYCLE_1)
	s_or_b32 s22, s22, s23
	s_nor_b32 s23, s22, s0
	s_and_b32 s22, s22, exec_lo
	s_cselect_b32 s20, s20, 1.0
	s_cselect_b32 s21, s21, 0
	s_delay_alu instid0(SALU_CYCLE_1)
	v_dual_mov_b32 v4, s20 :: v_dual_mov_b32 v6, s21
	s_and_saveexec_b32 s20, s23
	s_cbranch_execz .LBB45_51
; %bb.48:                               ;   in Loop: Header=BB45_19 Depth=1
	v_mbcnt_lo_u32_b32 v4, exec_lo, 0
	s_mov_b32 s21, exec_lo
	s_delay_alu instid0(VALU_DEP_1)
	v_cmpx_eq_u32_e32 0, v4
	s_cbranch_execz .LBB45_50
; %bb.49:                               ;   in Loop: Header=BB45_19 Depth=1
	v_mov_b32_e32 v4, s19
	global_atomic_min_i32 v23, v4, s[10:11] scope:SCOPE_DEV
.LBB45_50:                              ;   in Loop: Header=BB45_19 Depth=1
	s_wait_xcnt 0x0
	s_or_b32 exec_lo, exec_lo, s21
	v_dual_mov_b32 v6, 0 :: v_dual_mov_b32 v4, 1.0
.LBB45_51:                              ;   in Loop: Header=BB45_19 Depth=1
	s_or_b32 exec_lo, exec_lo, s20
	s_delay_alu instid0(VALU_DEP_1) | instskip(SKIP_4) | instid1(VALU_DEP_1)
	v_mul_f32_e32 v5, v6, v6
	ds_load_b64 v[24:25], v14
	ds_load_b64 v[26:27], v23 offset:56
	ds_load_b64 v[28:29], v18 offset:8
	v_fmac_f32_e32 v5, v4, v4
	v_div_scale_f32 v7, null, v5, v5, 1.0
	s_delay_alu instid0(VALU_DEP_1) | instskip(SKIP_2) | instid1(TRANS32_DEP_1)
	v_rcp_f32_e32 v32, v7
	s_wait_dscnt 0x0
	v_pk_fma_f32 v[28:29], v[26:27], v[24:25], v[28:29] op_sel_hi:[1,0,1]
	v_fma_f32 v30, -v7, v32, 1.0
	s_delay_alu instid0(VALU_DEP_1) | instskip(SKIP_1) | instid1(VALU_DEP_1)
	v_dual_fmac_f32 v32, v30, v32 :: v_dual_mov_b32 v30, v3
	v_div_scale_f32 v33, vcc_lo, 1.0, v5, 1.0
	v_mul_f32_e32 v34, v33, v32
	s_delay_alu instid0(VALU_DEP_1) | instskip(SKIP_1) | instid1(VALU_DEP_2)
	v_dual_fma_f32 v35, -v7, v34, v33 :: v_dual_mov_b32 v31, v2
	v_pk_fma_f32 v[2:3], v[26:27], v[24:25], v[28:29] op_sel:[0,1,1] op_sel_hi:[1,1,0] neg_lo:[0,1,0]
	v_fmac_f32_e32 v34, v35, v32
	s_delay_alu instid0(VALU_DEP_2) | instskip(NEXT) | instid1(VALU_DEP_2)
	v_pk_add_f32 v[2:3], v[30:31], v[2:3] neg_lo:[0,1] neg_hi:[0,1]
	v_fma_f32 v24, -v7, v34, v33
	s_delay_alu instid0(VALU_DEP_2) | instskip(NEXT) | instid1(VALU_DEP_2)
	v_pk_mul_f32 v[6:7], v[6:7], v[2:3] op_sel:[0,1] op_sel_hi:[0,0] neg_lo:[0,1]
	v_div_fmas_f32 v24, v24, v32, v34
	s_delay_alu instid0(VALU_DEP_2) | instskip(NEXT) | instid1(VALU_DEP_2)
	v_pk_fma_f32 v[2:3], v[2:3], v[4:5], v[6:7] op_sel_hi:[1,0,1]
	v_div_fixup_f32 v4, v24, v5, 1.0
	s_delay_alu instid0(VALU_DEP_1) | instskip(NEXT) | instid1(VALU_DEP_1)
	v_pk_mul_f32 v[2:3], v[4:5], v[2:3] op_sel_hi:[0,1]
	v_dual_mov_b32 v4, v3 :: v_dual_mov_b32 v5, v2
	ds_store_b64 v14, v[4:5] offset:8
	s_wait_storecnt_dscnt 0x0
	ds_load_b64 v[4:5], v13 offset:8
	ds_load_b64 v[6:7], v12
	s_wait_dscnt 0x0
	v_pk_fma_f32 v[6:7], v[2:3], v[4:5], v[6:7] op_sel:[1,0,0] op_sel_hi:[0,0,1]
	s_delay_alu instid0(VALU_DEP_1)
	v_pk_fma_f32 v[2:3], v[2:3], v[4:5], v[6:7] op_sel:[0,1,0] neg_hi:[0,1,0]
	ds_store_b64 v12, v[2:3]
	s_wait_dscnt 0x0
	ds_load_b64 v[2:3], v23 offset:128
	s_wait_dscnt 0x0
	v_readfirstlane_b32 s20, v2
	v_readfirstlane_b32 s21, v3
	ds_load_b64 v[2:3], v14 offset:16
	s_cmp_neq_f32 s20, 0
	s_cselect_b32 s22, -1, 0
	s_cmp_neq_f32 s21, 0
	s_cselect_b32 s23, -1, 0
	s_delay_alu instid0(SALU_CYCLE_1) | instskip(NEXT) | instid1(SALU_CYCLE_1)
	s_or_b32 s22, s22, s23
	s_nor_b32 s23, s22, s0
	s_and_b32 s22, s22, exec_lo
	s_cselect_b32 s20, s20, 1.0
	s_cselect_b32 s21, s21, 0
	s_delay_alu instid0(SALU_CYCLE_1)
	v_dual_mov_b32 v4, s20 :: v_dual_mov_b32 v6, s21
	s_and_saveexec_b32 s20, s23
	s_cbranch_execz .LBB45_55
; %bb.52:                               ;   in Loop: Header=BB45_19 Depth=1
	v_mbcnt_lo_u32_b32 v4, exec_lo, 0
	s_mov_b32 s21, exec_lo
	s_delay_alu instid0(VALU_DEP_1)
	v_cmpx_eq_u32_e32 0, v4
	s_cbranch_execz .LBB45_54
; %bb.53:                               ;   in Loop: Header=BB45_19 Depth=1
	v_mov_b32_e32 v4, s19
	global_atomic_min_i32 v23, v4, s[10:11] scope:SCOPE_DEV
.LBB45_54:                              ;   in Loop: Header=BB45_19 Depth=1
	s_wait_xcnt 0x0
	s_or_b32 exec_lo, exec_lo, s21
	v_dual_mov_b32 v6, 0 :: v_dual_mov_b32 v4, 1.0
.LBB45_55:                              ;   in Loop: Header=BB45_19 Depth=1
	s_or_b32 exec_lo, exec_lo, s20
	ds_load_2addr_b64 v[24:27], v14 offset1:1
	ds_load_b128 v[28:31], v23 offset:112
	ds_load_b64 v[32:33], v18 offset:16
	s_wait_dscnt 0x1
	v_dual_mul_f32 v5, v6, v6 :: v_dual_mov_b32 v34, v31
	s_delay_alu instid0(VALU_DEP_1) | instskip(SKIP_2) | instid1(VALU_DEP_2)
	v_fmac_f32_e32 v5, v4, v4
	s_wait_dscnt 0x0
	v_pk_fma_f32 v[32:33], v[28:29], v[24:25], v[32:33] op_sel_hi:[1,0,1]
	v_div_scale_f32 v7, null, v5, v5, 1.0
	s_delay_alu instid0(VALU_DEP_2) | instskip(NEXT) | instid1(VALU_DEP_2)
	v_pk_fma_f32 v[24:25], v[28:29], v[24:25], v[32:33] op_sel:[0,1,1] op_sel_hi:[1,1,0] neg_lo:[0,1,0]
	v_rcp_f32_e32 v36, v7
	v_nop
	s_delay_alu instid0(TRANS32_DEP_1) | instskip(NEXT) | instid1(VALU_DEP_1)
	v_fma_f32 v35, -v7, v36, 1.0
	v_dual_fmac_f32 v36, v35, v36 :: v_dual_mov_b32 v35, v30
	v_div_scale_f32 v37, vcc_lo, 1.0, v5, 1.0
	v_mov_b32_e32 v28, v27
	s_delay_alu instid0(VALU_DEP_3) | instskip(NEXT) | instid1(VALU_DEP_3)
	v_pk_fma_f32 v[24:25], v[34:35], v[26:27], v[24:25] op_sel_hi:[1,0,1]
	v_dual_mov_b32 v27, v2 :: v_dual_mul_f32 v29, v37, v36
	v_mov_b32_e32 v26, v3
	s_delay_alu instid0(VALU_DEP_2) | instskip(NEXT) | instid1(VALU_DEP_4)
	v_fma_f32 v32, -v7, v29, v37
	v_pk_fma_f32 v[2:3], v[30:31], v[28:29], v[24:25] op_sel_hi:[1,0,1] neg_lo:[0,1,0]
	s_delay_alu instid0(VALU_DEP_2) | instskip(NEXT) | instid1(VALU_DEP_2)
	v_fmac_f32_e32 v29, v32, v36
	v_pk_add_f32 v[2:3], v[26:27], v[2:3] neg_lo:[0,1] neg_hi:[0,1]
	s_delay_alu instid0(VALU_DEP_2) | instskip(NEXT) | instid1(VALU_DEP_2)
	v_fma_f32 v24, -v7, v29, v37
	v_pk_mul_f32 v[6:7], v[6:7], v[2:3] op_sel:[0,1] op_sel_hi:[0,0] neg_lo:[0,1]
	s_delay_alu instid0(VALU_DEP_2) | instskip(NEXT) | instid1(VALU_DEP_2)
	v_div_fmas_f32 v24, v24, v36, v29
	v_pk_fma_f32 v[2:3], v[2:3], v[4:5], v[6:7] op_sel_hi:[1,0,1]
	s_delay_alu instid0(VALU_DEP_2) | instskip(NEXT) | instid1(VALU_DEP_1)
	v_div_fixup_f32 v4, v24, v5, 1.0
	v_pk_mul_f32 v[2:3], v[4:5], v[2:3] op_sel_hi:[0,1]
	s_delay_alu instid0(VALU_DEP_1)
	v_dual_mov_b32 v4, v3 :: v_dual_mov_b32 v5, v2
	ds_store_b64 v14, v[4:5] offset:16
	s_wait_storecnt_dscnt 0x0
	ds_load_b64 v[4:5], v13 offset:16
	ds_load_b64 v[6:7], v12
	s_wait_dscnt 0x0
	v_pk_fma_f32 v[6:7], v[2:3], v[4:5], v[6:7] op_sel:[1,0,0] op_sel_hi:[0,0,1]
	s_delay_alu instid0(VALU_DEP_1)
	v_pk_fma_f32 v[2:3], v[2:3], v[4:5], v[6:7] op_sel:[0,1,0] neg_hi:[0,1,0]
	ds_store_b64 v12, v[2:3]
	s_wait_dscnt 0x0
	ds_load_b64 v[2:3], v23 offset:192
	s_wait_dscnt 0x0
	v_readfirstlane_b32 s20, v2
	v_readfirstlane_b32 s21, v3
	ds_load_b64 v[2:3], v14 offset:24
	s_cmp_neq_f32 s20, 0
	s_cselect_b32 s22, -1, 0
	s_cmp_neq_f32 s21, 0
	s_cselect_b32 s23, -1, 0
	s_delay_alu instid0(SALU_CYCLE_1) | instskip(NEXT) | instid1(SALU_CYCLE_1)
	s_or_b32 s22, s22, s23
	s_nor_b32 s23, s22, s0
	s_and_b32 s22, s22, exec_lo
	s_cselect_b32 s20, s20, 1.0
	s_cselect_b32 s21, s21, 0
	s_delay_alu instid0(SALU_CYCLE_1)
	v_dual_mov_b32 v4, s20 :: v_dual_mov_b32 v6, s21
	s_and_saveexec_b32 s20, s23
	s_cbranch_execz .LBB45_59
; %bb.56:                               ;   in Loop: Header=BB45_19 Depth=1
	v_mbcnt_lo_u32_b32 v4, exec_lo, 0
	s_mov_b32 s21, exec_lo
	s_delay_alu instid0(VALU_DEP_1)
	v_cmpx_eq_u32_e32 0, v4
	s_cbranch_execz .LBB45_58
; %bb.57:                               ;   in Loop: Header=BB45_19 Depth=1
	v_mov_b32_e32 v4, s19
	global_atomic_min_i32 v23, v4, s[10:11] scope:SCOPE_DEV
.LBB45_58:                              ;   in Loop: Header=BB45_19 Depth=1
	s_wait_xcnt 0x0
	s_or_b32 exec_lo, exec_lo, s21
	v_dual_mov_b32 v6, 0 :: v_dual_mov_b32 v4, 1.0
.LBB45_59:                              ;   in Loop: Header=BB45_19 Depth=1
	s_or_b32 exec_lo, exec_lo, s20
	ds_load_2addr_b64 v[24:27], v14 offset1:1
	ds_load_2addr_b64 v[28:31], v23 offset0:21 offset1:22
	ds_load_b64 v[32:33], v18 offset:24
	v_mul_f32_e32 v5, v6, v6
	ds_load_b64 v[34:35], v14 offset:16
	ds_load_b64 v[36:37], v23 offset:184
	s_wait_dscnt 0x3
	v_dual_mov_b32 v38, v31 :: v_dual_fmac_f32 v5, v4, v4
	v_mov_b32_e32 v39, v30
	s_wait_dscnt 0x2
	v_pk_fma_f32 v[32:33], v[28:29], v[24:25], v[32:33] op_sel_hi:[1,0,1]
	s_delay_alu instid0(VALU_DEP_3) | instskip(NEXT) | instid1(VALU_DEP_2)
	v_div_scale_f32 v7, null, v5, v5, 1.0
	v_pk_fma_f32 v[24:25], v[28:29], v[24:25], v[32:33] op_sel:[0,1,1] op_sel_hi:[1,1,0] neg_lo:[0,1,0]
	v_div_scale_f32 v29, vcc_lo, 1.0, v5, 1.0
	s_delay_alu instid0(VALU_DEP_3) | instskip(NEXT) | instid1(VALU_DEP_2)
	v_rcp_f32_e32 v40, v7
	v_pk_fma_f32 v[24:25], v[38:39], v[26:27], v[24:25] op_sel_hi:[1,0,1]
	v_mov_b32_e32 v26, v3
	s_delay_alu instid0(TRANS32_DEP_1) | instskip(SKIP_1) | instid1(VALU_DEP_2)
	v_fma_f32 v41, -v7, v40, 1.0
	v_dual_mov_b32 v28, v27 :: v_dual_mov_b32 v27, v2
	v_fmac_f32_e32 v40, v41, v40
	s_delay_alu instid0(VALU_DEP_2) | instskip(NEXT) | instid1(VALU_DEP_2)
	v_pk_fma_f32 v[24:25], v[30:31], v[28:29], v[24:25] op_sel_hi:[1,0,1] neg_lo:[0,1,0]
	v_mul_f32_e32 v32, v29, v40
	s_wait_dscnt 0x0
	s_delay_alu instid0(VALU_DEP_2) | instskip(NEXT) | instid1(VALU_DEP_2)
	v_pk_fma_f32 v[24:25], v[36:37], v[34:35], v[24:25] op_sel:[1,0,0] op_sel_hi:[0,0,1]
	v_fma_f32 v28, -v7, v32, v29
	s_delay_alu instid0(VALU_DEP_2) | instskip(NEXT) | instid1(VALU_DEP_2)
	v_pk_fma_f32 v[2:3], v[36:37], v[34:35], v[24:25] op_sel:[0,1,0] neg_lo:[0,1,0]
	v_fmac_f32_e32 v32, v28, v40
	s_delay_alu instid0(VALU_DEP_2) | instskip(NEXT) | instid1(VALU_DEP_2)
	v_pk_add_f32 v[2:3], v[26:27], v[2:3] neg_lo:[0,1] neg_hi:[0,1]
	v_fma_f32 v7, -v7, v32, v29
	s_delay_alu instid0(VALU_DEP_1) | instskip(NEXT) | instid1(VALU_DEP_3)
	v_div_fmas_f32 v24, v7, v40, v32
	v_pk_mul_f32 v[6:7], v[6:7], v[2:3] op_sel:[0,1] op_sel_hi:[0,0] neg_lo:[0,1]
	s_delay_alu instid0(VALU_DEP_2) | instskip(NEXT) | instid1(VALU_DEP_2)
	v_div_fixup_f32 v24, v24, v5, 1.0
	v_pk_fma_f32 v[2:3], v[2:3], v[4:5], v[6:7] op_sel_hi:[1,0,1]
	s_delay_alu instid0(VALU_DEP_1) | instskip(NEXT) | instid1(VALU_DEP_1)
	v_pk_mul_f32 v[2:3], v[24:25], v[2:3] op_sel_hi:[0,1]
	v_dual_mov_b32 v4, v3 :: v_dual_mov_b32 v5, v2
	ds_store_b64 v14, v[4:5] offset:24
	s_wait_storecnt_dscnt 0x0
	ds_load_b64 v[4:5], v13 offset:24
	ds_load_b64 v[6:7], v12
	s_wait_dscnt 0x0
	v_pk_fma_f32 v[6:7], v[2:3], v[4:5], v[6:7] op_sel:[1,0,0] op_sel_hi:[0,0,1]
	s_delay_alu instid0(VALU_DEP_1)
	v_pk_fma_f32 v[2:3], v[2:3], v[4:5], v[6:7] op_sel:[0,1,0] neg_hi:[0,1,0]
	ds_store_b64 v12, v[2:3]
	s_wait_dscnt 0x0
	ds_load_b64 v[2:3], v23 offset:256
	s_wait_dscnt 0x0
	v_readfirstlane_b32 s20, v2
	v_readfirstlane_b32 s21, v3
	ds_load_b64 v[2:3], v14 offset:32
	s_cmp_neq_f32 s20, 0
	s_cselect_b32 s22, -1, 0
	s_cmp_neq_f32 s21, 0
	s_cselect_b32 s23, -1, 0
	s_delay_alu instid0(SALU_CYCLE_1) | instskip(NEXT) | instid1(SALU_CYCLE_1)
	s_or_b32 s22, s22, s23
	s_nor_b32 s23, s22, s0
	s_and_b32 s22, s22, exec_lo
	s_cselect_b32 s20, s20, 1.0
	s_cselect_b32 s21, s21, 0
	s_delay_alu instid0(SALU_CYCLE_1)
	v_dual_mov_b32 v4, s20 :: v_dual_mov_b32 v6, s21
	s_and_saveexec_b32 s20, s23
	s_cbranch_execz .LBB45_63
; %bb.60:                               ;   in Loop: Header=BB45_19 Depth=1
	v_mbcnt_lo_u32_b32 v4, exec_lo, 0
	s_mov_b32 s21, exec_lo
	s_delay_alu instid0(VALU_DEP_1)
	v_cmpx_eq_u32_e32 0, v4
	s_cbranch_execz .LBB45_62
; %bb.61:                               ;   in Loop: Header=BB45_19 Depth=1
	v_mov_b32_e32 v4, s19
	global_atomic_min_i32 v23, v4, s[10:11] scope:SCOPE_DEV
.LBB45_62:                              ;   in Loop: Header=BB45_19 Depth=1
	s_wait_xcnt 0x0
	s_or_b32 exec_lo, exec_lo, s21
	v_dual_mov_b32 v6, 0 :: v_dual_mov_b32 v4, 1.0
.LBB45_63:                              ;   in Loop: Header=BB45_19 Depth=1
	s_or_b32 exec_lo, exec_lo, s20
	ds_load_2addr_b64 v[24:27], v14 offset1:1
	ds_load_b128 v[28:31], v23 offset:224
	ds_load_b64 v[40:41], v18 offset:32
	v_mul_f32_e32 v5, v6, v6
	ds_load_2addr_b64 v[32:35], v14 offset0:2 offset1:3
	ds_load_b128 v[36:39], v23 offset:240
	s_wait_dscnt 0x3
	v_dual_mov_b32 v42, v31 :: v_dual_fmac_f32 v5, v4, v4
	v_mov_b32_e32 v43, v30
	s_wait_dscnt 0x2
	v_pk_fma_f32 v[40:41], v[28:29], v[24:25], v[40:41] op_sel_hi:[1,0,1]
	s_delay_alu instid0(VALU_DEP_3) | instskip(NEXT) | instid1(VALU_DEP_2)
	v_div_scale_f32 v7, null, v5, v5, 1.0
	v_pk_fma_f32 v[24:25], v[28:29], v[24:25], v[40:41] op_sel:[0,1,1] op_sel_hi:[1,1,0] neg_lo:[0,1,0]
	s_delay_alu instid0(VALU_DEP_2) | instskip(NEXT) | instid1(VALU_DEP_1)
	v_rcp_f32_e32 v29, v7
	v_pk_fma_f32 v[24:25], v[42:43], v[26:27], v[24:25] op_sel_hi:[1,0,1]
	s_delay_alu instid0(TRANS32_DEP_1) | instskip(SKIP_2) | instid1(VALU_DEP_1)
	v_fma_f32 v26, -v7, v29, 1.0
	s_wait_dscnt 0x0
	v_dual_mov_b32 v28, v27 :: v_dual_mov_b32 v27, v38
	v_pk_fma_f32 v[24:25], v[30:31], v[28:29], v[24:25] op_sel_hi:[1,0,1] neg_lo:[0,1,0]
	v_div_scale_f32 v30, vcc_lo, 1.0, v5, 1.0
	v_dual_fmac_f32 v29, v26, v29 :: v_dual_mov_b32 v26, v39
	s_delay_alu instid0(VALU_DEP_3) | instskip(NEXT) | instid1(VALU_DEP_2)
	v_pk_fma_f32 v[24:25], v[36:37], v[32:33], v[24:25] op_sel:[1,0,0] op_sel_hi:[0,0,1]
	v_dual_mov_b32 v28, v35 :: v_dual_mul_f32 v31, v30, v29
	s_delay_alu instid0(VALU_DEP_2) | instskip(NEXT) | instid1(VALU_DEP_2)
	v_pk_fma_f32 v[24:25], v[36:37], v[32:33], v[24:25] op_sel:[0,1,0] neg_lo:[0,1,0]
	v_fma_f32 v32, -v7, v31, v30
	s_delay_alu instid0(VALU_DEP_2) | instskip(SKIP_1) | instid1(VALU_DEP_3)
	v_pk_fma_f32 v[24:25], v[26:27], v[34:35], v[24:25] op_sel_hi:[1,0,1]
	v_dual_mov_b32 v27, v2 :: v_dual_mov_b32 v26, v3
	v_fmac_f32_e32 v31, v32, v29
	s_delay_alu instid0(VALU_DEP_3) | instskip(NEXT) | instid1(VALU_DEP_2)
	v_pk_fma_f32 v[2:3], v[38:39], v[28:29], v[24:25] op_sel_hi:[1,0,1] neg_lo:[0,1,0]
	v_fma_f32 v7, -v7, v31, v30
	s_delay_alu instid0(VALU_DEP_2) | instskip(NEXT) | instid1(VALU_DEP_2)
	v_pk_add_f32 v[2:3], v[26:27], v[2:3] neg_lo:[0,1] neg_hi:[0,1]
	v_div_fmas_f32 v24, v7, v29, v31
	s_delay_alu instid0(VALU_DEP_2) | instskip(NEXT) | instid1(VALU_DEP_2)
	v_pk_mul_f32 v[6:7], v[6:7], v[2:3] op_sel:[0,1] op_sel_hi:[0,0] neg_lo:[0,1]
	v_div_fixup_f32 v24, v24, v5, 1.0
	s_delay_alu instid0(VALU_DEP_2) | instskip(NEXT) | instid1(VALU_DEP_1)
	v_pk_fma_f32 v[2:3], v[2:3], v[4:5], v[6:7] op_sel_hi:[1,0,1]
	v_pk_mul_f32 v[2:3], v[24:25], v[2:3] op_sel_hi:[0,1]
	s_delay_alu instid0(VALU_DEP_1)
	v_dual_mov_b32 v4, v3 :: v_dual_mov_b32 v5, v2
	ds_store_b64 v14, v[4:5] offset:32
	s_wait_storecnt_dscnt 0x0
	ds_load_b64 v[4:5], v13 offset:32
	ds_load_b64 v[6:7], v12
	s_wait_dscnt 0x0
	v_pk_fma_f32 v[6:7], v[2:3], v[4:5], v[6:7] op_sel:[1,0,0] op_sel_hi:[0,0,1]
	s_delay_alu instid0(VALU_DEP_1)
	v_pk_fma_f32 v[2:3], v[2:3], v[4:5], v[6:7] op_sel:[0,1,0] neg_hi:[0,1,0]
	ds_store_b64 v12, v[2:3]
	s_wait_dscnt 0x0
	ds_load_b64 v[2:3], v23 offset:320
	s_wait_dscnt 0x0
	v_readfirstlane_b32 s20, v2
	v_readfirstlane_b32 s21, v3
	ds_load_b64 v[2:3], v14 offset:40
	s_cmp_neq_f32 s20, 0
	s_cselect_b32 s22, -1, 0
	s_cmp_neq_f32 s21, 0
	s_cselect_b32 s23, -1, 0
	s_delay_alu instid0(SALU_CYCLE_1) | instskip(NEXT) | instid1(SALU_CYCLE_1)
	s_or_b32 s22, s22, s23
	s_nor_b32 s23, s22, s0
	s_and_b32 s22, s22, exec_lo
	s_cselect_b32 s20, s20, 1.0
	s_cselect_b32 s21, s21, 0
	s_delay_alu instid0(SALU_CYCLE_1)
	v_dual_mov_b32 v4, s20 :: v_dual_mov_b32 v6, s21
	s_and_saveexec_b32 s20, s23
	s_cbranch_execz .LBB45_17
; %bb.64:                               ;   in Loop: Header=BB45_19 Depth=1
	v_mbcnt_lo_u32_b32 v4, exec_lo, 0
	s_mov_b32 s21, exec_lo
	s_delay_alu instid0(VALU_DEP_1)
	v_cmpx_eq_u32_e32 0, v4
	s_cbranch_execz .LBB45_16
; %bb.65:                               ;   in Loop: Header=BB45_19 Depth=1
	v_mov_b32_e32 v4, s19
	global_atomic_min_i32 v23, v4, s[10:11] scope:SCOPE_DEV
	s_branch .LBB45_16
.LBB45_66:
	s_wait_xcnt 0x0
	v_mov_b32_e32 v0, v10
	s_wait_kmcnt 0x0
	s_cmp_lg_u32 s1, 0
	s_cselect_b32 s5, -1, 0
	s_cmp_eq_u32 s1, 0
	s_cbranch_scc1 .LBB45_68
; %bb.67:
	v_mad_u32_u24 v0, v8, 6, v9
.LBB45_68:
	s_mul_i32 s4, s26, 36
	v_lshl_add_u32 v1, v8, 3, v14
	s_delay_alu instid0(VALU_DEP_2)
	v_add_nc_u32_e32 v0, s4, v0
	v_cmp_ne_u32_e64 s1, 0, v9
	s_mov_b32 s0, exec_lo
	global_load_b64 v[2:3], v0, s[16:17] scale_offset
	s_wait_loadcnt 0x0
	ds_store_b64 v1, v[2:3]
	s_wait_dscnt 0x0
	v_cmpx_eq_u32_e32 0, v9
	s_cbranch_execz .LBB45_78
; %bb.69:
	v_mov_b32_e32 v0, 0
	ds_load_2addr_b64 v[2:5], v0 offset0:84 offset1:126
	s_wait_dscnt 0x0
	v_readfirstlane_b32 s12, v4
	v_readfirstlane_b32 s13, v2
	;; [unrolled: 1-line block ×3, first 2 shown]
	s_sub_f32 s12, s13, s12
	v_readfirstlane_b32 s13, v5
	s_delay_alu instid0(SALU_CYCLE_2) | instskip(SKIP_4) | instid1(SALU_CYCLE_1)
	s_xor_b32 s18, s12, 0x80000000
	s_cmp_lt_f32 s12, 0
	s_sub_f32 s15, s14, s13
	s_mov_b32 s14, 0
	s_cselect_b32 s12, s18, s12
	s_xor_b32 s13, s15, 0x80000000
	s_cmp_lt_f32 s15, 0
	s_cselect_b32 s13, s13, s15
	s_delay_alu instid0(SALU_CYCLE_1)
	s_cmp_ngt_f32 s12, s13
	s_cbranch_scc0 .LBB45_75
; %bb.70:
	s_cmp_eq_f32 s15, 0
	s_cbranch_scc1 .LBB45_72
; %bb.71:
	v_div_scale_f32 v0, null, s13, s13, s12
	v_div_scale_f32 v4, vcc_lo, s12, s13, s12
	s_delay_alu instid0(VALU_DEP_2)
	v_rcp_f32_e32 v2, v0
	v_nop
	v_xor_b32_e32 v0, 0x80000000, v0
	s_delay_alu instid0(TRANS32_DEP_1) | instid1(VALU_DEP_1)
	v_fma_f32 v3, v0, v2, 1.0
	s_delay_alu instid0(VALU_DEP_1) | instskip(NEXT) | instid1(VALU_DEP_1)
	v_fmac_f32_e32 v2, v3, v2
	v_mul_f32_e32 v3, v4, v2
	s_delay_alu instid0(VALU_DEP_1) | instskip(NEXT) | instid1(VALU_DEP_1)
	v_fma_f32 v5, v0, v3, v4
	v_fmac_f32_e32 v3, v5, v2
	s_delay_alu instid0(VALU_DEP_1) | instskip(NEXT) | instid1(VALU_DEP_1)
	v_fmac_f32_e32 v4, v0, v3
	v_div_fmas_f32 v0, v4, v2, v3
	s_delay_alu instid0(VALU_DEP_1) | instskip(NEXT) | instid1(VALU_DEP_1)
	v_div_fixup_f32 v0, v0, s13, s12
	v_readfirstlane_b32 s14, v0
	s_fmaak_f32 s14, s14, s14, 0x3f800000
	s_delay_alu instid0(SALU_CYCLE_3) | instskip(SKIP_1) | instid1(SALU_CYCLE_2)
	s_mul_f32 s15, s14, 0x4f800000
	s_cmp_lt_f32 s14, 0xf800000
	s_cselect_b32 s15, s15, s14
	s_delay_alu instid0(SALU_CYCLE_1) | instskip(SKIP_1) | instid1(TRANS32_DEP_1)
	v_s_sqrt_f32 s18, s15
	s_mov_b32 s20, s15
	s_add_co_i32 s19, s18, -1
	s_delay_alu instid0(SALU_CYCLE_1) | instskip(NEXT) | instid1(SALU_CYCLE_1)
	s_xor_b32 s21, s19, 0x80000000
	s_fmac_f32 s20, s21, s18
	s_mov_b32 s21, s15
	s_delay_alu instid0(SALU_CYCLE_2) | instskip(SKIP_2) | instid1(SALU_CYCLE_1)
	s_cmp_le_f32 s20, 0
	s_cselect_b32 s19, s19, s18
	s_add_co_i32 s20, s18, 1
	s_xor_b32 s22, s20, 0x80000000
	s_delay_alu instid0(SALU_CYCLE_1) | instskip(NEXT) | instid1(SALU_CYCLE_3)
	s_fmac_f32 s21, s22, s18
	s_cmp_gt_f32 s21, 0
	s_cselect_b32 s18, s20, s19
	s_cmp_lt_f32 s14, 0xf800000
	s_mul_f32 s14, s18, 0x37800000
	v_cmp_class_f32_e64 s19, s15, 0x260
	s_delay_alu instid0(SALU_CYCLE_2) | instskip(SKIP_2) | instid1(SALU_CYCLE_1)
	s_cselect_b32 s14, s14, s18
	s_and_b32 s18, s19, exec_lo
	s_cselect_b32 s14, s15, s14
	s_mul_f32 s14, s13, s14
.LBB45_72:
	s_cbranch_execz .LBB45_76
	s_branch .LBB45_77
.LBB45_73:
	s_cbranch_execnz .LBB45_159
.LBB45_74:
	s_endpgm
.LBB45_75:
                                        ; implicit-def: $sgpr14
.LBB45_76:
	v_div_scale_f32 v0, null, s12, s12, s13
	v_div_scale_f32 v4, vcc_lo, s13, s12, s13
	s_delay_alu instid0(VALU_DEP_2)
	v_rcp_f32_e32 v2, v0
	v_nop
	v_xor_b32_e32 v0, 0x80000000, v0
	s_delay_alu instid0(TRANS32_DEP_1) | instid1(VALU_DEP_1)
	v_fma_f32 v3, v0, v2, 1.0
	s_delay_alu instid0(VALU_DEP_1) | instskip(NEXT) | instid1(VALU_DEP_1)
	v_fmac_f32_e32 v2, v3, v2
	v_mul_f32_e32 v3, v4, v2
	s_delay_alu instid0(VALU_DEP_1) | instskip(NEXT) | instid1(VALU_DEP_1)
	v_fma_f32 v5, v0, v3, v4
	v_fmac_f32_e32 v3, v5, v2
	s_delay_alu instid0(VALU_DEP_1) | instskip(NEXT) | instid1(VALU_DEP_1)
	v_fmac_f32_e32 v4, v0, v3
	v_div_fmas_f32 v0, v4, v2, v3
	s_delay_alu instid0(VALU_DEP_1) | instskip(NEXT) | instid1(VALU_DEP_1)
	v_div_fixup_f32 v0, v0, s12, s13
	v_readfirstlane_b32 s13, v0
	s_fmaak_f32 s13, s13, s13, 0x3f800000
	s_delay_alu instid0(SALU_CYCLE_3) | instskip(SKIP_1) | instid1(SALU_CYCLE_2)
	s_mul_f32 s14, s13, 0x4f800000
	s_cmp_lt_f32 s13, 0xf800000
	s_cselect_b32 s14, s14, s13
	s_delay_alu instid0(SALU_CYCLE_1) | instskip(SKIP_1) | instid1(TRANS32_DEP_1)
	v_s_sqrt_f32 s15, s14
	s_mov_b32 s19, s14
	s_add_co_i32 s18, s15, -1
	s_delay_alu instid0(SALU_CYCLE_1) | instskip(NEXT) | instid1(SALU_CYCLE_1)
	s_xor_b32 s20, s18, 0x80000000
	s_fmac_f32 s19, s20, s15
	s_mov_b32 s20, s14
	s_delay_alu instid0(SALU_CYCLE_2) | instskip(SKIP_2) | instid1(SALU_CYCLE_1)
	s_cmp_le_f32 s19, 0
	s_cselect_b32 s18, s18, s15
	s_add_co_i32 s19, s15, 1
	s_xor_b32 s21, s19, 0x80000000
	s_delay_alu instid0(SALU_CYCLE_1) | instskip(NEXT) | instid1(SALU_CYCLE_3)
	s_fmac_f32 s20, s21, s15
	s_cmp_gt_f32 s20, 0
	s_cselect_b32 s15, s19, s18
	s_cmp_lt_f32 s13, 0xf800000
	s_mul_f32 s13, s15, 0x37800000
	v_cmp_class_f32_e64 s18, s14, 0x260
	s_delay_alu instid0(SALU_CYCLE_2) | instskip(SKIP_2) | instid1(SALU_CYCLE_1)
	s_cselect_b32 s13, s13, s15
	s_and_b32 s15, s18, exec_lo
	s_cselect_b32 s13, s14, s13
	s_mul_f32 s14, s12, s13
.LBB45_77:
	s_delay_alu instid0(SALU_CYCLE_3) | instskip(SKIP_2) | instid1(SALU_CYCLE_1)
	s_mul_f32 s12, s14, 0x4f800000
	s_cmp_lt_f32 s14, 0xf800000
	v_mov_b32_e32 v3, 0
	s_cselect_b32 s12, s12, s14
	s_delay_alu instid0(SALU_CYCLE_1) | instskip(SKIP_1) | instid1(TRANS32_DEP_1)
	v_s_sqrt_f32 s13, s12
	s_mov_b32 s18, s12
	s_add_co_i32 s15, s13, -1
	s_delay_alu instid0(SALU_CYCLE_1) | instskip(NEXT) | instid1(SALU_CYCLE_1)
	s_xor_b32 s19, s15, 0x80000000
	s_fmac_f32 s18, s19, s13
	s_mov_b32 s19, s12
	s_delay_alu instid0(SALU_CYCLE_2) | instskip(SKIP_2) | instid1(SALU_CYCLE_1)
	s_cmp_le_f32 s18, 0
	s_cselect_b32 s15, s15, s13
	s_add_co_i32 s18, s13, 1
	s_xor_b32 s20, s18, 0x80000000
	s_delay_alu instid0(SALU_CYCLE_1) | instskip(SKIP_1) | instid1(SALU_CYCLE_2)
	s_fmac_f32 s19, s20, s13
	v_cmp_class_f32_e64 s13, s12, 0x260
	s_cmp_gt_f32 s19, 0
	s_cselect_b32 s15, s18, s15
	s_cmp_lt_f32 s14, 0xf800000
	s_mul_f32 s14, s15, 0x37800000
	s_delay_alu instid0(SALU_CYCLE_3) | instskip(SKIP_2) | instid1(SALU_CYCLE_1)
	s_cselect_b32 s14, s14, s15
	s_and_b32 s13, s13, exec_lo
	s_cselect_b32 s12, s12, s14
	v_mov_b32_e32 v2, s12
	ds_store_b64 v3, v[2:3] offset:672
.LBB45_78:
	s_or_b32 exec_lo, exec_lo, s0
	v_mov_b32_e32 v0, 0
	s_wait_dscnt 0x0
	s_add_co_i32 s12, s8, s9
	ds_load_b64 v[2:3], v0 offset:672
	s_wait_dscnt 0x0
	v_readfirstlane_b32 s13, v2
	v_readfirstlane_b32 s14, v3
	v_or_b32_e32 v3, v8, v9
	s_cmp_neq_f32 s13, 0
	s_delay_alu instid0(VALU_DEP_1) | instskip(SKIP_3) | instid1(SALU_CYCLE_1)
	v_cmp_ne_u32_e64 s0, 0, v3
	s_cselect_b32 s15, -1, 0
	s_cmp_neq_f32 s14, 0
	s_cselect_b32 s18, -1, 0
	s_or_b32 s15, s15, s18
	s_delay_alu instid0(SALU_CYCLE_1) | instskip(SKIP_3) | instid1(SALU_CYCLE_1)
	s_nor_b32 s18, s15, s0
	s_and_b32 s15, s15, exec_lo
	s_cselect_b32 s13, s13, 1.0
	s_cselect_b32 s14, s14, 0
	v_dual_mov_b32 v0, s13 :: v_dual_mov_b32 v2, s14
	s_and_saveexec_b32 s13, s18
	s_cbranch_execz .LBB45_82
; %bb.79:
	v_mbcnt_lo_u32_b32 v0, exec_lo, 0
	s_mov_b32 s14, exec_lo
	s_delay_alu instid0(VALU_DEP_1)
	v_cmpx_eq_u32_e32 0, v0
	s_cbranch_execz .LBB45_81
; %bb.80:
	v_dual_mov_b32 v0, 0 :: v_dual_mov_b32 v2, s12
	global_atomic_min_i32 v0, v2, s[10:11] scope:SCOPE_DEV
.LBB45_81:
	s_wait_xcnt 0x0
	s_or_b32 exec_lo, exec_lo, s14
	v_dual_mov_b32 v2, 0 :: v_dual_mov_b32 v0, 1.0
.LBB45_82:
	s_or_b32 exec_lo, exec_lo, s13
	s_and_saveexec_b32 s13, s1
	s_cbranch_execz .LBB45_84
; %bb.83:
	s_delay_alu instid0(VALU_DEP_1) | instskip(SKIP_3) | instid1(VALU_DEP_1)
	v_mul_f32_e32 v16, v2, v2
	ds_load_b64 v[4:5], v14
	ds_load_b64 v[6:7], v15
	v_fmac_f32_e32 v16, v0, v0
	v_div_scale_f32 v17, null, v16, v16, 1.0
	s_delay_alu instid0(VALU_DEP_1) | instskip(SKIP_2) | instid1(TRANS32_DEP_1)
	v_rcp_f32_e32 v18, v17
	s_wait_dscnt 0x0
	v_pk_add_f32 v[4:5], v[4:5], v[6:7] op_sel:[1,1] op_sel_hi:[0,0] neg_lo:[0,1] neg_hi:[0,1]
	v_fma_f32 v19, -v17, v18, 1.0
	s_delay_alu instid0(VALU_DEP_2) | instskip(NEXT) | instid1(VALU_DEP_2)
	v_pk_mul_f32 v[6:7], v[2:3], v[4:5] op_sel:[0,1] op_sel_hi:[0,0] neg_lo:[0,1]
	v_fmac_f32_e32 v18, v19, v18
	v_div_scale_f32 v20, vcc_lo, 1.0, v16, 1.0
	s_delay_alu instid0(VALU_DEP_3) | instskip(NEXT) | instid1(VALU_DEP_2)
	v_pk_fma_f32 v[4:5], v[4:5], v[0:1], v[6:7] op_sel_hi:[1,0,1]
	v_mul_f32_e32 v19, v20, v18
	s_delay_alu instid0(VALU_DEP_1) | instskip(NEXT) | instid1(VALU_DEP_1)
	v_fma_f32 v21, -v17, v19, v20
	v_fmac_f32_e32 v19, v21, v18
	s_delay_alu instid0(VALU_DEP_1) | instskip(NEXT) | instid1(VALU_DEP_1)
	v_fma_f32 v17, -v17, v19, v20
	v_div_fmas_f32 v2, v17, v18, v19
	s_delay_alu instid0(VALU_DEP_1) | instskip(NEXT) | instid1(VALU_DEP_1)
	v_div_fixup_f32 v0, v2, v16, 1.0
	v_pk_mul_f32 v[4:5], v[0:1], v[4:5] op_sel_hi:[0,1]
	s_delay_alu instid0(VALU_DEP_1)
	v_dual_mov_b32 v6, v5 :: v_dual_mov_b32 v7, v4
	ds_store_b64 v14, v[6:7]
	s_wait_storecnt_dscnt 0x0
	ds_load_b64 v[6:7], v13
	ds_load_b64 v[16:17], v12
	s_wait_dscnt 0x0
	v_pk_fma_f32 v[16:17], v[4:5], v[6:7], v[16:17] op_sel:[1,0,0] op_sel_hi:[0,0,1]
	s_delay_alu instid0(VALU_DEP_1)
	v_pk_fma_f32 v[4:5], v[4:5], v[6:7], v[16:17] op_sel:[0,1,0] neg_hi:[0,1,0]
	ds_store_b64 v12, v[4:5]
.LBB45_84:
	s_or_b32 exec_lo, exec_lo, s13
	s_delay_alu instid0(SALU_CYCLE_1)
	s_mov_b32 s1, exec_lo
	s_wait_storecnt_dscnt 0x0
	v_cmpx_eq_u32_e32 1, v9
	s_cbranch_execz .LBB45_92
; %bb.85:
	v_mov_b32_e32 v0, 0
	ds_load_2addr_b64 v[4:7], v0 offset0:92 offset1:134
	s_wait_dscnt 0x0
	v_readfirstlane_b32 s13, v6
	v_readfirstlane_b32 s14, v4
	;; [unrolled: 1-line block ×3, first 2 shown]
	s_sub_f32 s13, s14, s13
	v_readfirstlane_b32 s14, v7
	s_delay_alu instid0(SALU_CYCLE_2) | instskip(SKIP_4) | instid1(SALU_CYCLE_1)
	s_xor_b32 s19, s13, 0x80000000
	s_cmp_lt_f32 s13, 0
	s_sub_f32 s18, s15, s14
	s_mov_b32 s15, 0
	s_cselect_b32 s13, s19, s13
	s_xor_b32 s14, s18, 0x80000000
	s_cmp_lt_f32 s18, 0
	s_cselect_b32 s14, s14, s18
	s_delay_alu instid0(SALU_CYCLE_1)
	s_cmp_gt_f32 s13, s14
	s_cbranch_scc1 .LBB45_89
; %bb.86:
	s_cmp_eq_f32 s18, 0
	s_cbranch_scc1 .LBB45_88
; %bb.87:
	v_div_scale_f32 v0, null, s14, s14, s13
	v_div_scale_f32 v5, vcc_lo, s13, s14, s13
	s_delay_alu instid0(VALU_DEP_2)
	v_rcp_f32_e32 v2, v0
	v_nop
	v_xor_b32_e32 v0, 0x80000000, v0
	s_delay_alu instid0(TRANS32_DEP_1) | instid1(VALU_DEP_1)
	v_fma_f32 v4, v0, v2, 1.0
	s_delay_alu instid0(VALU_DEP_1) | instskip(NEXT) | instid1(VALU_DEP_1)
	v_fmac_f32_e32 v2, v4, v2
	v_mul_f32_e32 v4, v5, v2
	s_delay_alu instid0(VALU_DEP_1) | instskip(NEXT) | instid1(VALU_DEP_1)
	v_fma_f32 v6, v0, v4, v5
	v_fmac_f32_e32 v4, v6, v2
	s_delay_alu instid0(VALU_DEP_1) | instskip(NEXT) | instid1(VALU_DEP_1)
	v_fmac_f32_e32 v5, v0, v4
	v_div_fmas_f32 v0, v5, v2, v4
	s_delay_alu instid0(VALU_DEP_1) | instskip(NEXT) | instid1(VALU_DEP_1)
	v_div_fixup_f32 v0, v0, s14, s13
	v_readfirstlane_b32 s15, v0
	s_fmaak_f32 s15, s15, s15, 0x3f800000
	s_delay_alu instid0(SALU_CYCLE_3) | instskip(SKIP_1) | instid1(SALU_CYCLE_2)
	s_mul_f32 s18, s15, 0x4f800000
	s_cmp_lt_f32 s15, 0xf800000
	s_cselect_b32 s18, s18, s15
	s_delay_alu instid0(SALU_CYCLE_1) | instskip(SKIP_1) | instid1(TRANS32_DEP_1)
	v_s_sqrt_f32 s19, s18
	s_mov_b32 s21, s18
	s_add_co_i32 s20, s19, -1
	s_delay_alu instid0(SALU_CYCLE_1) | instskip(NEXT) | instid1(SALU_CYCLE_1)
	s_xor_b32 s22, s20, 0x80000000
	s_fmac_f32 s21, s22, s19
	s_mov_b32 s22, s18
	s_delay_alu instid0(SALU_CYCLE_2) | instskip(SKIP_2) | instid1(SALU_CYCLE_1)
	s_cmp_le_f32 s21, 0
	s_cselect_b32 s20, s20, s19
	s_add_co_i32 s21, s19, 1
	s_xor_b32 s23, s21, 0x80000000
	s_delay_alu instid0(SALU_CYCLE_1) | instskip(NEXT) | instid1(SALU_CYCLE_3)
	s_fmac_f32 s22, s23, s19
	s_cmp_gt_f32 s22, 0
	s_cselect_b32 s19, s21, s20
	s_cmp_lt_f32 s15, 0xf800000
	s_mul_f32 s15, s19, 0x37800000
	v_cmp_class_f32_e64 s20, s18, 0x260
	s_delay_alu instid0(SALU_CYCLE_2) | instskip(SKIP_2) | instid1(SALU_CYCLE_1)
	s_cselect_b32 s15, s15, s19
	s_and_b32 s19, s20, exec_lo
	s_cselect_b32 s15, s18, s15
	s_mul_f32 s15, s14, s15
.LBB45_88:
	s_cbranch_execz .LBB45_90
	s_branch .LBB45_91
.LBB45_89:
                                        ; implicit-def: $sgpr15
.LBB45_90:
	v_div_scale_f32 v0, null, s13, s13, s14
	v_div_scale_f32 v5, vcc_lo, s14, s13, s14
	s_delay_alu instid0(VALU_DEP_2)
	v_rcp_f32_e32 v2, v0
	v_nop
	v_xor_b32_e32 v0, 0x80000000, v0
	s_delay_alu instid0(TRANS32_DEP_1) | instid1(VALU_DEP_1)
	v_fma_f32 v4, v0, v2, 1.0
	s_delay_alu instid0(VALU_DEP_1) | instskip(NEXT) | instid1(VALU_DEP_1)
	v_fmac_f32_e32 v2, v4, v2
	v_mul_f32_e32 v4, v5, v2
	s_delay_alu instid0(VALU_DEP_1) | instskip(NEXT) | instid1(VALU_DEP_1)
	v_fma_f32 v6, v0, v4, v5
	v_fmac_f32_e32 v4, v6, v2
	s_delay_alu instid0(VALU_DEP_1) | instskip(NEXT) | instid1(VALU_DEP_1)
	v_fmac_f32_e32 v5, v0, v4
	v_div_fmas_f32 v0, v5, v2, v4
	s_delay_alu instid0(VALU_DEP_1) | instskip(NEXT) | instid1(VALU_DEP_1)
	v_div_fixup_f32 v0, v0, s13, s14
	v_readfirstlane_b32 s14, v0
	s_fmaak_f32 s14, s14, s14, 0x3f800000
	s_delay_alu instid0(SALU_CYCLE_3) | instskip(SKIP_1) | instid1(SALU_CYCLE_2)
	s_mul_f32 s15, s14, 0x4f800000
	s_cmp_lt_f32 s14, 0xf800000
	s_cselect_b32 s15, s15, s14
	s_delay_alu instid0(SALU_CYCLE_1) | instskip(SKIP_1) | instid1(TRANS32_DEP_1)
	v_s_sqrt_f32 s18, s15
	s_mov_b32 s20, s15
	s_add_co_i32 s19, s18, -1
	s_delay_alu instid0(SALU_CYCLE_1) | instskip(NEXT) | instid1(SALU_CYCLE_1)
	s_xor_b32 s21, s19, 0x80000000
	s_fmac_f32 s20, s21, s18
	s_mov_b32 s21, s15
	s_delay_alu instid0(SALU_CYCLE_2) | instskip(SKIP_2) | instid1(SALU_CYCLE_1)
	s_cmp_le_f32 s20, 0
	s_cselect_b32 s19, s19, s18
	s_add_co_i32 s20, s18, 1
	s_xor_b32 s22, s20, 0x80000000
	s_delay_alu instid0(SALU_CYCLE_1) | instskip(NEXT) | instid1(SALU_CYCLE_3)
	s_fmac_f32 s21, s22, s18
	s_cmp_gt_f32 s21, 0
	s_cselect_b32 s18, s20, s19
	s_cmp_lt_f32 s14, 0xf800000
	s_mul_f32 s14, s18, 0x37800000
	v_cmp_class_f32_e64 s19, s15, 0x260
	s_delay_alu instid0(SALU_CYCLE_2) | instskip(SKIP_2) | instid1(SALU_CYCLE_1)
	s_cselect_b32 s14, s14, s18
	s_and_b32 s18, s19, exec_lo
	s_cselect_b32 s14, s15, s14
	s_mul_f32 s15, s13, s14
.LBB45_91:
	s_delay_alu instid0(SALU_CYCLE_3) | instskip(SKIP_2) | instid1(SALU_CYCLE_1)
	s_mul_f32 s13, s15, 0x4f800000
	s_cmp_lt_f32 s15, 0xf800000
	v_mov_b32_e32 v5, 0
	s_cselect_b32 s13, s13, s15
	s_delay_alu instid0(SALU_CYCLE_1) | instskip(SKIP_1) | instid1(TRANS32_DEP_1)
	v_s_sqrt_f32 s14, s13
	s_mov_b32 s19, s13
	s_add_co_i32 s18, s14, -1
	s_delay_alu instid0(SALU_CYCLE_1) | instskip(NEXT) | instid1(SALU_CYCLE_1)
	s_xor_b32 s20, s18, 0x80000000
	s_fmac_f32 s19, s20, s14
	s_mov_b32 s20, s13
	s_delay_alu instid0(SALU_CYCLE_2) | instskip(SKIP_2) | instid1(SALU_CYCLE_1)
	s_cmp_le_f32 s19, 0
	s_cselect_b32 s18, s18, s14
	s_add_co_i32 s19, s14, 1
	s_xor_b32 s21, s19, 0x80000000
	s_delay_alu instid0(SALU_CYCLE_1) | instskip(SKIP_1) | instid1(SALU_CYCLE_2)
	s_fmac_f32 s20, s21, s14
	v_cmp_class_f32_e64 s14, s13, 0x260
	s_cmp_gt_f32 s20, 0
	s_cselect_b32 s18, s19, s18
	s_cmp_lt_f32 s15, 0xf800000
	s_mul_f32 s15, s18, 0x37800000
	s_delay_alu instid0(SALU_CYCLE_3) | instskip(SKIP_2) | instid1(SALU_CYCLE_1)
	s_cselect_b32 s15, s15, s18
	s_and_b32 s14, s14, exec_lo
	s_cselect_b32 s13, s13, s15
	v_mov_b32_e32 v4, s13
	ds_store_b64 v5, v[4:5] offset:736
.LBB45_92:
	s_or_b32 exec_lo, exec_lo, s1
	v_mov_b32_e32 v0, 0
	s_wait_dscnt 0x0
	ds_load_b64 v[4:5], v0 offset:736
	s_wait_dscnt 0x0
	v_readfirstlane_b32 s1, v4
	v_readfirstlane_b32 s13, v5
	s_cmp_neq_f32 s1, 0
	s_cselect_b32 s14, -1, 0
	s_cmp_neq_f32 s13, 0
	s_cselect_b32 s15, -1, 0
	s_delay_alu instid0(SALU_CYCLE_1) | instskip(NEXT) | instid1(SALU_CYCLE_1)
	s_or_b32 s14, s14, s15
	s_nor_b32 s15, s14, s0
	s_and_b32 s14, s14, exec_lo
	s_cselect_b32 s1, s1, 1.0
	s_cselect_b32 s13, s13, 0
	s_delay_alu instid0(SALU_CYCLE_1)
	v_dual_mov_b32 v0, s1 :: v_dual_mov_b32 v2, s13
	s_and_saveexec_b32 s1, s15
	s_cbranch_execz .LBB45_96
; %bb.93:
	v_mbcnt_lo_u32_b32 v0, exec_lo, 0
	s_mov_b32 s13, exec_lo
	s_delay_alu instid0(VALU_DEP_1)
	v_cmpx_eq_u32_e32 0, v0
	s_cbranch_execz .LBB45_95
; %bb.94:
	v_dual_mov_b32 v0, 0 :: v_dual_mov_b32 v2, s12
	global_atomic_min_i32 v0, v2, s[10:11] scope:SCOPE_DEV
.LBB45_95:
	s_wait_xcnt 0x0
	s_or_b32 exec_lo, exec_lo, s13
	v_dual_mov_b32 v2, 0 :: v_dual_mov_b32 v0, 1.0
.LBB45_96:
	s_or_b32 exec_lo, exec_lo, s1
	s_delay_alu instid0(SALU_CYCLE_1)
	s_mov_b32 s1, exec_lo
	v_cmpx_lt_u32_e32 1, v9
	s_cbranch_execz .LBB45_98
; %bb.97:
	v_mul_f32_e32 v16, v2, v2
	ds_load_b64 v[4:5], v14 offset:8
	ds_load_b64 v[6:7], v15 offset:8
	v_fmac_f32_e32 v16, v0, v0
	s_delay_alu instid0(VALU_DEP_1) | instskip(NEXT) | instid1(VALU_DEP_1)
	v_div_scale_f32 v17, null, v16, v16, 1.0
	v_rcp_f32_e32 v18, v17
	s_wait_dscnt 0x0
	v_pk_add_f32 v[4:5], v[4:5], v[6:7] op_sel:[1,1] op_sel_hi:[0,0] neg_lo:[0,1] neg_hi:[0,1]
	s_delay_alu instid0(TRANS32_DEP_1) | instskip(NEXT) | instid1(VALU_DEP_2)
	v_fma_f32 v19, -v17, v18, 1.0
	v_pk_mul_f32 v[6:7], v[2:3], v[4:5] op_sel:[0,1] op_sel_hi:[0,0] neg_lo:[0,1]
	s_delay_alu instid0(VALU_DEP_2) | instskip(SKIP_1) | instid1(VALU_DEP_3)
	v_fmac_f32_e32 v18, v19, v18
	v_div_scale_f32 v20, vcc_lo, 1.0, v16, 1.0
	v_pk_fma_f32 v[4:5], v[4:5], v[0:1], v[6:7] op_sel_hi:[1,0,1]
	s_delay_alu instid0(VALU_DEP_2) | instskip(NEXT) | instid1(VALU_DEP_1)
	v_mul_f32_e32 v19, v20, v18
	v_fma_f32 v21, -v17, v19, v20
	s_delay_alu instid0(VALU_DEP_1) | instskip(NEXT) | instid1(VALU_DEP_1)
	v_fmac_f32_e32 v19, v21, v18
	v_fma_f32 v17, -v17, v19, v20
	s_delay_alu instid0(VALU_DEP_1) | instskip(NEXT) | instid1(VALU_DEP_1)
	v_div_fmas_f32 v2, v17, v18, v19
	v_div_fixup_f32 v0, v2, v16, 1.0
	s_delay_alu instid0(VALU_DEP_1) | instskip(NEXT) | instid1(VALU_DEP_1)
	v_pk_mul_f32 v[4:5], v[0:1], v[4:5] op_sel_hi:[0,1]
	v_dual_mov_b32 v6, v5 :: v_dual_mov_b32 v7, v4
	ds_store_b64 v14, v[6:7] offset:8
	s_wait_storecnt_dscnt 0x0
	ds_load_b64 v[6:7], v13 offset:8
	ds_load_b64 v[16:17], v12
	s_wait_dscnt 0x0
	v_pk_fma_f32 v[16:17], v[4:5], v[6:7], v[16:17] op_sel:[1,0,0] op_sel_hi:[0,0,1]
	s_delay_alu instid0(VALU_DEP_1)
	v_pk_fma_f32 v[4:5], v[4:5], v[6:7], v[16:17] op_sel:[0,1,0] neg_hi:[0,1,0]
	ds_store_b64 v12, v[4:5]
.LBB45_98:
	s_or_b32 exec_lo, exec_lo, s1
	s_delay_alu instid0(SALU_CYCLE_1)
	s_mov_b32 s1, exec_lo
	s_wait_storecnt_dscnt 0x0
	v_cmpx_eq_u32_e32 2, v9
	s_cbranch_execz .LBB45_106
; %bb.99:
	v_mov_b32_e32 v0, 0
	ds_load_2addr_b64 v[4:7], v0 offset0:100 offset1:142
	s_wait_dscnt 0x0
	v_readfirstlane_b32 s13, v6
	v_readfirstlane_b32 s14, v4
	;; [unrolled: 1-line block ×3, first 2 shown]
	s_sub_f32 s13, s14, s13
	v_readfirstlane_b32 s14, v7
	s_delay_alu instid0(SALU_CYCLE_2) | instskip(SKIP_4) | instid1(SALU_CYCLE_1)
	s_xor_b32 s19, s13, 0x80000000
	s_cmp_lt_f32 s13, 0
	s_sub_f32 s18, s15, s14
	s_mov_b32 s15, 0
	s_cselect_b32 s13, s19, s13
	s_xor_b32 s14, s18, 0x80000000
	s_cmp_lt_f32 s18, 0
	s_cselect_b32 s14, s14, s18
	s_delay_alu instid0(SALU_CYCLE_1)
	s_cmp_gt_f32 s13, s14
	s_cbranch_scc1 .LBB45_103
; %bb.100:
	s_cmp_eq_f32 s18, 0
	s_cbranch_scc1 .LBB45_102
; %bb.101:
	v_div_scale_f32 v0, null, s14, s14, s13
	v_div_scale_f32 v5, vcc_lo, s13, s14, s13
	s_delay_alu instid0(VALU_DEP_2)
	v_rcp_f32_e32 v2, v0
	v_nop
	v_xor_b32_e32 v0, 0x80000000, v0
	s_delay_alu instid0(TRANS32_DEP_1) | instid1(VALU_DEP_1)
	v_fma_f32 v4, v0, v2, 1.0
	s_delay_alu instid0(VALU_DEP_1) | instskip(NEXT) | instid1(VALU_DEP_1)
	v_fmac_f32_e32 v2, v4, v2
	v_mul_f32_e32 v4, v5, v2
	s_delay_alu instid0(VALU_DEP_1) | instskip(NEXT) | instid1(VALU_DEP_1)
	v_fma_f32 v6, v0, v4, v5
	v_fmac_f32_e32 v4, v6, v2
	s_delay_alu instid0(VALU_DEP_1) | instskip(NEXT) | instid1(VALU_DEP_1)
	v_fmac_f32_e32 v5, v0, v4
	v_div_fmas_f32 v0, v5, v2, v4
	s_delay_alu instid0(VALU_DEP_1) | instskip(NEXT) | instid1(VALU_DEP_1)
	v_div_fixup_f32 v0, v0, s14, s13
	v_readfirstlane_b32 s15, v0
	s_fmaak_f32 s15, s15, s15, 0x3f800000
	s_delay_alu instid0(SALU_CYCLE_3) | instskip(SKIP_1) | instid1(SALU_CYCLE_2)
	s_mul_f32 s18, s15, 0x4f800000
	s_cmp_lt_f32 s15, 0xf800000
	s_cselect_b32 s18, s18, s15
	s_delay_alu instid0(SALU_CYCLE_1) | instskip(SKIP_1) | instid1(TRANS32_DEP_1)
	v_s_sqrt_f32 s19, s18
	s_mov_b32 s21, s18
	s_add_co_i32 s20, s19, -1
	s_delay_alu instid0(SALU_CYCLE_1) | instskip(NEXT) | instid1(SALU_CYCLE_1)
	s_xor_b32 s22, s20, 0x80000000
	s_fmac_f32 s21, s22, s19
	s_mov_b32 s22, s18
	s_delay_alu instid0(SALU_CYCLE_2) | instskip(SKIP_2) | instid1(SALU_CYCLE_1)
	s_cmp_le_f32 s21, 0
	s_cselect_b32 s20, s20, s19
	s_add_co_i32 s21, s19, 1
	s_xor_b32 s23, s21, 0x80000000
	s_delay_alu instid0(SALU_CYCLE_1) | instskip(NEXT) | instid1(SALU_CYCLE_3)
	s_fmac_f32 s22, s23, s19
	s_cmp_gt_f32 s22, 0
	s_cselect_b32 s19, s21, s20
	s_cmp_lt_f32 s15, 0xf800000
	s_mul_f32 s15, s19, 0x37800000
	v_cmp_class_f32_e64 s20, s18, 0x260
	s_delay_alu instid0(SALU_CYCLE_2) | instskip(SKIP_2) | instid1(SALU_CYCLE_1)
	s_cselect_b32 s15, s15, s19
	s_and_b32 s19, s20, exec_lo
	s_cselect_b32 s15, s18, s15
	s_mul_f32 s15, s14, s15
.LBB45_102:
	s_cbranch_execz .LBB45_104
	s_branch .LBB45_105
.LBB45_103:
                                        ; implicit-def: $sgpr15
.LBB45_104:
	v_div_scale_f32 v0, null, s13, s13, s14
	v_div_scale_f32 v5, vcc_lo, s14, s13, s14
	s_delay_alu instid0(VALU_DEP_2)
	v_rcp_f32_e32 v2, v0
	v_nop
	v_xor_b32_e32 v0, 0x80000000, v0
	s_delay_alu instid0(TRANS32_DEP_1) | instid1(VALU_DEP_1)
	v_fma_f32 v4, v0, v2, 1.0
	s_delay_alu instid0(VALU_DEP_1) | instskip(NEXT) | instid1(VALU_DEP_1)
	v_fmac_f32_e32 v2, v4, v2
	v_mul_f32_e32 v4, v5, v2
	s_delay_alu instid0(VALU_DEP_1) | instskip(NEXT) | instid1(VALU_DEP_1)
	v_fma_f32 v6, v0, v4, v5
	v_fmac_f32_e32 v4, v6, v2
	s_delay_alu instid0(VALU_DEP_1) | instskip(NEXT) | instid1(VALU_DEP_1)
	v_fmac_f32_e32 v5, v0, v4
	v_div_fmas_f32 v0, v5, v2, v4
	s_delay_alu instid0(VALU_DEP_1) | instskip(NEXT) | instid1(VALU_DEP_1)
	v_div_fixup_f32 v0, v0, s13, s14
	v_readfirstlane_b32 s14, v0
	s_fmaak_f32 s14, s14, s14, 0x3f800000
	s_delay_alu instid0(SALU_CYCLE_3) | instskip(SKIP_1) | instid1(SALU_CYCLE_2)
	s_mul_f32 s15, s14, 0x4f800000
	s_cmp_lt_f32 s14, 0xf800000
	s_cselect_b32 s15, s15, s14
	s_delay_alu instid0(SALU_CYCLE_1) | instskip(SKIP_1) | instid1(TRANS32_DEP_1)
	v_s_sqrt_f32 s18, s15
	s_mov_b32 s20, s15
	s_add_co_i32 s19, s18, -1
	s_delay_alu instid0(SALU_CYCLE_1) | instskip(NEXT) | instid1(SALU_CYCLE_1)
	s_xor_b32 s21, s19, 0x80000000
	s_fmac_f32 s20, s21, s18
	s_mov_b32 s21, s15
	s_delay_alu instid0(SALU_CYCLE_2) | instskip(SKIP_2) | instid1(SALU_CYCLE_1)
	s_cmp_le_f32 s20, 0
	s_cselect_b32 s19, s19, s18
	s_add_co_i32 s20, s18, 1
	s_xor_b32 s22, s20, 0x80000000
	s_delay_alu instid0(SALU_CYCLE_1) | instskip(NEXT) | instid1(SALU_CYCLE_3)
	s_fmac_f32 s21, s22, s18
	s_cmp_gt_f32 s21, 0
	s_cselect_b32 s18, s20, s19
	s_cmp_lt_f32 s14, 0xf800000
	s_mul_f32 s14, s18, 0x37800000
	v_cmp_class_f32_e64 s19, s15, 0x260
	s_delay_alu instid0(SALU_CYCLE_2) | instskip(SKIP_2) | instid1(SALU_CYCLE_1)
	s_cselect_b32 s14, s14, s18
	s_and_b32 s18, s19, exec_lo
	s_cselect_b32 s14, s15, s14
	s_mul_f32 s15, s13, s14
.LBB45_105:
	s_delay_alu instid0(SALU_CYCLE_3) | instskip(SKIP_2) | instid1(SALU_CYCLE_1)
	s_mul_f32 s13, s15, 0x4f800000
	s_cmp_lt_f32 s15, 0xf800000
	v_mov_b32_e32 v5, 0
	s_cselect_b32 s13, s13, s15
	s_delay_alu instid0(SALU_CYCLE_1) | instskip(SKIP_1) | instid1(TRANS32_DEP_1)
	v_s_sqrt_f32 s14, s13
	s_mov_b32 s19, s13
	s_add_co_i32 s18, s14, -1
	s_delay_alu instid0(SALU_CYCLE_1) | instskip(NEXT) | instid1(SALU_CYCLE_1)
	s_xor_b32 s20, s18, 0x80000000
	s_fmac_f32 s19, s20, s14
	s_mov_b32 s20, s13
	s_delay_alu instid0(SALU_CYCLE_2) | instskip(SKIP_2) | instid1(SALU_CYCLE_1)
	s_cmp_le_f32 s19, 0
	s_cselect_b32 s18, s18, s14
	s_add_co_i32 s19, s14, 1
	s_xor_b32 s21, s19, 0x80000000
	s_delay_alu instid0(SALU_CYCLE_1) | instskip(SKIP_1) | instid1(SALU_CYCLE_2)
	s_fmac_f32 s20, s21, s14
	v_cmp_class_f32_e64 s14, s13, 0x260
	s_cmp_gt_f32 s20, 0
	s_cselect_b32 s18, s19, s18
	s_cmp_lt_f32 s15, 0xf800000
	s_mul_f32 s15, s18, 0x37800000
	s_delay_alu instid0(SALU_CYCLE_3) | instskip(SKIP_2) | instid1(SALU_CYCLE_1)
	s_cselect_b32 s15, s15, s18
	s_and_b32 s14, s14, exec_lo
	s_cselect_b32 s13, s13, s15
	v_mov_b32_e32 v4, s13
	ds_store_b64 v5, v[4:5] offset:800
.LBB45_106:
	s_or_b32 exec_lo, exec_lo, s1
	v_mov_b32_e32 v0, 0
	s_wait_dscnt 0x0
	ds_load_b64 v[4:5], v0 offset:800
	s_wait_dscnt 0x0
	v_readfirstlane_b32 s1, v4
	v_readfirstlane_b32 s13, v5
	s_cmp_neq_f32 s1, 0
	s_cselect_b32 s14, -1, 0
	s_cmp_neq_f32 s13, 0
	s_cselect_b32 s15, -1, 0
	s_delay_alu instid0(SALU_CYCLE_1) | instskip(NEXT) | instid1(SALU_CYCLE_1)
	s_or_b32 s14, s14, s15
	s_nor_b32 s15, s14, s0
	s_and_b32 s14, s14, exec_lo
	s_cselect_b32 s1, s1, 1.0
	s_cselect_b32 s13, s13, 0
	s_delay_alu instid0(SALU_CYCLE_1)
	v_dual_mov_b32 v0, s1 :: v_dual_mov_b32 v2, s13
	s_and_saveexec_b32 s1, s15
	s_cbranch_execz .LBB45_110
; %bb.107:
	v_mbcnt_lo_u32_b32 v0, exec_lo, 0
	s_mov_b32 s13, exec_lo
	s_delay_alu instid0(VALU_DEP_1)
	v_cmpx_eq_u32_e32 0, v0
	s_cbranch_execz .LBB45_109
; %bb.108:
	v_dual_mov_b32 v0, 0 :: v_dual_mov_b32 v2, s12
	global_atomic_min_i32 v0, v2, s[10:11] scope:SCOPE_DEV
.LBB45_109:
	s_wait_xcnt 0x0
	s_or_b32 exec_lo, exec_lo, s13
	v_dual_mov_b32 v2, 0 :: v_dual_mov_b32 v0, 1.0
.LBB45_110:
	s_or_b32 exec_lo, exec_lo, s1
	s_delay_alu instid0(SALU_CYCLE_1)
	s_mov_b32 s1, exec_lo
	v_cmpx_lt_u32_e32 2, v9
	s_cbranch_execz .LBB45_112
; %bb.111:
	v_mul_f32_e32 v16, v2, v2
	ds_load_b64 v[4:5], v14 offset:16
	ds_load_b64 v[6:7], v15 offset:16
	v_fmac_f32_e32 v16, v0, v0
	s_delay_alu instid0(VALU_DEP_1) | instskip(NEXT) | instid1(VALU_DEP_1)
	v_div_scale_f32 v17, null, v16, v16, 1.0
	v_rcp_f32_e32 v18, v17
	s_wait_dscnt 0x0
	v_pk_add_f32 v[4:5], v[4:5], v[6:7] op_sel:[1,1] op_sel_hi:[0,0] neg_lo:[0,1] neg_hi:[0,1]
	s_delay_alu instid0(TRANS32_DEP_1) | instskip(NEXT) | instid1(VALU_DEP_2)
	v_fma_f32 v19, -v17, v18, 1.0
	v_pk_mul_f32 v[6:7], v[2:3], v[4:5] op_sel:[0,1] op_sel_hi:[0,0] neg_lo:[0,1]
	s_delay_alu instid0(VALU_DEP_2) | instskip(SKIP_1) | instid1(VALU_DEP_3)
	v_fmac_f32_e32 v18, v19, v18
	v_div_scale_f32 v20, vcc_lo, 1.0, v16, 1.0
	v_pk_fma_f32 v[4:5], v[4:5], v[0:1], v[6:7] op_sel_hi:[1,0,1]
	s_delay_alu instid0(VALU_DEP_2) | instskip(NEXT) | instid1(VALU_DEP_1)
	v_mul_f32_e32 v19, v20, v18
	v_fma_f32 v21, -v17, v19, v20
	s_delay_alu instid0(VALU_DEP_1) | instskip(NEXT) | instid1(VALU_DEP_1)
	v_fmac_f32_e32 v19, v21, v18
	v_fma_f32 v17, -v17, v19, v20
	s_delay_alu instid0(VALU_DEP_1) | instskip(NEXT) | instid1(VALU_DEP_1)
	v_div_fmas_f32 v2, v17, v18, v19
	v_div_fixup_f32 v0, v2, v16, 1.0
	s_delay_alu instid0(VALU_DEP_1) | instskip(NEXT) | instid1(VALU_DEP_1)
	v_pk_mul_f32 v[4:5], v[0:1], v[4:5] op_sel_hi:[0,1]
	v_dual_mov_b32 v6, v5 :: v_dual_mov_b32 v7, v4
	ds_store_b64 v14, v[6:7] offset:16
	s_wait_storecnt_dscnt 0x0
	ds_load_b64 v[6:7], v13 offset:16
	ds_load_b64 v[16:17], v12
	s_wait_dscnt 0x0
	v_pk_fma_f32 v[16:17], v[4:5], v[6:7], v[16:17] op_sel:[1,0,0] op_sel_hi:[0,0,1]
	s_delay_alu instid0(VALU_DEP_1)
	v_pk_fma_f32 v[4:5], v[4:5], v[6:7], v[16:17] op_sel:[0,1,0] neg_hi:[0,1,0]
	ds_store_b64 v12, v[4:5]
.LBB45_112:
	s_or_b32 exec_lo, exec_lo, s1
	s_delay_alu instid0(SALU_CYCLE_1)
	s_mov_b32 s1, exec_lo
	s_wait_storecnt_dscnt 0x0
	v_cmpx_eq_u32_e32 3, v9
	s_cbranch_execz .LBB45_120
; %bb.113:
	v_mov_b32_e32 v0, 0
	ds_load_2addr_b64 v[4:7], v0 offset0:108 offset1:150
	s_wait_dscnt 0x0
	v_readfirstlane_b32 s13, v6
	v_readfirstlane_b32 s14, v4
	;; [unrolled: 1-line block ×3, first 2 shown]
	s_sub_f32 s13, s14, s13
	v_readfirstlane_b32 s14, v7
	s_delay_alu instid0(SALU_CYCLE_2) | instskip(SKIP_4) | instid1(SALU_CYCLE_1)
	s_xor_b32 s19, s13, 0x80000000
	s_cmp_lt_f32 s13, 0
	s_sub_f32 s18, s15, s14
	s_mov_b32 s15, 0
	s_cselect_b32 s13, s19, s13
	s_xor_b32 s14, s18, 0x80000000
	s_cmp_lt_f32 s18, 0
	s_cselect_b32 s14, s14, s18
	s_delay_alu instid0(SALU_CYCLE_1)
	s_cmp_gt_f32 s13, s14
	s_cbranch_scc1 .LBB45_117
; %bb.114:
	s_cmp_eq_f32 s18, 0
	s_cbranch_scc1 .LBB45_116
; %bb.115:
	v_div_scale_f32 v0, null, s14, s14, s13
	v_div_scale_f32 v5, vcc_lo, s13, s14, s13
	s_delay_alu instid0(VALU_DEP_2)
	v_rcp_f32_e32 v2, v0
	v_nop
	v_xor_b32_e32 v0, 0x80000000, v0
	s_delay_alu instid0(TRANS32_DEP_1) | instid1(VALU_DEP_1)
	v_fma_f32 v4, v0, v2, 1.0
	s_delay_alu instid0(VALU_DEP_1) | instskip(NEXT) | instid1(VALU_DEP_1)
	v_fmac_f32_e32 v2, v4, v2
	v_mul_f32_e32 v4, v5, v2
	s_delay_alu instid0(VALU_DEP_1) | instskip(NEXT) | instid1(VALU_DEP_1)
	v_fma_f32 v6, v0, v4, v5
	v_fmac_f32_e32 v4, v6, v2
	s_delay_alu instid0(VALU_DEP_1) | instskip(NEXT) | instid1(VALU_DEP_1)
	v_fmac_f32_e32 v5, v0, v4
	v_div_fmas_f32 v0, v5, v2, v4
	s_delay_alu instid0(VALU_DEP_1) | instskip(NEXT) | instid1(VALU_DEP_1)
	v_div_fixup_f32 v0, v0, s14, s13
	v_readfirstlane_b32 s15, v0
	s_fmaak_f32 s15, s15, s15, 0x3f800000
	s_delay_alu instid0(SALU_CYCLE_3) | instskip(SKIP_1) | instid1(SALU_CYCLE_2)
	s_mul_f32 s18, s15, 0x4f800000
	s_cmp_lt_f32 s15, 0xf800000
	s_cselect_b32 s18, s18, s15
	s_delay_alu instid0(SALU_CYCLE_1) | instskip(SKIP_1) | instid1(TRANS32_DEP_1)
	v_s_sqrt_f32 s19, s18
	s_mov_b32 s21, s18
	s_add_co_i32 s20, s19, -1
	s_delay_alu instid0(SALU_CYCLE_1) | instskip(NEXT) | instid1(SALU_CYCLE_1)
	s_xor_b32 s22, s20, 0x80000000
	s_fmac_f32 s21, s22, s19
	s_mov_b32 s22, s18
	s_delay_alu instid0(SALU_CYCLE_2) | instskip(SKIP_2) | instid1(SALU_CYCLE_1)
	s_cmp_le_f32 s21, 0
	s_cselect_b32 s20, s20, s19
	s_add_co_i32 s21, s19, 1
	s_xor_b32 s23, s21, 0x80000000
	s_delay_alu instid0(SALU_CYCLE_1) | instskip(NEXT) | instid1(SALU_CYCLE_3)
	s_fmac_f32 s22, s23, s19
	s_cmp_gt_f32 s22, 0
	s_cselect_b32 s19, s21, s20
	s_cmp_lt_f32 s15, 0xf800000
	s_mul_f32 s15, s19, 0x37800000
	v_cmp_class_f32_e64 s20, s18, 0x260
	s_delay_alu instid0(SALU_CYCLE_2) | instskip(SKIP_2) | instid1(SALU_CYCLE_1)
	s_cselect_b32 s15, s15, s19
	s_and_b32 s19, s20, exec_lo
	s_cselect_b32 s15, s18, s15
	s_mul_f32 s15, s14, s15
.LBB45_116:
	s_cbranch_execz .LBB45_118
	s_branch .LBB45_119
.LBB45_117:
                                        ; implicit-def: $sgpr15
.LBB45_118:
	v_div_scale_f32 v0, null, s13, s13, s14
	v_div_scale_f32 v5, vcc_lo, s14, s13, s14
	s_delay_alu instid0(VALU_DEP_2)
	v_rcp_f32_e32 v2, v0
	v_nop
	v_xor_b32_e32 v0, 0x80000000, v0
	s_delay_alu instid0(TRANS32_DEP_1) | instid1(VALU_DEP_1)
	v_fma_f32 v4, v0, v2, 1.0
	s_delay_alu instid0(VALU_DEP_1) | instskip(NEXT) | instid1(VALU_DEP_1)
	v_fmac_f32_e32 v2, v4, v2
	v_mul_f32_e32 v4, v5, v2
	s_delay_alu instid0(VALU_DEP_1) | instskip(NEXT) | instid1(VALU_DEP_1)
	v_fma_f32 v6, v0, v4, v5
	v_fmac_f32_e32 v4, v6, v2
	s_delay_alu instid0(VALU_DEP_1) | instskip(NEXT) | instid1(VALU_DEP_1)
	v_fmac_f32_e32 v5, v0, v4
	v_div_fmas_f32 v0, v5, v2, v4
	s_delay_alu instid0(VALU_DEP_1) | instskip(NEXT) | instid1(VALU_DEP_1)
	v_div_fixup_f32 v0, v0, s13, s14
	v_readfirstlane_b32 s14, v0
	s_fmaak_f32 s14, s14, s14, 0x3f800000
	s_delay_alu instid0(SALU_CYCLE_3) | instskip(SKIP_1) | instid1(SALU_CYCLE_2)
	s_mul_f32 s15, s14, 0x4f800000
	s_cmp_lt_f32 s14, 0xf800000
	s_cselect_b32 s15, s15, s14
	s_delay_alu instid0(SALU_CYCLE_1) | instskip(SKIP_1) | instid1(TRANS32_DEP_1)
	v_s_sqrt_f32 s18, s15
	s_mov_b32 s20, s15
	s_add_co_i32 s19, s18, -1
	s_delay_alu instid0(SALU_CYCLE_1) | instskip(NEXT) | instid1(SALU_CYCLE_1)
	s_xor_b32 s21, s19, 0x80000000
	s_fmac_f32 s20, s21, s18
	s_mov_b32 s21, s15
	s_delay_alu instid0(SALU_CYCLE_2) | instskip(SKIP_2) | instid1(SALU_CYCLE_1)
	s_cmp_le_f32 s20, 0
	s_cselect_b32 s19, s19, s18
	s_add_co_i32 s20, s18, 1
	s_xor_b32 s22, s20, 0x80000000
	s_delay_alu instid0(SALU_CYCLE_1) | instskip(NEXT) | instid1(SALU_CYCLE_3)
	s_fmac_f32 s21, s22, s18
	s_cmp_gt_f32 s21, 0
	s_cselect_b32 s18, s20, s19
	s_cmp_lt_f32 s14, 0xf800000
	s_mul_f32 s14, s18, 0x37800000
	v_cmp_class_f32_e64 s19, s15, 0x260
	s_delay_alu instid0(SALU_CYCLE_2) | instskip(SKIP_2) | instid1(SALU_CYCLE_1)
	s_cselect_b32 s14, s14, s18
	s_and_b32 s18, s19, exec_lo
	s_cselect_b32 s14, s15, s14
	s_mul_f32 s15, s13, s14
.LBB45_119:
	s_delay_alu instid0(SALU_CYCLE_3) | instskip(SKIP_2) | instid1(SALU_CYCLE_1)
	s_mul_f32 s13, s15, 0x4f800000
	s_cmp_lt_f32 s15, 0xf800000
	v_mov_b32_e32 v5, 0
	s_cselect_b32 s13, s13, s15
	s_delay_alu instid0(SALU_CYCLE_1) | instskip(SKIP_1) | instid1(TRANS32_DEP_1)
	v_s_sqrt_f32 s14, s13
	s_mov_b32 s19, s13
	s_add_co_i32 s18, s14, -1
	s_delay_alu instid0(SALU_CYCLE_1) | instskip(NEXT) | instid1(SALU_CYCLE_1)
	s_xor_b32 s20, s18, 0x80000000
	s_fmac_f32 s19, s20, s14
	s_mov_b32 s20, s13
	s_delay_alu instid0(SALU_CYCLE_2) | instskip(SKIP_2) | instid1(SALU_CYCLE_1)
	s_cmp_le_f32 s19, 0
	s_cselect_b32 s18, s18, s14
	s_add_co_i32 s19, s14, 1
	s_xor_b32 s21, s19, 0x80000000
	s_delay_alu instid0(SALU_CYCLE_1) | instskip(SKIP_1) | instid1(SALU_CYCLE_2)
	s_fmac_f32 s20, s21, s14
	v_cmp_class_f32_e64 s14, s13, 0x260
	s_cmp_gt_f32 s20, 0
	s_cselect_b32 s18, s19, s18
	s_cmp_lt_f32 s15, 0xf800000
	s_mul_f32 s15, s18, 0x37800000
	s_delay_alu instid0(SALU_CYCLE_3) | instskip(SKIP_2) | instid1(SALU_CYCLE_1)
	s_cselect_b32 s15, s15, s18
	s_and_b32 s14, s14, exec_lo
	s_cselect_b32 s13, s13, s15
	v_mov_b32_e32 v4, s13
	ds_store_b64 v5, v[4:5] offset:864
.LBB45_120:
	s_or_b32 exec_lo, exec_lo, s1
	v_mov_b32_e32 v0, 0
	s_wait_dscnt 0x0
	ds_load_b64 v[4:5], v0 offset:864
	s_wait_dscnt 0x0
	v_readfirstlane_b32 s1, v4
	v_readfirstlane_b32 s13, v5
	s_cmp_neq_f32 s1, 0
	s_cselect_b32 s14, -1, 0
	s_cmp_neq_f32 s13, 0
	s_cselect_b32 s15, -1, 0
	s_delay_alu instid0(SALU_CYCLE_1) | instskip(NEXT) | instid1(SALU_CYCLE_1)
	s_or_b32 s14, s14, s15
	s_nor_b32 s15, s14, s0
	s_and_b32 s14, s14, exec_lo
	s_cselect_b32 s1, s1, 1.0
	s_cselect_b32 s13, s13, 0
	s_delay_alu instid0(SALU_CYCLE_1)
	v_dual_mov_b32 v0, s1 :: v_dual_mov_b32 v2, s13
	s_and_saveexec_b32 s1, s15
	s_cbranch_execz .LBB45_124
; %bb.121:
	v_mbcnt_lo_u32_b32 v0, exec_lo, 0
	s_mov_b32 s13, exec_lo
	s_delay_alu instid0(VALU_DEP_1)
	v_cmpx_eq_u32_e32 0, v0
	s_cbranch_execz .LBB45_123
; %bb.122:
	v_dual_mov_b32 v0, 0 :: v_dual_mov_b32 v2, s12
	global_atomic_min_i32 v0, v2, s[10:11] scope:SCOPE_DEV
.LBB45_123:
	s_wait_xcnt 0x0
	s_or_b32 exec_lo, exec_lo, s13
	v_dual_mov_b32 v2, 0 :: v_dual_mov_b32 v0, 1.0
.LBB45_124:
	s_or_b32 exec_lo, exec_lo, s1
	s_delay_alu instid0(SALU_CYCLE_1)
	s_mov_b32 s1, exec_lo
	v_cmpx_lt_u32_e32 3, v9
	s_cbranch_execz .LBB45_126
; %bb.125:
	v_mul_f32_e32 v16, v2, v2
	ds_load_b64 v[4:5], v14 offset:24
	ds_load_b64 v[6:7], v15 offset:24
	v_fmac_f32_e32 v16, v0, v0
	s_delay_alu instid0(VALU_DEP_1) | instskip(NEXT) | instid1(VALU_DEP_1)
	v_div_scale_f32 v17, null, v16, v16, 1.0
	v_rcp_f32_e32 v18, v17
	s_wait_dscnt 0x0
	v_pk_add_f32 v[4:5], v[4:5], v[6:7] op_sel:[1,1] op_sel_hi:[0,0] neg_lo:[0,1] neg_hi:[0,1]
	s_delay_alu instid0(TRANS32_DEP_1) | instskip(NEXT) | instid1(VALU_DEP_2)
	v_fma_f32 v19, -v17, v18, 1.0
	v_pk_mul_f32 v[6:7], v[2:3], v[4:5] op_sel:[0,1] op_sel_hi:[0,0] neg_lo:[0,1]
	s_delay_alu instid0(VALU_DEP_2) | instskip(SKIP_1) | instid1(VALU_DEP_3)
	v_fmac_f32_e32 v18, v19, v18
	v_div_scale_f32 v20, vcc_lo, 1.0, v16, 1.0
	v_pk_fma_f32 v[4:5], v[4:5], v[0:1], v[6:7] op_sel_hi:[1,0,1]
	s_delay_alu instid0(VALU_DEP_2) | instskip(NEXT) | instid1(VALU_DEP_1)
	v_mul_f32_e32 v19, v20, v18
	v_fma_f32 v21, -v17, v19, v20
	s_delay_alu instid0(VALU_DEP_1) | instskip(NEXT) | instid1(VALU_DEP_1)
	v_fmac_f32_e32 v19, v21, v18
	v_fma_f32 v17, -v17, v19, v20
	s_delay_alu instid0(VALU_DEP_1) | instskip(NEXT) | instid1(VALU_DEP_1)
	v_div_fmas_f32 v2, v17, v18, v19
	v_div_fixup_f32 v0, v2, v16, 1.0
	s_delay_alu instid0(VALU_DEP_1) | instskip(NEXT) | instid1(VALU_DEP_1)
	v_pk_mul_f32 v[4:5], v[0:1], v[4:5] op_sel_hi:[0,1]
	v_dual_mov_b32 v6, v5 :: v_dual_mov_b32 v7, v4
	ds_store_b64 v14, v[6:7] offset:24
	s_wait_storecnt_dscnt 0x0
	ds_load_b64 v[6:7], v13 offset:24
	ds_load_b64 v[16:17], v12
	s_wait_dscnt 0x0
	v_pk_fma_f32 v[16:17], v[4:5], v[6:7], v[16:17] op_sel:[1,0,0] op_sel_hi:[0,0,1]
	s_delay_alu instid0(VALU_DEP_1)
	v_pk_fma_f32 v[4:5], v[4:5], v[6:7], v[16:17] op_sel:[0,1,0] neg_hi:[0,1,0]
	ds_store_b64 v12, v[4:5]
.LBB45_126:
	s_or_b32 exec_lo, exec_lo, s1
	s_delay_alu instid0(SALU_CYCLE_1)
	s_mov_b32 s1, exec_lo
	s_wait_storecnt_dscnt 0x0
	v_cmpx_eq_u32_e32 4, v9
	s_cbranch_execz .LBB45_134
; %bb.127:
	v_mov_b32_e32 v0, 0
	ds_load_2addr_b64 v[4:7], v0 offset0:116 offset1:158
	s_wait_dscnt 0x0
	v_readfirstlane_b32 s13, v6
	v_readfirstlane_b32 s14, v4
	;; [unrolled: 1-line block ×3, first 2 shown]
	s_sub_f32 s13, s14, s13
	v_readfirstlane_b32 s14, v7
	s_delay_alu instid0(SALU_CYCLE_2) | instskip(SKIP_4) | instid1(SALU_CYCLE_1)
	s_xor_b32 s19, s13, 0x80000000
	s_cmp_lt_f32 s13, 0
	s_sub_f32 s18, s15, s14
	s_mov_b32 s15, 0
	s_cselect_b32 s13, s19, s13
	s_xor_b32 s14, s18, 0x80000000
	s_cmp_lt_f32 s18, 0
	s_cselect_b32 s14, s14, s18
	s_delay_alu instid0(SALU_CYCLE_1)
	s_cmp_gt_f32 s13, s14
	s_cbranch_scc1 .LBB45_131
; %bb.128:
	s_cmp_eq_f32 s18, 0
	s_cbranch_scc1 .LBB45_130
; %bb.129:
	v_div_scale_f32 v0, null, s14, s14, s13
	v_div_scale_f32 v5, vcc_lo, s13, s14, s13
	s_delay_alu instid0(VALU_DEP_2)
	v_rcp_f32_e32 v2, v0
	v_nop
	v_xor_b32_e32 v0, 0x80000000, v0
	s_delay_alu instid0(TRANS32_DEP_1) | instid1(VALU_DEP_1)
	v_fma_f32 v4, v0, v2, 1.0
	s_delay_alu instid0(VALU_DEP_1) | instskip(NEXT) | instid1(VALU_DEP_1)
	v_fmac_f32_e32 v2, v4, v2
	v_mul_f32_e32 v4, v5, v2
	s_delay_alu instid0(VALU_DEP_1) | instskip(NEXT) | instid1(VALU_DEP_1)
	v_fma_f32 v6, v0, v4, v5
	v_fmac_f32_e32 v4, v6, v2
	s_delay_alu instid0(VALU_DEP_1) | instskip(NEXT) | instid1(VALU_DEP_1)
	v_fmac_f32_e32 v5, v0, v4
	v_div_fmas_f32 v0, v5, v2, v4
	s_delay_alu instid0(VALU_DEP_1) | instskip(NEXT) | instid1(VALU_DEP_1)
	v_div_fixup_f32 v0, v0, s14, s13
	v_readfirstlane_b32 s15, v0
	s_fmaak_f32 s15, s15, s15, 0x3f800000
	s_delay_alu instid0(SALU_CYCLE_3) | instskip(SKIP_1) | instid1(SALU_CYCLE_2)
	s_mul_f32 s18, s15, 0x4f800000
	s_cmp_lt_f32 s15, 0xf800000
	s_cselect_b32 s18, s18, s15
	s_delay_alu instid0(SALU_CYCLE_1) | instskip(SKIP_1) | instid1(TRANS32_DEP_1)
	v_s_sqrt_f32 s19, s18
	s_mov_b32 s21, s18
	s_add_co_i32 s20, s19, -1
	s_delay_alu instid0(SALU_CYCLE_1) | instskip(NEXT) | instid1(SALU_CYCLE_1)
	s_xor_b32 s22, s20, 0x80000000
	s_fmac_f32 s21, s22, s19
	s_mov_b32 s22, s18
	s_delay_alu instid0(SALU_CYCLE_2) | instskip(SKIP_2) | instid1(SALU_CYCLE_1)
	s_cmp_le_f32 s21, 0
	s_cselect_b32 s20, s20, s19
	s_add_co_i32 s21, s19, 1
	s_xor_b32 s23, s21, 0x80000000
	s_delay_alu instid0(SALU_CYCLE_1) | instskip(NEXT) | instid1(SALU_CYCLE_3)
	s_fmac_f32 s22, s23, s19
	s_cmp_gt_f32 s22, 0
	s_cselect_b32 s19, s21, s20
	s_cmp_lt_f32 s15, 0xf800000
	s_mul_f32 s15, s19, 0x37800000
	v_cmp_class_f32_e64 s20, s18, 0x260
	s_delay_alu instid0(SALU_CYCLE_2) | instskip(SKIP_2) | instid1(SALU_CYCLE_1)
	s_cselect_b32 s15, s15, s19
	s_and_b32 s19, s20, exec_lo
	s_cselect_b32 s15, s18, s15
	s_mul_f32 s15, s14, s15
.LBB45_130:
	s_cbranch_execz .LBB45_132
	s_branch .LBB45_133
.LBB45_131:
                                        ; implicit-def: $sgpr15
.LBB45_132:
	v_div_scale_f32 v0, null, s13, s13, s14
	v_div_scale_f32 v5, vcc_lo, s14, s13, s14
	s_delay_alu instid0(VALU_DEP_2)
	v_rcp_f32_e32 v2, v0
	v_nop
	v_xor_b32_e32 v0, 0x80000000, v0
	s_delay_alu instid0(TRANS32_DEP_1) | instid1(VALU_DEP_1)
	v_fma_f32 v4, v0, v2, 1.0
	s_delay_alu instid0(VALU_DEP_1) | instskip(NEXT) | instid1(VALU_DEP_1)
	v_fmac_f32_e32 v2, v4, v2
	v_mul_f32_e32 v4, v5, v2
	s_delay_alu instid0(VALU_DEP_1) | instskip(NEXT) | instid1(VALU_DEP_1)
	v_fma_f32 v6, v0, v4, v5
	v_fmac_f32_e32 v4, v6, v2
	s_delay_alu instid0(VALU_DEP_1) | instskip(NEXT) | instid1(VALU_DEP_1)
	v_fmac_f32_e32 v5, v0, v4
	v_div_fmas_f32 v0, v5, v2, v4
	s_delay_alu instid0(VALU_DEP_1) | instskip(NEXT) | instid1(VALU_DEP_1)
	v_div_fixup_f32 v0, v0, s13, s14
	v_readfirstlane_b32 s14, v0
	s_fmaak_f32 s14, s14, s14, 0x3f800000
	s_delay_alu instid0(SALU_CYCLE_3) | instskip(SKIP_1) | instid1(SALU_CYCLE_2)
	s_mul_f32 s15, s14, 0x4f800000
	s_cmp_lt_f32 s14, 0xf800000
	s_cselect_b32 s15, s15, s14
	s_delay_alu instid0(SALU_CYCLE_1) | instskip(SKIP_1) | instid1(TRANS32_DEP_1)
	v_s_sqrt_f32 s18, s15
	s_mov_b32 s20, s15
	s_add_co_i32 s19, s18, -1
	s_delay_alu instid0(SALU_CYCLE_1) | instskip(NEXT) | instid1(SALU_CYCLE_1)
	s_xor_b32 s21, s19, 0x80000000
	s_fmac_f32 s20, s21, s18
	s_mov_b32 s21, s15
	s_delay_alu instid0(SALU_CYCLE_2) | instskip(SKIP_2) | instid1(SALU_CYCLE_1)
	s_cmp_le_f32 s20, 0
	s_cselect_b32 s19, s19, s18
	s_add_co_i32 s20, s18, 1
	s_xor_b32 s22, s20, 0x80000000
	s_delay_alu instid0(SALU_CYCLE_1) | instskip(NEXT) | instid1(SALU_CYCLE_3)
	s_fmac_f32 s21, s22, s18
	s_cmp_gt_f32 s21, 0
	s_cselect_b32 s18, s20, s19
	s_cmp_lt_f32 s14, 0xf800000
	s_mul_f32 s14, s18, 0x37800000
	v_cmp_class_f32_e64 s19, s15, 0x260
	s_delay_alu instid0(SALU_CYCLE_2) | instskip(SKIP_2) | instid1(SALU_CYCLE_1)
	s_cselect_b32 s14, s14, s18
	s_and_b32 s18, s19, exec_lo
	s_cselect_b32 s14, s15, s14
	s_mul_f32 s15, s13, s14
.LBB45_133:
	s_delay_alu instid0(SALU_CYCLE_3) | instskip(SKIP_2) | instid1(SALU_CYCLE_1)
	s_mul_f32 s13, s15, 0x4f800000
	s_cmp_lt_f32 s15, 0xf800000
	v_mov_b32_e32 v5, 0
	s_cselect_b32 s13, s13, s15
	s_delay_alu instid0(SALU_CYCLE_1) | instskip(SKIP_1) | instid1(TRANS32_DEP_1)
	v_s_sqrt_f32 s14, s13
	s_mov_b32 s19, s13
	s_add_co_i32 s18, s14, -1
	s_delay_alu instid0(SALU_CYCLE_1) | instskip(NEXT) | instid1(SALU_CYCLE_1)
	s_xor_b32 s20, s18, 0x80000000
	s_fmac_f32 s19, s20, s14
	s_mov_b32 s20, s13
	s_delay_alu instid0(SALU_CYCLE_2) | instskip(SKIP_2) | instid1(SALU_CYCLE_1)
	s_cmp_le_f32 s19, 0
	s_cselect_b32 s18, s18, s14
	s_add_co_i32 s19, s14, 1
	s_xor_b32 s21, s19, 0x80000000
	s_delay_alu instid0(SALU_CYCLE_1) | instskip(SKIP_1) | instid1(SALU_CYCLE_2)
	s_fmac_f32 s20, s21, s14
	v_cmp_class_f32_e64 s14, s13, 0x260
	s_cmp_gt_f32 s20, 0
	s_cselect_b32 s18, s19, s18
	s_cmp_lt_f32 s15, 0xf800000
	s_mul_f32 s15, s18, 0x37800000
	s_delay_alu instid0(SALU_CYCLE_3) | instskip(SKIP_2) | instid1(SALU_CYCLE_1)
	s_cselect_b32 s15, s15, s18
	s_and_b32 s14, s14, exec_lo
	s_cselect_b32 s13, s13, s15
	v_mov_b32_e32 v4, s13
	ds_store_b64 v5, v[4:5] offset:928
.LBB45_134:
	s_or_b32 exec_lo, exec_lo, s1
	v_mov_b32_e32 v0, 0
	s_wait_dscnt 0x0
	ds_load_b64 v[4:5], v0 offset:928
	s_wait_dscnt 0x0
	v_readfirstlane_b32 s1, v4
	v_readfirstlane_b32 s13, v5
	s_cmp_neq_f32 s1, 0
	s_cselect_b32 s14, -1, 0
	s_cmp_neq_f32 s13, 0
	s_cselect_b32 s15, -1, 0
	s_delay_alu instid0(SALU_CYCLE_1) | instskip(NEXT) | instid1(SALU_CYCLE_1)
	s_or_b32 s14, s14, s15
	s_nor_b32 s15, s14, s0
	s_and_b32 s14, s14, exec_lo
	s_cselect_b32 s1, s1, 1.0
	s_cselect_b32 s13, s13, 0
	s_delay_alu instid0(SALU_CYCLE_1)
	v_dual_mov_b32 v0, s1 :: v_dual_mov_b32 v2, s13
	s_and_saveexec_b32 s1, s15
	s_cbranch_execz .LBB45_138
; %bb.135:
	v_mbcnt_lo_u32_b32 v0, exec_lo, 0
	s_mov_b32 s13, exec_lo
	s_delay_alu instid0(VALU_DEP_1)
	v_cmpx_eq_u32_e32 0, v0
	s_cbranch_execz .LBB45_137
; %bb.136:
	v_dual_mov_b32 v0, 0 :: v_dual_mov_b32 v2, s12
	global_atomic_min_i32 v0, v2, s[10:11] scope:SCOPE_DEV
.LBB45_137:
	s_wait_xcnt 0x0
	s_or_b32 exec_lo, exec_lo, s13
	v_dual_mov_b32 v2, 0 :: v_dual_mov_b32 v0, 1.0
.LBB45_138:
	s_or_b32 exec_lo, exec_lo, s1
	s_delay_alu instid0(SALU_CYCLE_1)
	s_mov_b32 s1, exec_lo
	v_cmpx_lt_u32_e32 4, v9
	s_cbranch_execz .LBB45_140
; %bb.139:
	v_mul_f32_e32 v16, v2, v2
	ds_load_b64 v[4:5], v14 offset:32
	ds_load_b64 v[6:7], v15 offset:32
	v_fmac_f32_e32 v16, v0, v0
	s_delay_alu instid0(VALU_DEP_1) | instskip(NEXT) | instid1(VALU_DEP_1)
	v_div_scale_f32 v17, null, v16, v16, 1.0
	v_rcp_f32_e32 v18, v17
	s_wait_dscnt 0x0
	v_pk_add_f32 v[4:5], v[4:5], v[6:7] op_sel:[1,1] op_sel_hi:[0,0] neg_lo:[0,1] neg_hi:[0,1]
	s_delay_alu instid0(TRANS32_DEP_1) | instskip(NEXT) | instid1(VALU_DEP_2)
	v_fma_f32 v19, -v17, v18, 1.0
	v_pk_mul_f32 v[6:7], v[2:3], v[4:5] op_sel:[0,1] op_sel_hi:[0,0] neg_lo:[0,1]
	s_delay_alu instid0(VALU_DEP_2) | instskip(SKIP_1) | instid1(VALU_DEP_3)
	v_fmac_f32_e32 v18, v19, v18
	v_div_scale_f32 v20, vcc_lo, 1.0, v16, 1.0
	v_pk_fma_f32 v[4:5], v[4:5], v[0:1], v[6:7] op_sel_hi:[1,0,1]
	s_delay_alu instid0(VALU_DEP_2) | instskip(NEXT) | instid1(VALU_DEP_1)
	v_mul_f32_e32 v19, v20, v18
	v_fma_f32 v21, -v17, v19, v20
	s_delay_alu instid0(VALU_DEP_1) | instskip(NEXT) | instid1(VALU_DEP_1)
	v_fmac_f32_e32 v19, v21, v18
	v_fma_f32 v17, -v17, v19, v20
	s_delay_alu instid0(VALU_DEP_1) | instskip(NEXT) | instid1(VALU_DEP_1)
	v_div_fmas_f32 v2, v17, v18, v19
	v_div_fixup_f32 v0, v2, v16, 1.0
	s_delay_alu instid0(VALU_DEP_1) | instskip(NEXT) | instid1(VALU_DEP_1)
	v_pk_mul_f32 v[4:5], v[0:1], v[4:5] op_sel_hi:[0,1]
	v_dual_mov_b32 v6, v5 :: v_dual_mov_b32 v7, v4
	ds_store_b64 v14, v[6:7] offset:32
	s_wait_storecnt_dscnt 0x0
	ds_load_b64 v[6:7], v13 offset:32
	ds_load_b64 v[16:17], v12
	s_wait_dscnt 0x0
	v_pk_fma_f32 v[16:17], v[4:5], v[6:7], v[16:17] op_sel:[1,0,0] op_sel_hi:[0,0,1]
	s_delay_alu instid0(VALU_DEP_1)
	v_pk_fma_f32 v[4:5], v[4:5], v[6:7], v[16:17] op_sel:[0,1,0] neg_hi:[0,1,0]
	ds_store_b64 v12, v[4:5]
.LBB45_140:
	s_or_b32 exec_lo, exec_lo, s1
	s_delay_alu instid0(SALU_CYCLE_1)
	s_mov_b32 s1, exec_lo
	s_wait_storecnt_dscnt 0x0
	v_cmpx_eq_u32_e32 5, v9
	s_cbranch_execz .LBB45_148
; %bb.141:
	v_mov_b32_e32 v0, 0
	ds_load_2addr_b64 v[4:7], v0 offset0:124 offset1:166
	s_wait_dscnt 0x0
	v_readfirstlane_b32 s13, v6
	v_readfirstlane_b32 s14, v4
	v_readfirstlane_b32 s15, v5
	s_sub_f32 s13, s14, s13
	v_readfirstlane_b32 s14, v7
	s_delay_alu instid0(SALU_CYCLE_2) | instskip(SKIP_4) | instid1(SALU_CYCLE_1)
	s_xor_b32 s19, s13, 0x80000000
	s_cmp_lt_f32 s13, 0
	s_sub_f32 s18, s15, s14
	s_mov_b32 s15, 0
	s_cselect_b32 s13, s19, s13
	s_xor_b32 s14, s18, 0x80000000
	s_cmp_lt_f32 s18, 0
	s_cselect_b32 s14, s14, s18
	s_delay_alu instid0(SALU_CYCLE_1)
	s_cmp_gt_f32 s13, s14
	s_cbranch_scc1 .LBB45_145
; %bb.142:
	s_cmp_eq_f32 s18, 0
	s_cbranch_scc1 .LBB45_144
; %bb.143:
	v_div_scale_f32 v0, null, s14, s14, s13
	v_div_scale_f32 v5, vcc_lo, s13, s14, s13
	s_delay_alu instid0(VALU_DEP_2)
	v_rcp_f32_e32 v2, v0
	v_nop
	v_xor_b32_e32 v0, 0x80000000, v0
	s_delay_alu instid0(TRANS32_DEP_1) | instid1(VALU_DEP_1)
	v_fma_f32 v4, v0, v2, 1.0
	s_delay_alu instid0(VALU_DEP_1) | instskip(NEXT) | instid1(VALU_DEP_1)
	v_fmac_f32_e32 v2, v4, v2
	v_mul_f32_e32 v4, v5, v2
	s_delay_alu instid0(VALU_DEP_1) | instskip(NEXT) | instid1(VALU_DEP_1)
	v_fma_f32 v6, v0, v4, v5
	v_fmac_f32_e32 v4, v6, v2
	s_delay_alu instid0(VALU_DEP_1) | instskip(NEXT) | instid1(VALU_DEP_1)
	v_fmac_f32_e32 v5, v0, v4
	v_div_fmas_f32 v0, v5, v2, v4
	s_delay_alu instid0(VALU_DEP_1) | instskip(NEXT) | instid1(VALU_DEP_1)
	v_div_fixup_f32 v0, v0, s14, s13
	v_readfirstlane_b32 s15, v0
	s_fmaak_f32 s15, s15, s15, 0x3f800000
	s_delay_alu instid0(SALU_CYCLE_3) | instskip(SKIP_1) | instid1(SALU_CYCLE_2)
	s_mul_f32 s18, s15, 0x4f800000
	s_cmp_lt_f32 s15, 0xf800000
	s_cselect_b32 s18, s18, s15
	s_delay_alu instid0(SALU_CYCLE_1) | instskip(SKIP_1) | instid1(TRANS32_DEP_1)
	v_s_sqrt_f32 s19, s18
	s_mov_b32 s21, s18
	s_add_co_i32 s20, s19, -1
	s_delay_alu instid0(SALU_CYCLE_1) | instskip(NEXT) | instid1(SALU_CYCLE_1)
	s_xor_b32 s22, s20, 0x80000000
	s_fmac_f32 s21, s22, s19
	s_mov_b32 s22, s18
	s_delay_alu instid0(SALU_CYCLE_2) | instskip(SKIP_2) | instid1(SALU_CYCLE_1)
	s_cmp_le_f32 s21, 0
	s_cselect_b32 s20, s20, s19
	s_add_co_i32 s21, s19, 1
	s_xor_b32 s23, s21, 0x80000000
	s_delay_alu instid0(SALU_CYCLE_1) | instskip(NEXT) | instid1(SALU_CYCLE_3)
	s_fmac_f32 s22, s23, s19
	s_cmp_gt_f32 s22, 0
	s_cselect_b32 s19, s21, s20
	s_cmp_lt_f32 s15, 0xf800000
	s_mul_f32 s15, s19, 0x37800000
	v_cmp_class_f32_e64 s20, s18, 0x260
	s_delay_alu instid0(SALU_CYCLE_2) | instskip(SKIP_2) | instid1(SALU_CYCLE_1)
	s_cselect_b32 s15, s15, s19
	s_and_b32 s19, s20, exec_lo
	s_cselect_b32 s15, s18, s15
	s_mul_f32 s15, s14, s15
.LBB45_144:
	s_cbranch_execz .LBB45_146
	s_branch .LBB45_147
.LBB45_145:
                                        ; implicit-def: $sgpr15
.LBB45_146:
	v_div_scale_f32 v0, null, s13, s13, s14
	v_div_scale_f32 v5, vcc_lo, s14, s13, s14
	s_delay_alu instid0(VALU_DEP_2)
	v_rcp_f32_e32 v2, v0
	v_nop
	v_xor_b32_e32 v0, 0x80000000, v0
	s_delay_alu instid0(TRANS32_DEP_1) | instid1(VALU_DEP_1)
	v_fma_f32 v4, v0, v2, 1.0
	s_delay_alu instid0(VALU_DEP_1) | instskip(NEXT) | instid1(VALU_DEP_1)
	v_fmac_f32_e32 v2, v4, v2
	v_mul_f32_e32 v4, v5, v2
	s_delay_alu instid0(VALU_DEP_1) | instskip(NEXT) | instid1(VALU_DEP_1)
	v_fma_f32 v6, v0, v4, v5
	v_fmac_f32_e32 v4, v6, v2
	s_delay_alu instid0(VALU_DEP_1) | instskip(NEXT) | instid1(VALU_DEP_1)
	v_fmac_f32_e32 v5, v0, v4
	v_div_fmas_f32 v0, v5, v2, v4
	s_delay_alu instid0(VALU_DEP_1) | instskip(NEXT) | instid1(VALU_DEP_1)
	v_div_fixup_f32 v0, v0, s13, s14
	v_readfirstlane_b32 s14, v0
	s_fmaak_f32 s14, s14, s14, 0x3f800000
	s_delay_alu instid0(SALU_CYCLE_3) | instskip(SKIP_1) | instid1(SALU_CYCLE_2)
	s_mul_f32 s15, s14, 0x4f800000
	s_cmp_lt_f32 s14, 0xf800000
	s_cselect_b32 s15, s15, s14
	s_delay_alu instid0(SALU_CYCLE_1) | instskip(SKIP_1) | instid1(TRANS32_DEP_1)
	v_s_sqrt_f32 s18, s15
	s_mov_b32 s20, s15
	s_add_co_i32 s19, s18, -1
	s_delay_alu instid0(SALU_CYCLE_1) | instskip(NEXT) | instid1(SALU_CYCLE_1)
	s_xor_b32 s21, s19, 0x80000000
	s_fmac_f32 s20, s21, s18
	s_mov_b32 s21, s15
	s_delay_alu instid0(SALU_CYCLE_2) | instskip(SKIP_2) | instid1(SALU_CYCLE_1)
	s_cmp_le_f32 s20, 0
	s_cselect_b32 s19, s19, s18
	s_add_co_i32 s20, s18, 1
	s_xor_b32 s22, s20, 0x80000000
	s_delay_alu instid0(SALU_CYCLE_1) | instskip(NEXT) | instid1(SALU_CYCLE_3)
	s_fmac_f32 s21, s22, s18
	s_cmp_gt_f32 s21, 0
	s_cselect_b32 s18, s20, s19
	s_cmp_lt_f32 s14, 0xf800000
	s_mul_f32 s14, s18, 0x37800000
	v_cmp_class_f32_e64 s19, s15, 0x260
	s_delay_alu instid0(SALU_CYCLE_2) | instskip(SKIP_2) | instid1(SALU_CYCLE_1)
	s_cselect_b32 s14, s14, s18
	s_and_b32 s18, s19, exec_lo
	s_cselect_b32 s14, s15, s14
	s_mul_f32 s15, s13, s14
.LBB45_147:
	s_delay_alu instid0(SALU_CYCLE_3) | instskip(SKIP_2) | instid1(SALU_CYCLE_1)
	s_mul_f32 s13, s15, 0x4f800000
	s_cmp_lt_f32 s15, 0xf800000
	v_mov_b32_e32 v5, 0
	s_cselect_b32 s13, s13, s15
	s_delay_alu instid0(SALU_CYCLE_1) | instskip(SKIP_1) | instid1(TRANS32_DEP_1)
	v_s_sqrt_f32 s14, s13
	s_mov_b32 s19, s13
	s_add_co_i32 s18, s14, -1
	s_delay_alu instid0(SALU_CYCLE_1) | instskip(NEXT) | instid1(SALU_CYCLE_1)
	s_xor_b32 s20, s18, 0x80000000
	s_fmac_f32 s19, s20, s14
	s_mov_b32 s20, s13
	s_delay_alu instid0(SALU_CYCLE_2) | instskip(SKIP_2) | instid1(SALU_CYCLE_1)
	s_cmp_le_f32 s19, 0
	s_cselect_b32 s18, s18, s14
	s_add_co_i32 s19, s14, 1
	s_xor_b32 s21, s19, 0x80000000
	s_delay_alu instid0(SALU_CYCLE_1) | instskip(SKIP_1) | instid1(SALU_CYCLE_2)
	s_fmac_f32 s20, s21, s14
	v_cmp_class_f32_e64 s14, s13, 0x260
	s_cmp_gt_f32 s20, 0
	s_cselect_b32 s18, s19, s18
	s_cmp_lt_f32 s15, 0xf800000
	s_mul_f32 s15, s18, 0x37800000
	s_delay_alu instid0(SALU_CYCLE_3) | instskip(SKIP_2) | instid1(SALU_CYCLE_1)
	s_cselect_b32 s15, s15, s18
	s_and_b32 s14, s14, exec_lo
	s_cselect_b32 s13, s13, s15
	v_mov_b32_e32 v4, s13
	ds_store_b64 v5, v[4:5] offset:992
.LBB45_148:
	s_or_b32 exec_lo, exec_lo, s1
	v_mov_b32_e32 v0, 0
	s_wait_dscnt 0x0
	ds_load_b64 v[4:5], v0 offset:992
	s_wait_dscnt 0x0
	v_readfirstlane_b32 s1, v4
	v_readfirstlane_b32 s13, v5
	s_cmp_neq_f32 s1, 0
	s_cselect_b32 s14, -1, 0
	s_cmp_neq_f32 s13, 0
	s_cselect_b32 s15, -1, 0
	s_delay_alu instid0(SALU_CYCLE_1) | instskip(NEXT) | instid1(SALU_CYCLE_1)
	s_or_b32 s14, s14, s15
	s_nor_b32 s15, s14, s0
	s_and_b32 s0, s14, exec_lo
	s_cselect_b32 s0, s1, 1.0
	s_cselect_b32 s1, s13, 0
	s_delay_alu instid0(SALU_CYCLE_1)
	v_dual_mov_b32 v0, s0 :: v_dual_mov_b32 v2, s1
	s_and_saveexec_b32 s0, s15
	s_cbranch_execz .LBB45_152
; %bb.149:
	v_mbcnt_lo_u32_b32 v0, exec_lo, 0
	s_mov_b32 s1, exec_lo
	s_delay_alu instid0(VALU_DEP_1)
	v_cmpx_eq_u32_e32 0, v0
	s_cbranch_execz .LBB45_151
; %bb.150:
	v_dual_mov_b32 v0, 0 :: v_dual_mov_b32 v2, s12
	global_atomic_min_i32 v0, v2, s[10:11] scope:SCOPE_DEV
.LBB45_151:
	s_wait_xcnt 0x0
	s_or_b32 exec_lo, exec_lo, s1
	v_dual_mov_b32 v2, 0 :: v_dual_mov_b32 v0, 1.0
.LBB45_152:
	s_or_b32 exec_lo, exec_lo, s0
	s_delay_alu instid0(SALU_CYCLE_1)
	s_mov_b32 s0, exec_lo
	v_cmpx_lt_u32_e32 5, v9
	s_cbranch_execz .LBB45_154
; %bb.153:
	v_mul_f32_e32 v16, v2, v2
	ds_load_b64 v[4:5], v14 offset:40
	ds_load_b64 v[6:7], v15 offset:40
	v_fmac_f32_e32 v16, v0, v0
	s_delay_alu instid0(VALU_DEP_1) | instskip(NEXT) | instid1(VALU_DEP_1)
	v_div_scale_f32 v17, null, v16, v16, 1.0
	v_rcp_f32_e32 v18, v17
	s_wait_dscnt 0x0
	v_pk_add_f32 v[4:5], v[4:5], v[6:7] op_sel:[1,1] op_sel_hi:[0,0] neg_lo:[0,1] neg_hi:[0,1]
	s_delay_alu instid0(TRANS32_DEP_1) | instskip(NEXT) | instid1(VALU_DEP_2)
	v_fma_f32 v19, -v17, v18, 1.0
	v_pk_mul_f32 v[6:7], v[2:3], v[4:5] op_sel:[0,1] op_sel_hi:[0,0] neg_lo:[0,1]
	s_delay_alu instid0(VALU_DEP_2) | instskip(SKIP_1) | instid1(VALU_DEP_3)
	v_fmac_f32_e32 v18, v19, v18
	v_div_scale_f32 v15, vcc_lo, 1.0, v16, 1.0
	v_pk_fma_f32 v[4:5], v[4:5], v[0:1], v[6:7] op_sel_hi:[1,0,1]
	s_delay_alu instid0(VALU_DEP_2) | instskip(NEXT) | instid1(VALU_DEP_1)
	v_mul_f32_e32 v19, v15, v18
	v_fma_f32 v20, -v17, v19, v15
	s_delay_alu instid0(VALU_DEP_1) | instskip(NEXT) | instid1(VALU_DEP_1)
	v_fmac_f32_e32 v19, v20, v18
	v_fma_f32 v15, -v17, v19, v15
	s_delay_alu instid0(VALU_DEP_1) | instskip(NEXT) | instid1(VALU_DEP_1)
	v_div_fmas_f32 v2, v15, v18, v19
	v_div_fixup_f32 v0, v2, v16, 1.0
	s_delay_alu instid0(VALU_DEP_1) | instskip(NEXT) | instid1(VALU_DEP_1)
	v_pk_mul_f32 v[4:5], v[0:1], v[4:5] op_sel_hi:[0,1]
	v_dual_mov_b32 v6, v5 :: v_dual_mov_b32 v7, v4
	ds_store_b64 v14, v[6:7] offset:40
	s_wait_storecnt_dscnt 0x0
	ds_load_b64 v[6:7], v13 offset:40
	ds_load_b64 v[14:15], v12
	s_wait_dscnt 0x0
	v_pk_fma_f32 v[14:15], v[4:5], v[6:7], v[14:15] op_sel:[1,0,0] op_sel_hi:[0,0,1]
	s_delay_alu instid0(VALU_DEP_1)
	v_pk_fma_f32 v[4:5], v[4:5], v[6:7], v[14:15] op_sel:[0,1,0] neg_hi:[0,1,0]
	ds_store_b64 v12, v[4:5]
.LBB45_154:
	s_or_b32 exec_lo, exec_lo, s0
	s_delay_alu instid0(SALU_CYCLE_1)
	s_and_not1_b32 vcc_lo, exec_lo, s5
	s_wait_storecnt_dscnt 0x0
	s_cbranch_vccnz .LBB45_156
; %bb.155:
	v_mov_b32_e32 v10, v11
.LBB45_156:
	ds_load_b64 v[0:1], v1
	v_add_nc_u32_e32 v2, s4, v10
	s_mov_b32 s0, 0
	s_mov_b32 s1, exec_lo
	s_wait_dscnt 0x0
	global_store_b64 v2, v[0:1], s[16:17] scale_offset
	s_wait_xcnt 0x0
	v_cmpx_eq_u32_e32 0, v3
	s_cbranch_execz .LBB45_158
; %bb.157:
	v_dual_mov_b32 v0, 0 :: v_dual_mov_b32 v1, 1
	s_add_nc_u64 s[4:5], s[6:7], s[2:3]
	global_wb scope:SCOPE_DEV
	s_wait_storecnt 0x0
	global_store_b32 v0, v1, s[4:5] scope:SCOPE_DEV
.LBB45_158:
	s_wait_xcnt 0x0
	s_or_b32 exec_lo, exec_lo, s1
	s_delay_alu instid0(SALU_CYCLE_1)
	s_and_b32 vcc_lo, exec_lo, s0
	s_cbranch_vccz .LBB45_74
.LBB45_159:
	v_or_b32_e32 v0, v8, v9
	s_mov_b32 s0, exec_lo
	s_delay_alu instid0(VALU_DEP_1)
	v_cmpx_eq_u32_e32 0, v0
	s_cbranch_execz .LBB45_74
; %bb.160:
	v_mbcnt_lo_u32_b32 v0, exec_lo, 0
	s_mov_b32 s0, exec_lo
	s_delay_alu instid0(VALU_DEP_1)
	v_cmpx_eq_u32_e32 0, v0
	s_cbranch_execz .LBB45_162
; %bb.161:
	s_add_co_i32 s1, s8, s9
	s_delay_alu instid0(SALU_CYCLE_1)
	v_dual_mov_b32 v0, 0 :: v_dual_mov_b32 v1, s1
	global_atomic_min_i32 v0, v1, s[10:11] scope:SCOPE_DEV
.LBB45_162:
	s_wait_xcnt 0x0
	s_or_b32 exec_lo, exec_lo, s0
	v_dual_mov_b32 v0, 0 :: v_dual_mov_b32 v1, 1
	s_add_nc_u64 s[0:1], s[6:7], s[2:3]
	global_wb scope:SCOPE_DEV
	s_wait_storecnt 0x0
	global_store_b32 v0, v1, s[0:1] scope:SCOPE_DEV
	s_endpgm
	.section	.rodata,"a",@progbits
	.p2align	6, 0x0
	.amdhsa_kernel _ZN9rocsparseL26bsric0_2_8_unrolled_kernelILi36ELi32ELi6E21rocsparse_complex_numIfEEEv20rocsparse_direction_iiPKiS5_PT2_S5_PiS5_S8_21rocsparse_index_base_
		.amdhsa_group_segment_fixed_size 1728
		.amdhsa_private_segment_fixed_size 0
		.amdhsa_kernarg_size 76
		.amdhsa_user_sgpr_count 2
		.amdhsa_user_sgpr_dispatch_ptr 0
		.amdhsa_user_sgpr_queue_ptr 0
		.amdhsa_user_sgpr_kernarg_segment_ptr 1
		.amdhsa_user_sgpr_dispatch_id 0
		.amdhsa_user_sgpr_kernarg_preload_length 0
		.amdhsa_user_sgpr_kernarg_preload_offset 0
		.amdhsa_user_sgpr_private_segment_size 0
		.amdhsa_wavefront_size32 1
		.amdhsa_uses_dynamic_stack 0
		.amdhsa_enable_private_segment 0
		.amdhsa_system_sgpr_workgroup_id_x 1
		.amdhsa_system_sgpr_workgroup_id_y 0
		.amdhsa_system_sgpr_workgroup_id_z 0
		.amdhsa_system_sgpr_workgroup_info 0
		.amdhsa_system_vgpr_workitem_id 1
		.amdhsa_next_free_vgpr 48
		.amdhsa_next_free_sgpr 37
		.amdhsa_named_barrier_count 0
		.amdhsa_reserve_vcc 1
		.amdhsa_float_round_mode_32 0
		.amdhsa_float_round_mode_16_64 0
		.amdhsa_float_denorm_mode_32 3
		.amdhsa_float_denorm_mode_16_64 3
		.amdhsa_fp16_overflow 0
		.amdhsa_memory_ordered 1
		.amdhsa_forward_progress 1
		.amdhsa_inst_pref_size 108
		.amdhsa_round_robin_scheduling 0
		.amdhsa_exception_fp_ieee_invalid_op 0
		.amdhsa_exception_fp_denorm_src 0
		.amdhsa_exception_fp_ieee_div_zero 0
		.amdhsa_exception_fp_ieee_overflow 0
		.amdhsa_exception_fp_ieee_underflow 0
		.amdhsa_exception_fp_ieee_inexact 0
		.amdhsa_exception_int_div_zero 0
	.end_amdhsa_kernel
	.section	.text._ZN9rocsparseL26bsric0_2_8_unrolled_kernelILi36ELi32ELi6E21rocsparse_complex_numIfEEEv20rocsparse_direction_iiPKiS5_PT2_S5_PiS5_S8_21rocsparse_index_base_,"axG",@progbits,_ZN9rocsparseL26bsric0_2_8_unrolled_kernelILi36ELi32ELi6E21rocsparse_complex_numIfEEEv20rocsparse_direction_iiPKiS5_PT2_S5_PiS5_S8_21rocsparse_index_base_,comdat
.Lfunc_end45:
	.size	_ZN9rocsparseL26bsric0_2_8_unrolled_kernelILi36ELi32ELi6E21rocsparse_complex_numIfEEEv20rocsparse_direction_iiPKiS5_PT2_S5_PiS5_S8_21rocsparse_index_base_, .Lfunc_end45-_ZN9rocsparseL26bsric0_2_8_unrolled_kernelILi36ELi32ELi6E21rocsparse_complex_numIfEEEv20rocsparse_direction_iiPKiS5_PT2_S5_PiS5_S8_21rocsparse_index_base_
                                        ; -- End function
	.set _ZN9rocsparseL26bsric0_2_8_unrolled_kernelILi36ELi32ELi6E21rocsparse_complex_numIfEEEv20rocsparse_direction_iiPKiS5_PT2_S5_PiS5_S8_21rocsparse_index_base_.num_vgpr, 48
	.set _ZN9rocsparseL26bsric0_2_8_unrolled_kernelILi36ELi32ELi6E21rocsparse_complex_numIfEEEv20rocsparse_direction_iiPKiS5_PT2_S5_PiS5_S8_21rocsparse_index_base_.num_agpr, 0
	.set _ZN9rocsparseL26bsric0_2_8_unrolled_kernelILi36ELi32ELi6E21rocsparse_complex_numIfEEEv20rocsparse_direction_iiPKiS5_PT2_S5_PiS5_S8_21rocsparse_index_base_.numbered_sgpr, 37
	.set _ZN9rocsparseL26bsric0_2_8_unrolled_kernelILi36ELi32ELi6E21rocsparse_complex_numIfEEEv20rocsparse_direction_iiPKiS5_PT2_S5_PiS5_S8_21rocsparse_index_base_.num_named_barrier, 0
	.set _ZN9rocsparseL26bsric0_2_8_unrolled_kernelILi36ELi32ELi6E21rocsparse_complex_numIfEEEv20rocsparse_direction_iiPKiS5_PT2_S5_PiS5_S8_21rocsparse_index_base_.private_seg_size, 0
	.set _ZN9rocsparseL26bsric0_2_8_unrolled_kernelILi36ELi32ELi6E21rocsparse_complex_numIfEEEv20rocsparse_direction_iiPKiS5_PT2_S5_PiS5_S8_21rocsparse_index_base_.uses_vcc, 1
	.set _ZN9rocsparseL26bsric0_2_8_unrolled_kernelILi36ELi32ELi6E21rocsparse_complex_numIfEEEv20rocsparse_direction_iiPKiS5_PT2_S5_PiS5_S8_21rocsparse_index_base_.uses_flat_scratch, 0
	.set _ZN9rocsparseL26bsric0_2_8_unrolled_kernelILi36ELi32ELi6E21rocsparse_complex_numIfEEEv20rocsparse_direction_iiPKiS5_PT2_S5_PiS5_S8_21rocsparse_index_base_.has_dyn_sized_stack, 0
	.set _ZN9rocsparseL26bsric0_2_8_unrolled_kernelILi36ELi32ELi6E21rocsparse_complex_numIfEEEv20rocsparse_direction_iiPKiS5_PT2_S5_PiS5_S8_21rocsparse_index_base_.has_recursion, 0
	.set _ZN9rocsparseL26bsric0_2_8_unrolled_kernelILi36ELi32ELi6E21rocsparse_complex_numIfEEEv20rocsparse_direction_iiPKiS5_PT2_S5_PiS5_S8_21rocsparse_index_base_.has_indirect_call, 0
	.section	.AMDGPU.csdata,"",@progbits
; Kernel info:
; codeLenInByte = 13812
; TotalNumSgprs: 39
; NumVgprs: 48
; ScratchSize: 0
; MemoryBound: 0
; FloatMode: 240
; IeeeMode: 1
; LDSByteSize: 1728 bytes/workgroup (compile time only)
; SGPRBlocks: 0
; VGPRBlocks: 2
; NumSGPRsForWavesPerEU: 39
; NumVGPRsForWavesPerEU: 48
; NamedBarCnt: 0
; Occupancy: 16
; WaveLimiterHint : 1
; COMPUTE_PGM_RSRC2:SCRATCH_EN: 0
; COMPUTE_PGM_RSRC2:USER_SGPR: 2
; COMPUTE_PGM_RSRC2:TRAP_HANDLER: 0
; COMPUTE_PGM_RSRC2:TGID_X_EN: 1
; COMPUTE_PGM_RSRC2:TGID_Y_EN: 0
; COMPUTE_PGM_RSRC2:TGID_Z_EN: 0
; COMPUTE_PGM_RSRC2:TIDIG_COMP_CNT: 1
	.section	.text._ZN9rocsparseL26bsric0_2_8_unrolled_kernelILi49ELi32ELi7E21rocsparse_complex_numIfEEEv20rocsparse_direction_iiPKiS5_PT2_S5_PiS5_S8_21rocsparse_index_base_,"axG",@progbits,_ZN9rocsparseL26bsric0_2_8_unrolled_kernelILi49ELi32ELi7E21rocsparse_complex_numIfEEEv20rocsparse_direction_iiPKiS5_PT2_S5_PiS5_S8_21rocsparse_index_base_,comdat
	.globl	_ZN9rocsparseL26bsric0_2_8_unrolled_kernelILi49ELi32ELi7E21rocsparse_complex_numIfEEEv20rocsparse_direction_iiPKiS5_PT2_S5_PiS5_S8_21rocsparse_index_base_ ; -- Begin function _ZN9rocsparseL26bsric0_2_8_unrolled_kernelILi49ELi32ELi7E21rocsparse_complex_numIfEEEv20rocsparse_direction_iiPKiS5_PT2_S5_PiS5_S8_21rocsparse_index_base_
	.p2align	8
	.type	_ZN9rocsparseL26bsric0_2_8_unrolled_kernelILi49ELi32ELi7E21rocsparse_complex_numIfEEEv20rocsparse_direction_iiPKiS5_PT2_S5_PiS5_S8_21rocsparse_index_base_,@function
_ZN9rocsparseL26bsric0_2_8_unrolled_kernelILi49ELi32ELi7E21rocsparse_complex_numIfEEEv20rocsparse_direction_iiPKiS5_PT2_S5_PiS5_S8_21rocsparse_index_base_: ; @_ZN9rocsparseL26bsric0_2_8_unrolled_kernelILi49ELi32ELi7E21rocsparse_complex_numIfEEEv20rocsparse_direction_iiPKiS5_PT2_S5_PiS5_S8_21rocsparse_index_base_
; %bb.0:
	s_load_b256 s[4:11], s[0:1], 0x28
	s_bfe_u32 s2, ttmp6, 0x4000c
	s_and_b32 s3, ttmp6, 15
	s_add_co_i32 s2, s2, 1
	s_getreg_b32 s12, hwreg(HW_REG_IB_STS2, 6, 4)
	s_mul_i32 s2, ttmp9, s2
	v_and_b32_e32 v8, 0x3ff, v0
	s_add_co_i32 s3, s3, s2
	s_cmp_eq_u32 s12, 0
	v_bfe_u32 v9, v0, 10, 10
	s_cselect_b32 s2, ttmp9, s3
	s_wait_kmcnt 0x0
	s_load_b32 s8, s[8:9], s2 offset:0x0 scale_offset
	s_wait_kmcnt 0x0
	s_ashr_i32 s9, s8, 31
	s_delay_alu instid0(SALU_CYCLE_1) | instskip(NEXT) | instid1(SALU_CYCLE_1)
	s_lshl_b64 s[2:3], s[8:9], 2
	s_add_nc_u64 s[12:13], s[4:5], s[2:3]
	s_load_b32 s26, s[12:13], 0x0
	s_load_b32 s9, s[0:1], 0x48
	s_wait_kmcnt 0x0
	s_cmp_lg_u32 s26, -1
	s_cbranch_scc0 .LBB46_77
; %bb.1:
	s_clause 0x1
	s_load_b128 s[12:15], s[0:1], 0x10
	s_load_b64 s[16:17], s[0:1], 0x20
	v_mad_u32_u24 v10, v9, 7, v8
	v_mul_u32_u24_e32 v15, 7, v9
	s_wait_kmcnt 0x0
	s_add_nc_u64 s[18:19], s[12:13], s[2:3]
	s_load_b32 s19, s[18:19], 0x0
	s_wait_xcnt 0x0
	s_mov_b32 s18, exec_lo
	s_wait_kmcnt 0x0
	s_sub_co_i32 s27, s19, s9
	s_delay_alu instid0(SALU_CYCLE_1) | instskip(NEXT) | instid1(VALU_DEP_1)
	v_add_nc_u32_e32 v0, s27, v10
	v_cmpx_ge_i32_e64 s26, v0
	s_cbranch_execz .LBB46_14
; %bb.2:
	v_add_nc_u32_e32 v1, s19, v8
	s_add_co_i32 s20, s26, 1
	s_mov_b32 s21, -1
	s_delay_alu instid0(VALU_DEP_1) | instskip(NEXT) | instid1(VALU_DEP_1)
	v_add_nc_u32_e32 v2, v1, v15
	v_subrev_nc_u32_e32 v2, s9, v2
	s_delay_alu instid0(VALU_DEP_1) | instskip(SKIP_1) | instid1(VALU_DEP_1)
	v_add_max_i32_e64 v2, v2, 49, s20
	s_mov_b32 s20, exec_lo
	v_add_nc_u32_e32 v2, s9, v2
	s_delay_alu instid0(VALU_DEP_1) | instskip(NEXT) | instid1(VALU_DEP_1)
	v_sub_nc_u32_e32 v1, v2, v1
	v_subrev_nc_u32_e32 v1, 49, v1
	s_delay_alu instid0(VALU_DEP_1) | instskip(SKIP_1) | instid1(VALU_DEP_1)
	v_cmp_ne_u32_e32 vcc_lo, v1, v15
	v_add_co_ci_u32_e64 v2, null, 0, v15, vcc_lo
	v_sub_nc_u32_e32 v1, v1, v2
	s_delay_alu instid0(VALU_DEP_1) | instskip(NEXT) | instid1(VALU_DEP_1)
	v_mul_hi_u32 v1, 0x5397829d, v1
	v_lshrrev_b32_e32 v1, 4, v1
	s_delay_alu instid0(VALU_DEP_1) | instskip(NEXT) | instid1(VALU_DEP_1)
	v_add_co_ci_u32_e64 v4, null, 0, v1, vcc_lo
	v_cmpx_ne_u32_e32 0, v4
	s_cbranch_execz .LBB46_11
; %bb.3:
	v_add_nc_u32_e32 v1, -1, v4
	s_mov_b32 s21, exec_lo
	s_delay_alu instid0(VALU_DEP_1) | instskip(NEXT) | instid1(VALU_DEP_1)
	v_dual_lshrrev_b32 v2, 1, v1 :: v_dual_add_nc_u32 v1, 49, v0
	v_add_nc_u32_e32 v5, 1, v2
	s_delay_alu instid0(VALU_DEP_2)
	v_mov_b64_e32 v[2:3], v[0:1]
	v_cmpx_lt_u32_e32 14, v4
	s_cbranch_execz .LBB46_7
; %bb.4:
	v_mov_b64_e32 v[2:3], v[0:1]
	v_and_b32_e32 v6, -8, v5
	s_mov_b32 s22, 0
.LBB46_5:                               ; =>This Inner Loop Header: Depth=1
	s_clause 0x1
	global_load_b32 v1, v2, s[14:15] scale_offset
	global_load_b32 v7, v3, s[14:15] scale_offset
	v_add_nc_u32_e32 v18, 0x188, v3
	v_add_nc_u32_e32 v16, 0x126, v3
	;; [unrolled: 1-line block ×14, first 2 shown]
	s_clause 0xd
	global_load_b32 v26, v18, s[14:15] scale_offset
	global_load_b32 v27, v16, s[14:15] scale_offset
	;; [unrolled: 1-line block ×14, first 2 shown]
	v_subrev_nc_u32_e32 v40, s27, v2
	v_subrev_nc_u32_e32 v41, s27, v3
	v_add_nc_u32_e32 v6, -8, v6
	s_wait_xcnt 0x9
	v_subrev_nc_u32_e32 v12, s27, v12
	v_subrev_nc_u32_e32 v11, s27, v11
	v_dual_lshlrev_b32 v40, 2, v40 :: v_dual_lshlrev_b32 v41, 2, v41
	s_wait_xcnt 0x8
	v_subrev_nc_u32_e32 v14, s27, v14
	v_subrev_nc_u32_e32 v13, s27, v13
	v_cmp_eq_u32_e32 vcc_lo, 0, v6
	s_wait_xcnt 0x7
	v_subrev_nc_u32_e32 v17, s27, v17
	v_add_nc_u32_e32 v3, 0x310, v3
	v_subrev_nc_u32_e32 v16, s27, v16
	v_subrev_nc_u32_e32 v18, s27, v18
	s_wait_xcnt 0x6
	v_subrev_nc_u32_e32 v19, s27, v19
	s_wait_xcnt 0x3
	v_subrev_nc_u32_e32 v20, s27, v20
	s_wait_xcnt 0x2
	v_subrev_nc_u32_e32 v21, s27, v21
	v_subrev_nc_u32_e32 v22, s27, v22
	s_wait_xcnt 0x1
	v_subrev_nc_u32_e32 v23, s27, v23
	v_subrev_nc_u32_e32 v24, s27, v24
	s_wait_xcnt 0x0
	v_subrev_nc_u32_e32 v25, s27, v25
	v_add_nc_u32_e32 v2, 0x310, v2
	v_dual_lshlrev_b32 v12, 2, v12 :: v_dual_lshlrev_b32 v11, 2, v11
	v_dual_lshlrev_b32 v14, 2, v14 :: v_dual_lshlrev_b32 v13, 2, v13
	v_lshlrev_b32_e32 v16, 2, v16
	s_or_b32 s22, vcc_lo, s22
	v_dual_lshlrev_b32 v17, 2, v17 :: v_dual_lshlrev_b32 v19, 2, v19
	v_dual_lshlrev_b32 v18, 2, v18 :: v_dual_lshlrev_b32 v21, 2, v21
	;; [unrolled: 1-line block ×4, first 2 shown]
	v_lshlrev_b32_e32 v24, 2, v24
	s_wait_loadcnt 0xf
	v_subrev_nc_u32_e32 v1, s9, v1
	s_wait_loadcnt 0xe
	v_subrev_nc_u32_e32 v7, s9, v7
	ds_store_b32 v40, v1 offset:2048
	ds_store_b32 v41, v7 offset:2048
	s_wait_loadcnt 0xa
	v_subrev_nc_u32_e32 v1, s9, v29
	s_wait_loadcnt 0x9
	v_subrev_nc_u32_e32 v7, s9, v30
	;; [unrolled: 2-line block ×3, first 2 shown]
	v_subrev_nc_u32_e32 v28, s9, v28
	s_wait_loadcnt 0x7
	v_subrev_nc_u32_e32 v30, s9, v32
	v_subrev_nc_u32_e32 v27, s9, v27
	;; [unrolled: 1-line block ×3, first 2 shown]
	s_wait_loadcnt 0x6
	v_subrev_nc_u32_e32 v31, s9, v33
	s_wait_loadcnt 0x3
	v_subrev_nc_u32_e32 v32, s9, v36
	;; [unrolled: 2-line block ×3, first 2 shown]
	v_subrev_nc_u32_e32 v35, s9, v35
	s_wait_loadcnt 0x1
	v_subrev_nc_u32_e32 v36, s9, v38
	v_subrev_nc_u32_e32 v34, s9, v34
	s_wait_loadcnt 0x0
	v_subrev_nc_u32_e32 v37, s9, v39
	ds_store_b32 v12, v7 offset:2048
	ds_store_b32 v11, v1 offset:2048
	;; [unrolled: 1-line block ×14, first 2 shown]
	s_and_not1_b32 exec_lo, exec_lo, s22
	s_cbranch_execnz .LBB46_5
; %bb.6:
	s_or_b32 exec_lo, exec_lo, s22
.LBB46_7:
	s_delay_alu instid0(SALU_CYCLE_1) | instskip(SKIP_3) | instid1(VALU_DEP_1)
	s_or_b32 exec_lo, exec_lo, s21
	v_and_b32_e32 v1, 7, v5
	s_mov_b32 s22, 0
	s_mov_b32 s21, exec_lo
	v_cmpx_ne_u32_e32 0, v1
	s_cbranch_execz .LBB46_10
; %bb.8:
	v_sub_nc_u32_e32 v1, 0, v1
.LBB46_9:                               ; =>This Inner Loop Header: Depth=1
	s_clause 0x1
	global_load_b32 v5, v3, s[14:15] scale_offset
	global_load_b32 v6, v2, s[14:15] scale_offset
	v_subrev_nc_u32_e32 v7, s27, v2
	v_subrev_nc_u32_e32 v11, s27, v3
	s_wait_xcnt 0x1
	v_add_nc_u32_e32 v3, 0x62, v3
	s_wait_xcnt 0x0
	v_add_nc_u32_e32 v2, 0x62, v2
	v_add_co_u32 v1, s23, v1, 1
	v_lshlrev_b32_e32 v7, 2, v7
	v_lshlrev_b32_e32 v11, 2, v11
	s_or_b32 s22, s23, s22
	s_wait_loadcnt 0x1
	v_subrev_nc_u32_e32 v5, s9, v5
	s_wait_loadcnt 0x0
	v_subrev_nc_u32_e32 v6, s9, v6
	ds_store_b32 v7, v6 offset:2048
	ds_store_b32 v11, v5 offset:2048
	s_and_not1_b32 exec_lo, exec_lo, s22
	s_cbranch_execnz .LBB46_9
.LBB46_10:
	s_or_b32 exec_lo, exec_lo, s21
	v_add_nc_u32_e32 v1, 1, v4
	s_delay_alu instid0(VALU_DEP_1) | instskip(NEXT) | instid1(VALU_DEP_1)
	v_and_b32_e32 v2, 0x1ffffffe, v1
	v_mad_u32 v0, v2, 49, v0
	v_cmp_ne_u32_e32 vcc_lo, v1, v2
	s_or_not1_b32 s21, vcc_lo, exec_lo
.LBB46_11:
	s_or_b32 exec_lo, exec_lo, s20
	s_delay_alu instid0(SALU_CYCLE_1)
	s_and_b32 exec_lo, exec_lo, s21
	s_cbranch_execz .LBB46_14
; %bb.12:
	s_delay_alu instid0(VALU_DEP_2) | instskip(NEXT) | instid1(VALU_DEP_1)
	v_add_nc_u32_e32 v1, s9, v0
	v_subrev_nc_u32_e32 v2, s19, v1
	v_ashrrev_i32_e32 v1, 31, v0
	s_mov_b32 s19, 0
	s_delay_alu instid0(VALU_DEP_2) | instskip(NEXT) | instid1(VALU_DEP_2)
	v_lshl_add_u32 v4, v2, 2, 0x800
	v_lshl_add_u64 v[2:3], v[0:1], 2, s[14:15]
.LBB46_13:                              ; =>This Inner Loop Header: Depth=1
	global_load_b32 v1, v[2:3], off
	v_add_nc_u32_e32 v0, 49, v0
	s_wait_xcnt 0x0
	v_add_nc_u64_e32 v[2:3], 0xc4, v[2:3]
	s_delay_alu instid0(VALU_DEP_2)
	v_cmp_lt_i32_e32 vcc_lo, s26, v0
	s_or_b32 s19, vcc_lo, s19
	s_wait_loadcnt 0x0
	v_subrev_nc_u32_e32 v1, s9, v1
	ds_store_b32 v4, v1
	v_add_nc_u32_e32 v4, 0xc4, v4
	s_and_not1_b32 exec_lo, exec_lo, s19
	s_cbranch_execnz .LBB46_13
.LBB46_14:
	s_or_b32 exec_lo, exec_lo, s18
	s_load_b32 s1, s[0:1], 0x0
	v_lshl_add_u32 v14, v9, 6, 0x540
	v_mov_b64_e32 v[0:1], 0
	v_mad_u32_u24 v11, v8, 7, v9
	v_lshl_add_u32 v13, v8, 6, 0x380
	s_cmp_ge_i32 s27, s26
	v_lshl_add_u32 v12, v8, 3, v14
	ds_store_b64 v12, v[0:1]
	s_wait_dscnt 0x0
	s_cbranch_scc1 .LBB46_70
; %bb.15:
	s_wait_kmcnt 0x0
	s_cmp_lg_u32 s1, 0
	v_dual_lshlrev_b32 v0, 6, v9 :: v_dual_lshlrev_b32 v2, 3, v8
	v_mad_u32_u24 v1, v8, 7, v9
	s_cselect_b32 s28, -1, 0
	s_cmp_eq_u32 s1, 0
	s_delay_alu instid0(VALU_DEP_2)
	v_dual_mov_b32 v23, 0 :: v_dual_add_nc_u32 v18, 0x1c0, v0
	s_cselect_b32 vcc_lo, -1, 0
	v_dual_cndmask_b32 v22, v1, v10 :: v_dual_add_nc_u32 v17, 0x380, v0
	v_or_b32_e32 v3, v8, v9
	v_mul_u32_u24_e32 v16, 7, v8
	v_dual_add_nc_u32 v20, v0, v2 :: v_dual_add_nc_u32 v21, v18, v2
	s_delay_alu instid0(VALU_DEP_4) | instskip(NEXT) | instid1(VALU_DEP_4)
	v_add_nc_u32_e32 v19, v17, v2
	v_cmp_ne_u32_e64 s0, 0, v3
	s_mov_b32 s18, s27
	s_branch .LBB46_19
.LBB46_16:                              ;   in Loop: Header=BB46_19 Depth=1
	s_wait_xcnt 0x0
	s_or_b32 exec_lo, exec_lo, s21
	v_dual_mov_b32 v6, 0 :: v_dual_mov_b32 v4, 1.0
.LBB46_17:                              ;   in Loop: Header=BB46_19 Depth=1
	s_or_b32 exec_lo, exec_lo, s20
	ds_load_b128 v[24:27], v23 offset:384
	ds_load_b64 v[40:41], v18 offset:48
	ds_load_b128 v[28:31], v17
	ds_load_b128 v[32:35], v17 offset:16
	ds_load_b128 v[36:39], v23 offset:400
	s_add_co_i32 s18, s18, 1
	v_mul_f32_e32 v5, v6, v6
	s_cmp_ge_i32 s18, s26
	s_cselect_b32 s24, -1, 0
	s_delay_alu instid0(VALU_DEP_1)
	v_fmac_f32_e32 v5, v4, v4
	s_wait_dscnt 0x2
	v_pk_fma_f32 v[40:41], v[24:25], v[28:29], v[40:41] op_sel_hi:[1,0,1]
	s_wait_dscnt 0x0
	v_dual_mov_b32 v42, v39 :: v_dual_mov_b32 v43, v38
	v_div_scale_f32 v7, null, v5, v5, 1.0
	s_delay_alu instid0(VALU_DEP_3) | instskip(SKIP_2) | instid1(VALU_DEP_3)
	v_pk_fma_f32 v[24:25], v[24:25], v[28:29], v[40:41] op_sel:[1,1,0] op_sel_hi:[0,1,1] neg_hi:[0,1,0]
	v_dual_mov_b32 v28, v27 :: v_dual_mov_b32 v29, v26
	v_mov_b32_e32 v40, v31
	v_pk_fma_f32 v[24:25], v[26:27], v[30:31], v[24:25] op_sel_hi:[1,0,1]
	s_delay_alu instid0(VALU_DEP_1) | instskip(SKIP_3) | instid1(VALU_DEP_1)
	v_pk_fma_f32 v[40:41], v[28:29], v[40:41], v[24:25] op_sel_hi:[1,0,1] neg_hi:[0,1,0]
	ds_load_b128 v[24:27], v17 offset:32
	ds_load_b128 v[28:31], v23 offset:416
	v_pk_fma_f32 v[40:41], v[36:37], v[32:33], v[40:41] op_sel_hi:[1,0,1]
	v_pk_fma_f32 v[32:33], v[36:37], v[32:33], v[40:41] op_sel:[0,1,1] op_sel_hi:[1,1,0] neg_lo:[0,1,0]
	v_rcp_f32_e32 v37, v7
	v_mov_b32_e32 v36, v35
	s_delay_alu instid0(VALU_DEP_2) | instskip(NEXT) | instid1(TRANS32_DEP_1)
	v_pk_fma_f32 v[32:33], v[42:43], v[34:35], v[32:33] op_sel_hi:[1,0,1]
	v_fma_f32 v34, -v7, v37, 1.0
	s_delay_alu instid0(VALU_DEP_2) | instskip(SKIP_2) | instid1(VALU_DEP_3)
	v_pk_fma_f32 v[32:33], v[38:39], v[36:37], v[32:33] op_sel_hi:[1,0,1] neg_lo:[0,1,0]
	v_div_scale_f32 v36, vcc_lo, 1.0, v5, 1.0
	s_wait_dscnt 0x0
	v_dual_fmac_f32 v37, v34, v37 :: v_dual_mov_b32 v34, v31
	s_delay_alu instid0(VALU_DEP_3) | instskip(NEXT) | instid1(VALU_DEP_2)
	v_pk_fma_f32 v[32:33], v[28:29], v[24:25], v[32:33] op_sel:[1,0,0] op_sel_hi:[0,0,1]
	v_dual_mov_b32 v35, v30 :: v_dual_mul_f32 v38, v36, v37
	s_delay_alu instid0(VALU_DEP_2) | instskip(SKIP_1) | instid1(VALU_DEP_3)
	v_pk_fma_f32 v[24:25], v[28:29], v[24:25], v[32:33] op_sel:[0,1,0] neg_lo:[0,1,0]
	v_mov_b32_e32 v28, v27
	v_fma_f32 v29, -v7, v38, v36
	s_delay_alu instid0(VALU_DEP_3) | instskip(SKIP_1) | instid1(VALU_DEP_3)
	v_pk_fma_f32 v[24:25], v[34:35], v[26:27], v[24:25] op_sel_hi:[1,0,1]
	v_dual_mov_b32 v26, v3 :: v_dual_mov_b32 v27, v2
	v_fmac_f32_e32 v38, v29, v37
	s_delay_alu instid0(VALU_DEP_3) | instskip(NEXT) | instid1(VALU_DEP_2)
	v_pk_fma_f32 v[2:3], v[30:31], v[28:29], v[24:25] op_sel_hi:[1,0,1] neg_lo:[0,1,0]
	v_fma_f32 v7, -v7, v38, v36
	s_delay_alu instid0(VALU_DEP_2) | instskip(NEXT) | instid1(VALU_DEP_2)
	v_pk_add_f32 v[2:3], v[26:27], v[2:3] neg_lo:[0,1] neg_hi:[0,1]
	v_div_fmas_f32 v24, v7, v37, v38
	s_delay_alu instid0(VALU_DEP_2) | instskip(NEXT) | instid1(VALU_DEP_2)
	v_pk_mul_f32 v[6:7], v[6:7], v[2:3] op_sel:[0,1] op_sel_hi:[0,0] neg_lo:[0,1]
	v_div_fixup_f32 v24, v24, v5, 1.0
	s_delay_alu instid0(VALU_DEP_2) | instskip(NEXT) | instid1(VALU_DEP_1)
	v_pk_fma_f32 v[2:3], v[2:3], v[4:5], v[6:7] op_sel_hi:[1,0,1]
	v_pk_mul_f32 v[2:3], v[24:25], v[2:3] op_sel_hi:[0,1]
	s_delay_alu instid0(VALU_DEP_1)
	v_dual_mov_b32 v4, v3 :: v_dual_mov_b32 v5, v2
	ds_store_b64 v17, v[4:5] offset:48
	s_wait_storecnt_dscnt 0x0
	ds_load_b64 v[4:5], v13 offset:48
	ds_load_b64 v[6:7], v12
	s_wait_dscnt 0x0
	v_pk_fma_f32 v[6:7], v[2:3], v[4:5], v[6:7] op_sel:[1,0,0] op_sel_hi:[0,0,1]
	s_delay_alu instid0(VALU_DEP_1)
	v_pk_fma_f32 v[2:3], v[2:3], v[4:5], v[6:7] op_sel:[0,1,0] neg_hi:[0,1,0]
	ds_store_b64 v12, v[2:3]
	s_wait_dscnt 0x0
	ds_load_b64 v[2:3], v19
	s_wait_dscnt 0x0
	global_store_b64 v[0:1], v[2:3], off
	global_wb scope:SCOPE_DEV
	s_wait_storecnt 0x0
	global_inv scope:SCOPE_DEV
.LBB46_18:                              ;   in Loop: Header=BB46_19 Depth=1
	s_and_b32 vcc_lo, exec_lo, s24
	s_cbranch_vccnz .LBB46_70
.LBB46_19:                              ; =>This Loop Header: Depth=1
                                        ;     Child Loop BB46_22 Depth 2
                                        ;     Child Loop BB46_33 Depth 2
	;; [unrolled: 1-line block ×3, first 2 shown]
	s_ashr_i32 s19, s18, 31
	s_delay_alu instid0(SALU_CYCLE_1) | instskip(NEXT) | instid1(SALU_CYCLE_1)
	s_lshl_b64 s[20:21], s[18:19], 2
	s_add_nc_u64 s[20:21], s[14:15], s[20:21]
	s_load_b32 s19, s[20:21], 0x0
	s_wait_kmcnt 0x0
	s_sub_co_i32 s22, s19, s9
	s_delay_alu instid0(SALU_CYCLE_1) | instskip(SKIP_2) | instid1(SALU_CYCLE_1)
	s_ashr_i32 s23, s22, 31
	s_wait_xcnt 0x0
	s_lshl_b64 s[20:21], s[22:23], 2
	s_add_nc_u64 s[24:25], s[4:5], s[20:21]
	s_load_b32 s23, s[24:25], 0x0
	s_wait_xcnt 0x0
	s_mov_b32 s24, -1
	s_wait_kmcnt 0x0
	s_cmp_eq_u32 s23, -1
	s_cbranch_scc1 .LBB46_18
; %bb.20:                               ;   in Loop: Header=BB46_19 Depth=1
	v_mad_u32 v0, s18, 49, v22
	s_add_nc_u64 s[24:25], s[12:13], s[20:21]
	ds_load_b32 v1, v23 offset:2048
	s_load_b32 s24, s[24:25], 0x0
	global_load_b64 v[2:3], v0, s[16:17] scale_offset
	s_wait_dscnt 0x0
	v_cmp_ge_i32_e32 vcc_lo, s22, v1
	s_wait_kmcnt 0x0
	s_sub_co_i32 s24, s24, s9
	s_delay_alu instid0(SALU_CYCLE_1) | instskip(SKIP_1) | instid1(SALU_CYCLE_1)
	s_cmp_le_i32 s24, s23
	s_cselect_b32 s25, -1, 0
	s_and_b32 s25, s25, vcc_lo
	s_delay_alu instid0(SALU_CYCLE_1)
	s_and_not1_b32 vcc_lo, exec_lo, s25
	s_mov_b32 s25, 0
	s_wait_loadcnt 0x0
	ds_store_b64 v19, v[2:3]
	s_cbranch_vccnz .LBB46_32
; %bb.21:                               ;   in Loop: Header=BB46_19 Depth=1
	s_mov_b32 s29, 0
	s_mov_b32 s30, 0
.LBB46_22:                              ;   Parent Loop BB46_19 Depth=1
                                        ; =>  This Inner Loop Header: Depth=2
	s_ashr_i32 s25, s24, 31
	s_lshl_b32 s31, s30, 2
	s_lshl_b64 s[34:35], s[24:25], 2
	v_mov_b32_e32 v1, s31
	s_add_nc_u64 s[34:35], s[14:15], s[34:35]
                                        ; implicit-def: $sgpr33
	s_load_b32 s25, s[34:35], 0x0
	s_wait_xcnt 0x0
	s_mov_b32 s35, -1
	ds_load_b32 v1, v1 offset:2048
                                        ; implicit-def: $sgpr34
	s_wait_kmcnt 0x0
	s_sub_co_i32 s36, s25, s9
                                        ; implicit-def: $sgpr25
	s_wait_dscnt 0x0
	v_readfirstlane_b32 s31, v1
	v_cmp_ge_i32_e32 vcc_lo, s36, v1
	s_cbranch_vccz .LBB46_28
; %bb.23:                               ;   in Loop: Header=BB46_22 Depth=2
	s_cmp_le_i32 s36, s31
                                        ; implicit-def: $sgpr25
                                        ; implicit-def: $sgpr34
                                        ; implicit-def: $sgpr33
	s_cbranch_scc0 .LBB46_25
; %bb.24:                               ;   in Loop: Header=BB46_22 Depth=2
	s_add_co_i32 s25, s30, s27
	s_lshl_b32 s33, s29, 2
	s_mul_i32 s25, s25, 49
	s_mul_i32 s34, s24, 49
	s_delay_alu instid0(SALU_CYCLE_1)
	v_dual_mov_b32 v1, s25 :: v_dual_mov_b32 v2, s34
	v_add_nc_u32_e64 v3, 0x400, s33
	s_add_co_i32 s33, s30, 1
	s_add_co_i32 s34, s24, 1
	;; [unrolled: 1-line block ×3, first 2 shown]
	s_mov_b32 s35, 0
	ds_store_2addr_b32 v3, v2, v1 offset0:192 offset1:224
.LBB46_25:                              ;   in Loop: Header=BB46_22 Depth=2
	s_and_not1_b32 vcc_lo, exec_lo, s35
	s_cbranch_vccnz .LBB46_27
; %bb.26:                               ;   in Loop: Header=BB46_22 Depth=2
	s_add_co_i32 s33, s30, 1
	s_mov_b32 s25, s29
	s_mov_b32 s34, s24
.LBB46_27:                              ;   in Loop: Header=BB46_22 Depth=2
	s_mov_b32 s35, 0
.LBB46_28:                              ;   in Loop: Header=BB46_22 Depth=2
	s_delay_alu instid0(SALU_CYCLE_1)
	s_and_not1_b32 vcc_lo, exec_lo, s35
	s_cbranch_vccnz .LBB46_30
; %bb.29:                               ;   in Loop: Header=BB46_22 Depth=2
	s_add_co_i32 s34, s24, 1
	s_mov_b32 s33, s30
	s_mov_b32 s25, s29
.LBB46_30:                              ;   in Loop: Header=BB46_22 Depth=2
	s_cmp_le_i32 s34, s23
	s_cselect_b32 s24, -1, 0
	s_cmp_le_i32 s31, s22
	s_cselect_b32 s29, -1, 0
	s_delay_alu instid0(SALU_CYCLE_1) | instskip(NEXT) | instid1(SALU_CYCLE_1)
	s_and_b32 s24, s24, s29
	s_and_b32 vcc_lo, exec_lo, s24
	s_cbranch_vccz .LBB46_32
; %bb.31:                               ;   in Loop: Header=BB46_22 Depth=2
	s_mov_b32 s29, s25
	s_mov_b32 s24, s34
	;; [unrolled: 1-line block ×3, first 2 shown]
	s_branch .LBB46_22
.LBB46_32:                              ;   in Loop: Header=BB46_19 Depth=1
	v_ashrrev_i32_e32 v1, 31, v0
	s_add_nc_u64 s[20:21], s[6:7], s[20:21]
	s_wait_dscnt 0x0
	s_wait_xcnt 0x0
	s_delay_alu instid0(VALU_DEP_1)
	v_lshl_add_u64 v[0:1], v[0:1], 3, s[16:17]
.LBB46_33:                              ;   Parent Loop BB46_19 Depth=1
                                        ; =>  This Inner Loop Header: Depth=2
	global_load_b32 v2, v23, s[20:21] scope:SCOPE_DEV
	s_wait_loadcnt 0x0
	v_cmp_eq_u32_e32 vcc_lo, 0, v2
	s_cbranch_vccnz .LBB46_33
; %bb.34:                               ;   in Loop: Header=BB46_19 Depth=1
	v_mad_u32 v2, s23, 49, v22
	global_inv scope:SCOPE_DEV
	v_mov_b32_e32 v3, 0
	s_cmp_lt_i32 s25, 2
	global_load_b64 v[4:5], v2, s[16:17] scale_offset
	s_wait_xcnt 0x0
	v_mov_b32_e32 v2, 0
	s_wait_loadcnt 0x0
	ds_store_b64 v20, v[4:5]
	s_wait_dscnt 0x0
	s_cbranch_scc1 .LBB46_43
; %bb.35:                               ;   in Loop: Header=BB46_19 Depth=1
	v_mov_b64_e32 v[2:3], 0
	s_add_co_i32 s20, s25, -1
	s_movk_i32 s21, 0x700
.LBB46_36:                              ;   Parent Loop BB46_19 Depth=1
                                        ; =>  This Inner Loop Header: Depth=2
	s_wait_dscnt 0x0
	v_mov_b32_e32 v4, s21
	s_and_b32 vcc_lo, exec_lo, s28
	s_mov_b32 s22, -1
                                        ; implicit-def: $vgpr6_vgpr7
	ds_load_2addr_b32 v[4:5], v4 offset1:32
	s_cbranch_vccz .LBB46_39
; %bb.37:                               ;   in Loop: Header=BB46_36 Depth=2
	s_wait_dscnt 0x0
	v_dual_add_nc_u32 v46, v4, v8 :: v_dual_add_nc_u32 v47, v5, v9
	s_delay_alu instid0(VALU_DEP_1)
	v_dual_add_nc_u32 v28, 7, v46 :: v_dual_add_nc_u32 v36, 14, v47
	v_dual_add_nc_u32 v38, 14, v46 :: v_dual_add_nc_u32 v44, 28, v47
	v_add_nc_u32_e32 v45, 35, v46
	s_clause 0x2
	global_load_b64 v[6:7], v47, s[16:17] scale_offset
	global_load_b64 v[24:25], v28, s[16:17] scale_offset
	;; [unrolled: 1-line block ×3, first 2 shown]
	s_wait_xcnt 0x1
	v_dual_add_nc_u32 v28, 7, v47 :: v_dual_add_nc_u32 v37, 21, v46
	v_dual_add_nc_u32 v48, 28, v46 :: v_dual_add_nc_u32 v50, 42, v47
	v_add_nc_u32_e32 v51, 42, v46
	s_clause 0x3
	global_load_b64 v[28:29], v28, s[16:17] scale_offset
	global_load_b64 v[30:31], v36, s[16:17] scale_offset
	;; [unrolled: 1-line block ×4, first 2 shown]
	s_wait_xcnt 0x2
	v_add_nc_u32_e32 v36, 21, v47
	s_clause 0x3
	global_load_b64 v[36:37], v36, s[16:17] scale_offset
	global_load_b64 v[38:39], v44, s[16:17] scale_offset
	;; [unrolled: 1-line block ×4, first 2 shown]
	s_wait_xcnt 0x2
	v_add_nc_u32_e32 v44, 35, v47
	s_clause 0x2
	global_load_b64 v[44:45], v44, s[16:17] scale_offset
	global_load_b64 v[46:47], v50, s[16:17] scale_offset
	;; [unrolled: 1-line block ×3, first 2 shown]
	s_wait_loadcnt 0xb
	s_wait_xcnt 0x0
	v_pk_fma_f32 v[50:51], v[26:27], v[6:7], v[2:3] op_sel:[1,0,0] op_sel_hi:[0,0,1]
	s_delay_alu instid0(VALU_DEP_1) | instskip(SKIP_1) | instid1(VALU_DEP_1)
	v_pk_fma_f32 v[6:7], v[26:27], v[6:7], v[50:51] op_sel:[0,1,0] neg_lo:[0,1,0]
	s_wait_loadcnt 0xa
	v_pk_fma_f32 v[6:7], v[24:25], v[28:29], v[6:7] op_sel:[1,0,0] op_sel_hi:[0,0,1]
	s_delay_alu instid0(VALU_DEP_1) | instskip(SKIP_1) | instid1(VALU_DEP_1)
	v_pk_fma_f32 v[6:7], v[24:25], v[28:29], v[6:7] op_sel:[0,1,0] neg_lo:[0,1,0]
	s_wait_loadcnt 0x7
	;; [unrolled: 4-line block ×6, first 2 shown]
	v_pk_fma_f32 v[6:7], v[48:49], v[46:47], v[6:7] op_sel:[1,0,0] op_sel_hi:[0,0,1]
	s_delay_alu instid0(VALU_DEP_1)
	v_pk_fma_f32 v[6:7], v[48:49], v[46:47], v[6:7] op_sel:[0,1,0] neg_lo:[0,1,0]
	s_cbranch_execz .LBB46_40
.LBB46_38:                              ;   in Loop: Header=BB46_36 Depth=2
	s_add_co_i32 s20, s20, -1
	s_add_co_i32 s21, s21, 4
	s_cmp_eq_u32 s20, 0
	s_cbranch_scc0 .LBB46_41
	s_branch .LBB46_42
.LBB46_39:                              ;   in Loop: Header=BB46_36 Depth=2
	s_and_not1_b32 vcc_lo, exec_lo, s22
	s_cbranch_vccnz .LBB46_38
.LBB46_40:                              ;   in Loop: Header=BB46_36 Depth=2
	s_wait_dscnt 0x0
	v_dual_add_nc_u32 v44, v5, v15 :: v_dual_add_nc_u32 v46, v4, v16
	s_delay_alu instid0(VALU_DEP_1) | instskip(NEXT) | instid1(VALU_DEP_1)
	v_dual_ashrrev_i32 v45, 31, v44 :: v_dual_ashrrev_i32 v47, 31, v46
	v_lshl_add_u64 v[48:49], v[44:45], 3, s[16:17]
	s_delay_alu instid0(VALU_DEP_2)
	v_lshl_add_u64 v[50:51], v[46:47], 3, s[16:17]
	s_clause 0x7
	global_load_b128 v[4:7], v[48:49], off
	global_load_b128 v[24:27], v[50:51], off
	global_load_b128 v[28:31], v[50:51], off offset:16
	global_load_b128 v[32:35], v[48:49], off offset:16
	;; [unrolled: 1-line block ×4, first 2 shown]
	global_load_b64 v[52:53], v44, s[16:17] offset:48 scale_offset
	global_load_b64 v[54:55], v46, s[16:17] offset:48 scale_offset
	s_wait_loadcnt 0x6
	v_pk_fma_f32 v[2:3], v[24:25], v[4:5], v[2:3] op_sel:[1,0,0] op_sel_hi:[0,0,1]
	s_wait_xcnt 0x1
	v_dual_mov_b32 v44, v27 :: v_dual_mov_b32 v45, v26
	s_delay_alu instid0(VALU_DEP_2) | instskip(SKIP_1) | instid1(VALU_DEP_2)
	v_pk_fma_f32 v[2:3], v[24:25], v[4:5], v[2:3] op_sel:[0,1,0] neg_lo:[0,1,0]
	v_mov_b32_e32 v4, v7
	v_pk_fma_f32 v[2:3], v[44:45], v[6:7], v[2:3] op_sel_hi:[1,0,1]
	s_wait_loadcnt 0x4
	v_mov_b32_e32 v6, v35
	s_delay_alu instid0(VALU_DEP_2) | instskip(SKIP_1) | instid1(VALU_DEP_2)
	v_pk_fma_f32 v[2:3], v[26:27], v[4:5], v[2:3] op_sel_hi:[1,0,1] neg_lo:[0,1,0]
	v_dual_mov_b32 v4, v31 :: v_dual_mov_b32 v5, v30
	v_pk_fma_f32 v[2:3], v[28:29], v[32:33], v[2:3] op_sel:[1,0,0] op_sel_hi:[0,0,1]
	s_delay_alu instid0(VALU_DEP_1) | instskip(NEXT) | instid1(VALU_DEP_1)
	v_pk_fma_f32 v[2:3], v[28:29], v[32:33], v[2:3] op_sel:[0,1,0] neg_lo:[0,1,0]
	v_pk_fma_f32 v[2:3], v[4:5], v[34:35], v[2:3] op_sel_hi:[1,0,1]
	s_wait_loadcnt 0x2
	v_dual_mov_b32 v4, v43 :: v_dual_mov_b32 v5, v42
	s_delay_alu instid0(VALU_DEP_2) | instskip(NEXT) | instid1(VALU_DEP_1)
	v_pk_fma_f32 v[2:3], v[30:31], v[6:7], v[2:3] op_sel_hi:[1,0,1] neg_lo:[0,1,0]
	v_pk_fma_f32 v[2:3], v[40:41], v[36:37], v[2:3] op_sel:[1,0,0] op_sel_hi:[0,0,1]
	s_delay_alu instid0(VALU_DEP_1) | instskip(NEXT) | instid1(VALU_DEP_1)
	v_pk_fma_f32 v[2:3], v[40:41], v[36:37], v[2:3] op_sel:[0,1,0] neg_lo:[0,1,0]
	v_pk_fma_f32 v[2:3], v[4:5], v[38:39], v[2:3] op_sel_hi:[1,0,1]
	v_mov_b32_e32 v4, v39
	s_delay_alu instid0(VALU_DEP_1) | instskip(SKIP_1) | instid1(VALU_DEP_1)
	v_pk_fma_f32 v[2:3], v[42:43], v[4:5], v[2:3] op_sel_hi:[1,0,1] neg_lo:[0,1,0]
	s_wait_loadcnt 0x0
	v_pk_fma_f32 v[2:3], v[54:55], v[52:53], v[2:3] op_sel:[1,0,0] op_sel_hi:[0,0,1]
	s_delay_alu instid0(VALU_DEP_1)
	v_pk_fma_f32 v[6:7], v[54:55], v[52:53], v[2:3] op_sel:[0,1,0] neg_lo:[0,1,0]
	s_add_co_i32 s20, s20, -1
	s_add_co_i32 s21, s21, 4
	s_cmp_eq_u32 s20, 0
	s_cbranch_scc1 .LBB46_42
.LBB46_41:                              ;   in Loop: Header=BB46_36 Depth=2
	v_mov_b64_e32 v[2:3], v[6:7]
	s_branch .LBB46_36
.LBB46_42:                              ;   in Loop: Header=BB46_19 Depth=1
	v_dual_mov_b32 v3, v6 :: v_dual_mov_b32 v2, v7
.LBB46_43:                              ;   in Loop: Header=BB46_19 Depth=1
	ds_store_b64 v21, v[2:3]
	s_wait_dscnt 0x0
	ds_load_b64 v[2:3], v23
	s_wait_dscnt 0x0
	v_readfirstlane_b32 s20, v2
	v_readfirstlane_b32 s21, v3
	ds_load_b64 v[2:3], v17
	s_cmp_neq_f32 s20, 0
	s_cselect_b32 s22, -1, 0
	s_cmp_neq_f32 s21, 0
	s_cselect_b32 s23, -1, 0
	s_delay_alu instid0(SALU_CYCLE_1) | instskip(NEXT) | instid1(SALU_CYCLE_1)
	s_or_b32 s22, s22, s23
	s_nor_b32 s23, s22, s0
	s_and_b32 s22, s22, exec_lo
	s_cselect_b32 s20, s20, 1.0
	s_cselect_b32 s21, s21, 0
	s_delay_alu instid0(SALU_CYCLE_1)
	v_dual_mov_b32 v4, s20 :: v_dual_mov_b32 v6, s21
	s_and_saveexec_b32 s20, s23
	s_cbranch_execz .LBB46_47
; %bb.44:                               ;   in Loop: Header=BB46_19 Depth=1
	v_mbcnt_lo_u32_b32 v4, exec_lo, 0
	s_mov_b32 s21, exec_lo
	s_delay_alu instid0(VALU_DEP_1)
	v_cmpx_eq_u32_e32 0, v4
	s_cbranch_execz .LBB46_46
; %bb.45:                               ;   in Loop: Header=BB46_19 Depth=1
	v_mov_b32_e32 v4, s19
	global_atomic_min_i32 v23, v4, s[10:11] scope:SCOPE_DEV
.LBB46_46:                              ;   in Loop: Header=BB46_19 Depth=1
	s_wait_xcnt 0x0
	s_or_b32 exec_lo, exec_lo, s21
	v_dual_mov_b32 v6, 0 :: v_dual_mov_b32 v4, 1.0
.LBB46_47:                              ;   in Loop: Header=BB46_19 Depth=1
	s_or_b32 exec_lo, exec_lo, s20
	s_delay_alu instid0(VALU_DEP_1) | instskip(SKIP_2) | instid1(VALU_DEP_1)
	v_mul_f32_e32 v5, v6, v6
	ds_load_b64 v[24:25], v18
	v_fmac_f32_e32 v5, v4, v4
	v_div_scale_f32 v7, null, v5, v5, 1.0
	s_delay_alu instid0(VALU_DEP_1) | instskip(SKIP_1) | instid1(TRANS32_DEP_1)
	v_rcp_f32_e32 v28, v7
	v_nop
	v_fma_f32 v26, -v7, v28, 1.0
	s_wait_dscnt 0x1
	s_delay_alu instid0(VALU_DEP_1) | instskip(SKIP_1) | instid1(VALU_DEP_1)
	v_dual_fmac_f32 v28, v26, v28 :: v_dual_mov_b32 v26, v3
	v_div_scale_f32 v29, vcc_lo, 1.0, v5, 1.0
	v_mul_f32_e32 v30, v29, v28
	s_delay_alu instid0(VALU_DEP_1) | instskip(NEXT) | instid1(VALU_DEP_1)
	v_dual_fma_f32 v31, -v7, v30, v29 :: v_dual_mov_b32 v27, v2
	v_fmac_f32_e32 v30, v31, v28
	s_wait_dscnt 0x0
	s_delay_alu instid0(VALU_DEP_2) | instskip(NEXT) | instid1(VALU_DEP_2)
	v_pk_add_f32 v[2:3], v[26:27], v[24:25] op_sel:[0,1] op_sel_hi:[1,0] neg_lo:[0,1] neg_hi:[0,1]
	v_fma_f32 v24, -v7, v30, v29
	s_delay_alu instid0(VALU_DEP_2) | instskip(NEXT) | instid1(VALU_DEP_2)
	v_pk_mul_f32 v[6:7], v[6:7], v[2:3] op_sel:[0,1] op_sel_hi:[0,0] neg_lo:[0,1]
	v_div_fmas_f32 v24, v24, v28, v30
	s_delay_alu instid0(VALU_DEP_2) | instskip(NEXT) | instid1(VALU_DEP_2)
	v_pk_fma_f32 v[2:3], v[2:3], v[4:5], v[6:7] op_sel_hi:[1,0,1]
	v_div_fixup_f32 v4, v24, v5, 1.0
	s_delay_alu instid0(VALU_DEP_1) | instskip(NEXT) | instid1(VALU_DEP_1)
	v_pk_mul_f32 v[2:3], v[4:5], v[2:3] op_sel_hi:[0,1]
	v_dual_mov_b32 v4, v3 :: v_dual_mov_b32 v5, v2
	ds_store_b64 v17, v[4:5]
	s_wait_storecnt_dscnt 0x0
	ds_load_b64 v[4:5], v13
	ds_load_b64 v[6:7], v12
	s_wait_dscnt 0x0
	v_pk_fma_f32 v[6:7], v[2:3], v[4:5], v[6:7] op_sel:[1,0,0] op_sel_hi:[0,0,1]
	s_delay_alu instid0(VALU_DEP_1)
	v_pk_fma_f32 v[2:3], v[2:3], v[4:5], v[6:7] op_sel:[0,1,0] neg_hi:[0,1,0]
	ds_store_b64 v12, v[2:3]
	s_wait_dscnt 0x0
	ds_load_b64 v[2:3], v23 offset:72
	s_wait_dscnt 0x0
	v_readfirstlane_b32 s20, v2
	v_readfirstlane_b32 s21, v3
	ds_load_b64 v[2:3], v17 offset:8
	s_cmp_neq_f32 s20, 0
	s_cselect_b32 s22, -1, 0
	s_cmp_neq_f32 s21, 0
	s_cselect_b32 s23, -1, 0
	s_delay_alu instid0(SALU_CYCLE_1) | instskip(NEXT) | instid1(SALU_CYCLE_1)
	s_or_b32 s22, s22, s23
	s_nor_b32 s23, s22, s0
	s_and_b32 s22, s22, exec_lo
	s_cselect_b32 s20, s20, 1.0
	s_cselect_b32 s21, s21, 0
	s_delay_alu instid0(SALU_CYCLE_1)
	v_dual_mov_b32 v4, s20 :: v_dual_mov_b32 v6, s21
	s_and_saveexec_b32 s20, s23
	s_cbranch_execz .LBB46_51
; %bb.48:                               ;   in Loop: Header=BB46_19 Depth=1
	v_mbcnt_lo_u32_b32 v4, exec_lo, 0
	s_mov_b32 s21, exec_lo
	s_delay_alu instid0(VALU_DEP_1)
	v_cmpx_eq_u32_e32 0, v4
	s_cbranch_execz .LBB46_50
; %bb.49:                               ;   in Loop: Header=BB46_19 Depth=1
	v_mov_b32_e32 v4, s19
	global_atomic_min_i32 v23, v4, s[10:11] scope:SCOPE_DEV
.LBB46_50:                              ;   in Loop: Header=BB46_19 Depth=1
	s_wait_xcnt 0x0
	s_or_b32 exec_lo, exec_lo, s21
	v_dual_mov_b32 v6, 0 :: v_dual_mov_b32 v4, 1.0
.LBB46_51:                              ;   in Loop: Header=BB46_19 Depth=1
	s_or_b32 exec_lo, exec_lo, s20
	s_delay_alu instid0(VALU_DEP_1) | instskip(SKIP_4) | instid1(VALU_DEP_1)
	v_mul_f32_e32 v5, v6, v6
	ds_load_b64 v[24:25], v17
	ds_load_b64 v[26:27], v23 offset:64
	ds_load_b64 v[28:29], v18 offset:8
	v_fmac_f32_e32 v5, v4, v4
	v_div_scale_f32 v7, null, v5, v5, 1.0
	s_delay_alu instid0(VALU_DEP_1) | instskip(SKIP_2) | instid1(TRANS32_DEP_1)
	v_rcp_f32_e32 v32, v7
	s_wait_dscnt 0x0
	v_pk_fma_f32 v[28:29], v[26:27], v[24:25], v[28:29] op_sel_hi:[1,0,1]
	v_fma_f32 v30, -v7, v32, 1.0
	s_delay_alu instid0(VALU_DEP_1) | instskip(SKIP_1) | instid1(VALU_DEP_1)
	v_dual_fmac_f32 v32, v30, v32 :: v_dual_mov_b32 v30, v3
	v_div_scale_f32 v33, vcc_lo, 1.0, v5, 1.0
	v_mul_f32_e32 v34, v33, v32
	s_delay_alu instid0(VALU_DEP_1) | instskip(SKIP_1) | instid1(VALU_DEP_2)
	v_dual_fma_f32 v35, -v7, v34, v33 :: v_dual_mov_b32 v31, v2
	v_pk_fma_f32 v[2:3], v[26:27], v[24:25], v[28:29] op_sel:[0,1,1] op_sel_hi:[1,1,0] neg_lo:[0,1,0]
	v_fmac_f32_e32 v34, v35, v32
	s_delay_alu instid0(VALU_DEP_2) | instskip(NEXT) | instid1(VALU_DEP_2)
	v_pk_add_f32 v[2:3], v[30:31], v[2:3] neg_lo:[0,1] neg_hi:[0,1]
	v_fma_f32 v24, -v7, v34, v33
	s_delay_alu instid0(VALU_DEP_2) | instskip(NEXT) | instid1(VALU_DEP_2)
	v_pk_mul_f32 v[6:7], v[6:7], v[2:3] op_sel:[0,1] op_sel_hi:[0,0] neg_lo:[0,1]
	v_div_fmas_f32 v24, v24, v32, v34
	s_delay_alu instid0(VALU_DEP_2) | instskip(NEXT) | instid1(VALU_DEP_2)
	v_pk_fma_f32 v[2:3], v[2:3], v[4:5], v[6:7] op_sel_hi:[1,0,1]
	v_div_fixup_f32 v4, v24, v5, 1.0
	s_delay_alu instid0(VALU_DEP_1) | instskip(NEXT) | instid1(VALU_DEP_1)
	v_pk_mul_f32 v[2:3], v[4:5], v[2:3] op_sel_hi:[0,1]
	v_dual_mov_b32 v4, v3 :: v_dual_mov_b32 v5, v2
	ds_store_b64 v17, v[4:5] offset:8
	s_wait_storecnt_dscnt 0x0
	ds_load_b64 v[4:5], v13 offset:8
	ds_load_b64 v[6:7], v12
	s_wait_dscnt 0x0
	v_pk_fma_f32 v[6:7], v[2:3], v[4:5], v[6:7] op_sel:[1,0,0] op_sel_hi:[0,0,1]
	s_delay_alu instid0(VALU_DEP_1)
	v_pk_fma_f32 v[2:3], v[2:3], v[4:5], v[6:7] op_sel:[0,1,0] neg_hi:[0,1,0]
	ds_store_b64 v12, v[2:3]
	s_wait_dscnt 0x0
	ds_load_b64 v[2:3], v23 offset:144
	s_wait_dscnt 0x0
	v_readfirstlane_b32 s20, v2
	v_readfirstlane_b32 s21, v3
	ds_load_b64 v[2:3], v17 offset:16
	s_cmp_neq_f32 s20, 0
	s_cselect_b32 s22, -1, 0
	s_cmp_neq_f32 s21, 0
	s_cselect_b32 s23, -1, 0
	s_delay_alu instid0(SALU_CYCLE_1) | instskip(NEXT) | instid1(SALU_CYCLE_1)
	s_or_b32 s22, s22, s23
	s_nor_b32 s23, s22, s0
	s_and_b32 s22, s22, exec_lo
	s_cselect_b32 s20, s20, 1.0
	s_cselect_b32 s21, s21, 0
	s_delay_alu instid0(SALU_CYCLE_1)
	v_dual_mov_b32 v4, s20 :: v_dual_mov_b32 v6, s21
	s_and_saveexec_b32 s20, s23
	s_cbranch_execz .LBB46_55
; %bb.52:                               ;   in Loop: Header=BB46_19 Depth=1
	v_mbcnt_lo_u32_b32 v4, exec_lo, 0
	s_mov_b32 s21, exec_lo
	s_delay_alu instid0(VALU_DEP_1)
	v_cmpx_eq_u32_e32 0, v4
	s_cbranch_execz .LBB46_54
; %bb.53:                               ;   in Loop: Header=BB46_19 Depth=1
	v_mov_b32_e32 v4, s19
	global_atomic_min_i32 v23, v4, s[10:11] scope:SCOPE_DEV
.LBB46_54:                              ;   in Loop: Header=BB46_19 Depth=1
	s_wait_xcnt 0x0
	s_or_b32 exec_lo, exec_lo, s21
	v_dual_mov_b32 v6, 0 :: v_dual_mov_b32 v4, 1.0
.LBB46_55:                              ;   in Loop: Header=BB46_19 Depth=1
	s_or_b32 exec_lo, exec_lo, s20
	ds_load_b128 v[24:27], v23 offset:128
	ds_load_b128 v[28:31], v17
	ds_load_b64 v[32:33], v18 offset:16
	s_wait_dscnt 0x2
	v_dual_mul_f32 v5, v6, v6 :: v_dual_mov_b32 v34, v27
	s_delay_alu instid0(VALU_DEP_1) | instskip(SKIP_2) | instid1(VALU_DEP_2)
	v_fmac_f32_e32 v5, v4, v4
	s_wait_dscnt 0x0
	v_pk_fma_f32 v[32:33], v[24:25], v[28:29], v[32:33] op_sel_hi:[1,0,1]
	v_div_scale_f32 v7, null, v5, v5, 1.0
	s_delay_alu instid0(VALU_DEP_2) | instskip(NEXT) | instid1(VALU_DEP_2)
	v_pk_fma_f32 v[24:25], v[24:25], v[28:29], v[32:33] op_sel:[0,1,1] op_sel_hi:[1,1,0] neg_lo:[0,1,0]
	v_rcp_f32_e32 v36, v7
	v_nop
	s_delay_alu instid0(TRANS32_DEP_1) | instskip(NEXT) | instid1(VALU_DEP_1)
	v_fma_f32 v35, -v7, v36, 1.0
	v_dual_fmac_f32 v36, v35, v36 :: v_dual_mov_b32 v35, v26
	v_div_scale_f32 v37, vcc_lo, 1.0, v5, 1.0
	v_mov_b32_e32 v28, v31
	s_delay_alu instid0(VALU_DEP_3) | instskip(NEXT) | instid1(VALU_DEP_3)
	v_pk_fma_f32 v[24:25], v[34:35], v[30:31], v[24:25] op_sel_hi:[1,0,1]
	v_dual_mov_b32 v31, v2 :: v_dual_mul_f32 v29, v37, v36
	v_mov_b32_e32 v30, v3
	s_delay_alu instid0(VALU_DEP_2) | instskip(NEXT) | instid1(VALU_DEP_4)
	v_fma_f32 v32, -v7, v29, v37
	v_pk_fma_f32 v[2:3], v[26:27], v[28:29], v[24:25] op_sel_hi:[1,0,1] neg_lo:[0,1,0]
	s_delay_alu instid0(VALU_DEP_2) | instskip(NEXT) | instid1(VALU_DEP_2)
	v_fmac_f32_e32 v29, v32, v36
	v_pk_add_f32 v[2:3], v[30:31], v[2:3] neg_lo:[0,1] neg_hi:[0,1]
	s_delay_alu instid0(VALU_DEP_2) | instskip(NEXT) | instid1(VALU_DEP_2)
	v_fma_f32 v24, -v7, v29, v37
	v_pk_mul_f32 v[6:7], v[6:7], v[2:3] op_sel:[0,1] op_sel_hi:[0,0] neg_lo:[0,1]
	s_delay_alu instid0(VALU_DEP_2) | instskip(NEXT) | instid1(VALU_DEP_2)
	v_div_fmas_f32 v24, v24, v36, v29
	v_pk_fma_f32 v[2:3], v[2:3], v[4:5], v[6:7] op_sel_hi:[1,0,1]
	s_delay_alu instid0(VALU_DEP_2) | instskip(NEXT) | instid1(VALU_DEP_1)
	v_div_fixup_f32 v4, v24, v5, 1.0
	v_pk_mul_f32 v[2:3], v[4:5], v[2:3] op_sel_hi:[0,1]
	s_delay_alu instid0(VALU_DEP_1)
	v_dual_mov_b32 v4, v3 :: v_dual_mov_b32 v5, v2
	ds_store_b64 v17, v[4:5] offset:16
	s_wait_storecnt_dscnt 0x0
	ds_load_b64 v[4:5], v13 offset:16
	ds_load_b64 v[6:7], v12
	s_wait_dscnt 0x0
	v_pk_fma_f32 v[6:7], v[2:3], v[4:5], v[6:7] op_sel:[1,0,0] op_sel_hi:[0,0,1]
	s_delay_alu instid0(VALU_DEP_1)
	v_pk_fma_f32 v[2:3], v[2:3], v[4:5], v[6:7] op_sel:[0,1,0] neg_hi:[0,1,0]
	ds_store_b64 v12, v[2:3]
	s_wait_dscnt 0x0
	ds_load_b64 v[2:3], v23 offset:216
	s_wait_dscnt 0x0
	v_readfirstlane_b32 s20, v2
	v_readfirstlane_b32 s21, v3
	ds_load_b64 v[2:3], v17 offset:24
	s_cmp_neq_f32 s20, 0
	s_cselect_b32 s22, -1, 0
	s_cmp_neq_f32 s21, 0
	s_cselect_b32 s23, -1, 0
	s_delay_alu instid0(SALU_CYCLE_1) | instskip(NEXT) | instid1(SALU_CYCLE_1)
	s_or_b32 s22, s22, s23
	s_nor_b32 s23, s22, s0
	s_and_b32 s22, s22, exec_lo
	s_cselect_b32 s20, s20, 1.0
	s_cselect_b32 s21, s21, 0
	s_delay_alu instid0(SALU_CYCLE_1)
	v_dual_mov_b32 v4, s20 :: v_dual_mov_b32 v6, s21
	s_and_saveexec_b32 s20, s23
	s_cbranch_execz .LBB46_59
; %bb.56:                               ;   in Loop: Header=BB46_19 Depth=1
	v_mbcnt_lo_u32_b32 v4, exec_lo, 0
	s_mov_b32 s21, exec_lo
	s_delay_alu instid0(VALU_DEP_1)
	v_cmpx_eq_u32_e32 0, v4
	s_cbranch_execz .LBB46_58
; %bb.57:                               ;   in Loop: Header=BB46_19 Depth=1
	v_mov_b32_e32 v4, s19
	global_atomic_min_i32 v23, v4, s[10:11] scope:SCOPE_DEV
.LBB46_58:                              ;   in Loop: Header=BB46_19 Depth=1
	s_wait_xcnt 0x0
	s_or_b32 exec_lo, exec_lo, s21
	v_dual_mov_b32 v6, 0 :: v_dual_mov_b32 v4, 1.0
.LBB46_59:                              ;   in Loop: Header=BB46_19 Depth=1
	s_or_b32 exec_lo, exec_lo, s20
	ds_load_b128 v[24:27], v17
	ds_load_b128 v[28:31], v23 offset:192
	ds_load_b64 v[32:33], v18 offset:24
	v_mul_f32_e32 v5, v6, v6
	ds_load_b64 v[34:35], v17 offset:16
	ds_load_b64 v[36:37], v23 offset:208
	s_wait_dscnt 0x3
	v_dual_mov_b32 v38, v31 :: v_dual_fmac_f32 v5, v4, v4
	v_mov_b32_e32 v39, v30
	s_wait_dscnt 0x2
	v_pk_fma_f32 v[32:33], v[28:29], v[24:25], v[32:33] op_sel_hi:[1,0,1]
	s_delay_alu instid0(VALU_DEP_3) | instskip(NEXT) | instid1(VALU_DEP_2)
	v_div_scale_f32 v7, null, v5, v5, 1.0
	v_pk_fma_f32 v[24:25], v[28:29], v[24:25], v[32:33] op_sel:[0,1,1] op_sel_hi:[1,1,0] neg_lo:[0,1,0]
	v_div_scale_f32 v29, vcc_lo, 1.0, v5, 1.0
	s_delay_alu instid0(VALU_DEP_3) | instskip(NEXT) | instid1(VALU_DEP_2)
	v_rcp_f32_e32 v40, v7
	v_pk_fma_f32 v[24:25], v[38:39], v[26:27], v[24:25] op_sel_hi:[1,0,1]
	v_mov_b32_e32 v26, v3
	s_delay_alu instid0(TRANS32_DEP_1) | instskip(SKIP_1) | instid1(VALU_DEP_2)
	v_fma_f32 v41, -v7, v40, 1.0
	v_dual_mov_b32 v28, v27 :: v_dual_mov_b32 v27, v2
	v_fmac_f32_e32 v40, v41, v40
	s_delay_alu instid0(VALU_DEP_2) | instskip(NEXT) | instid1(VALU_DEP_2)
	v_pk_fma_f32 v[24:25], v[30:31], v[28:29], v[24:25] op_sel_hi:[1,0,1] neg_lo:[0,1,0]
	v_mul_f32_e32 v32, v29, v40
	s_wait_dscnt 0x0
	s_delay_alu instid0(VALU_DEP_2) | instskip(NEXT) | instid1(VALU_DEP_2)
	v_pk_fma_f32 v[24:25], v[36:37], v[34:35], v[24:25] op_sel:[1,0,0] op_sel_hi:[0,0,1]
	v_fma_f32 v28, -v7, v32, v29
	s_delay_alu instid0(VALU_DEP_2) | instskip(NEXT) | instid1(VALU_DEP_2)
	v_pk_fma_f32 v[2:3], v[36:37], v[34:35], v[24:25] op_sel:[0,1,0] neg_lo:[0,1,0]
	v_fmac_f32_e32 v32, v28, v40
	s_delay_alu instid0(VALU_DEP_2) | instskip(NEXT) | instid1(VALU_DEP_2)
	v_pk_add_f32 v[2:3], v[26:27], v[2:3] neg_lo:[0,1] neg_hi:[0,1]
	v_fma_f32 v7, -v7, v32, v29
	s_delay_alu instid0(VALU_DEP_1) | instskip(NEXT) | instid1(VALU_DEP_3)
	v_div_fmas_f32 v24, v7, v40, v32
	v_pk_mul_f32 v[6:7], v[6:7], v[2:3] op_sel:[0,1] op_sel_hi:[0,0] neg_lo:[0,1]
	s_delay_alu instid0(VALU_DEP_2) | instskip(NEXT) | instid1(VALU_DEP_2)
	v_div_fixup_f32 v24, v24, v5, 1.0
	v_pk_fma_f32 v[2:3], v[2:3], v[4:5], v[6:7] op_sel_hi:[1,0,1]
	s_delay_alu instid0(VALU_DEP_1) | instskip(NEXT) | instid1(VALU_DEP_1)
	v_pk_mul_f32 v[2:3], v[24:25], v[2:3] op_sel_hi:[0,1]
	v_dual_mov_b32 v4, v3 :: v_dual_mov_b32 v5, v2
	ds_store_b64 v17, v[4:5] offset:24
	s_wait_storecnt_dscnt 0x0
	ds_load_b64 v[4:5], v13 offset:24
	ds_load_b64 v[6:7], v12
	s_wait_dscnt 0x0
	v_pk_fma_f32 v[6:7], v[2:3], v[4:5], v[6:7] op_sel:[1,0,0] op_sel_hi:[0,0,1]
	s_delay_alu instid0(VALU_DEP_1)
	v_pk_fma_f32 v[2:3], v[2:3], v[4:5], v[6:7] op_sel:[0,1,0] neg_hi:[0,1,0]
	ds_store_b64 v12, v[2:3]
	s_wait_dscnt 0x0
	ds_load_b64 v[2:3], v23 offset:288
	s_wait_dscnt 0x0
	v_readfirstlane_b32 s20, v2
	v_readfirstlane_b32 s21, v3
	ds_load_b64 v[2:3], v17 offset:32
	s_cmp_neq_f32 s20, 0
	s_cselect_b32 s22, -1, 0
	s_cmp_neq_f32 s21, 0
	s_cselect_b32 s23, -1, 0
	s_delay_alu instid0(SALU_CYCLE_1) | instskip(NEXT) | instid1(SALU_CYCLE_1)
	s_or_b32 s22, s22, s23
	s_nor_b32 s23, s22, s0
	s_and_b32 s22, s22, exec_lo
	s_cselect_b32 s20, s20, 1.0
	s_cselect_b32 s21, s21, 0
	s_delay_alu instid0(SALU_CYCLE_1)
	v_dual_mov_b32 v4, s20 :: v_dual_mov_b32 v6, s21
	s_and_saveexec_b32 s20, s23
	s_cbranch_execz .LBB46_63
; %bb.60:                               ;   in Loop: Header=BB46_19 Depth=1
	v_mbcnt_lo_u32_b32 v4, exec_lo, 0
	s_mov_b32 s21, exec_lo
	s_delay_alu instid0(VALU_DEP_1)
	v_cmpx_eq_u32_e32 0, v4
	s_cbranch_execz .LBB46_62
; %bb.61:                               ;   in Loop: Header=BB46_19 Depth=1
	v_mov_b32_e32 v4, s19
	global_atomic_min_i32 v23, v4, s[10:11] scope:SCOPE_DEV
.LBB46_62:                              ;   in Loop: Header=BB46_19 Depth=1
	s_wait_xcnt 0x0
	s_or_b32 exec_lo, exec_lo, s21
	v_dual_mov_b32 v6, 0 :: v_dual_mov_b32 v4, 1.0
.LBB46_63:                              ;   in Loop: Header=BB46_19 Depth=1
	s_or_b32 exec_lo, exec_lo, s20
	ds_load_b128 v[24:27], v17
	ds_load_b128 v[28:31], v23 offset:256
	ds_load_b64 v[40:41], v18 offset:32
	v_mul_f32_e32 v5, v6, v6
	ds_load_b128 v[32:35], v17 offset:16
	ds_load_b128 v[36:39], v23 offset:272
	s_wait_dscnt 0x3
	v_dual_mov_b32 v42, v31 :: v_dual_fmac_f32 v5, v4, v4
	v_mov_b32_e32 v43, v30
	s_wait_dscnt 0x2
	v_pk_fma_f32 v[40:41], v[28:29], v[24:25], v[40:41] op_sel_hi:[1,0,1]
	s_delay_alu instid0(VALU_DEP_3) | instskip(NEXT) | instid1(VALU_DEP_2)
	v_div_scale_f32 v7, null, v5, v5, 1.0
	v_pk_fma_f32 v[24:25], v[28:29], v[24:25], v[40:41] op_sel:[0,1,1] op_sel_hi:[1,1,0] neg_lo:[0,1,0]
	s_delay_alu instid0(VALU_DEP_2) | instskip(NEXT) | instid1(VALU_DEP_1)
	v_rcp_f32_e32 v29, v7
	v_pk_fma_f32 v[24:25], v[42:43], v[26:27], v[24:25] op_sel_hi:[1,0,1]
	s_delay_alu instid0(TRANS32_DEP_1) | instskip(SKIP_2) | instid1(VALU_DEP_1)
	v_fma_f32 v26, -v7, v29, 1.0
	s_wait_dscnt 0x0
	v_dual_mov_b32 v28, v27 :: v_dual_mov_b32 v27, v38
	v_pk_fma_f32 v[24:25], v[30:31], v[28:29], v[24:25] op_sel_hi:[1,0,1] neg_lo:[0,1,0]
	v_div_scale_f32 v30, vcc_lo, 1.0, v5, 1.0
	v_dual_fmac_f32 v29, v26, v29 :: v_dual_mov_b32 v26, v39
	s_delay_alu instid0(VALU_DEP_3) | instskip(NEXT) | instid1(VALU_DEP_2)
	v_pk_fma_f32 v[24:25], v[36:37], v[32:33], v[24:25] op_sel:[1,0,0] op_sel_hi:[0,0,1]
	v_dual_mov_b32 v28, v35 :: v_dual_mul_f32 v31, v30, v29
	s_delay_alu instid0(VALU_DEP_2) | instskip(NEXT) | instid1(VALU_DEP_2)
	v_pk_fma_f32 v[24:25], v[36:37], v[32:33], v[24:25] op_sel:[0,1,0] neg_lo:[0,1,0]
	v_fma_f32 v32, -v7, v31, v30
	s_delay_alu instid0(VALU_DEP_2) | instskip(SKIP_1) | instid1(VALU_DEP_3)
	v_pk_fma_f32 v[24:25], v[26:27], v[34:35], v[24:25] op_sel_hi:[1,0,1]
	v_dual_mov_b32 v27, v2 :: v_dual_mov_b32 v26, v3
	v_fmac_f32_e32 v31, v32, v29
	s_delay_alu instid0(VALU_DEP_3) | instskip(NEXT) | instid1(VALU_DEP_2)
	v_pk_fma_f32 v[2:3], v[38:39], v[28:29], v[24:25] op_sel_hi:[1,0,1] neg_lo:[0,1,0]
	v_fma_f32 v7, -v7, v31, v30
	s_delay_alu instid0(VALU_DEP_2) | instskip(NEXT) | instid1(VALU_DEP_2)
	v_pk_add_f32 v[2:3], v[26:27], v[2:3] neg_lo:[0,1] neg_hi:[0,1]
	v_div_fmas_f32 v24, v7, v29, v31
	s_delay_alu instid0(VALU_DEP_2) | instskip(NEXT) | instid1(VALU_DEP_2)
	v_pk_mul_f32 v[6:7], v[6:7], v[2:3] op_sel:[0,1] op_sel_hi:[0,0] neg_lo:[0,1]
	v_div_fixup_f32 v24, v24, v5, 1.0
	s_delay_alu instid0(VALU_DEP_2) | instskip(NEXT) | instid1(VALU_DEP_1)
	v_pk_fma_f32 v[2:3], v[2:3], v[4:5], v[6:7] op_sel_hi:[1,0,1]
	v_pk_mul_f32 v[2:3], v[24:25], v[2:3] op_sel_hi:[0,1]
	s_delay_alu instid0(VALU_DEP_1)
	v_dual_mov_b32 v4, v3 :: v_dual_mov_b32 v5, v2
	ds_store_b64 v17, v[4:5] offset:32
	s_wait_storecnt_dscnt 0x0
	ds_load_b64 v[4:5], v13 offset:32
	ds_load_b64 v[6:7], v12
	s_wait_dscnt 0x0
	v_pk_fma_f32 v[6:7], v[2:3], v[4:5], v[6:7] op_sel:[1,0,0] op_sel_hi:[0,0,1]
	s_delay_alu instid0(VALU_DEP_1)
	v_pk_fma_f32 v[2:3], v[2:3], v[4:5], v[6:7] op_sel:[0,1,0] neg_hi:[0,1,0]
	ds_store_b64 v12, v[2:3]
	s_wait_dscnt 0x0
	ds_load_b64 v[2:3], v23 offset:360
	s_wait_dscnt 0x0
	v_readfirstlane_b32 s20, v2
	v_readfirstlane_b32 s21, v3
	ds_load_b64 v[2:3], v17 offset:40
	s_cmp_neq_f32 s20, 0
	s_cselect_b32 s22, -1, 0
	s_cmp_neq_f32 s21, 0
	s_cselect_b32 s23, -1, 0
	s_delay_alu instid0(SALU_CYCLE_1) | instskip(NEXT) | instid1(SALU_CYCLE_1)
	s_or_b32 s22, s22, s23
	s_nor_b32 s23, s22, s0
	s_and_b32 s22, s22, exec_lo
	s_cselect_b32 s20, s20, 1.0
	s_cselect_b32 s21, s21, 0
	s_delay_alu instid0(SALU_CYCLE_1)
	v_dual_mov_b32 v4, s20 :: v_dual_mov_b32 v6, s21
	s_and_saveexec_b32 s20, s23
	s_cbranch_execz .LBB46_67
; %bb.64:                               ;   in Loop: Header=BB46_19 Depth=1
	v_mbcnt_lo_u32_b32 v4, exec_lo, 0
	s_mov_b32 s21, exec_lo
	s_delay_alu instid0(VALU_DEP_1)
	v_cmpx_eq_u32_e32 0, v4
	s_cbranch_execz .LBB46_66
; %bb.65:                               ;   in Loop: Header=BB46_19 Depth=1
	v_mov_b32_e32 v4, s19
	global_atomic_min_i32 v23, v4, s[10:11] scope:SCOPE_DEV
.LBB46_66:                              ;   in Loop: Header=BB46_19 Depth=1
	s_wait_xcnt 0x0
	s_or_b32 exec_lo, exec_lo, s21
	v_dual_mov_b32 v6, 0 :: v_dual_mov_b32 v4, 1.0
.LBB46_67:                              ;   in Loop: Header=BB46_19 Depth=1
	s_or_b32 exec_lo, exec_lo, s20
	ds_load_b128 v[24:27], v23 offset:320
	ds_load_b64 v[40:41], v18 offset:40
	ds_load_b128 v[28:31], v17
	ds_load_b128 v[32:35], v17 offset:16
	ds_load_b128 v[36:39], v23 offset:336
	v_mul_f32_e32 v5, v6, v6
	s_wait_dscnt 0x2
	v_pk_fma_f32 v[40:41], v[24:25], v[28:29], v[40:41] op_sel_hi:[1,0,1]
	s_delay_alu instid0(VALU_DEP_1) | instskip(NEXT) | instid1(VALU_DEP_3)
	v_pk_fma_f32 v[24:25], v[24:25], v[28:29], v[40:41] op_sel:[1,1,0] op_sel_hi:[0,1,1] neg_hi:[0,1,0]
	v_dual_mov_b32 v28, v31 :: v_dual_fmac_f32 v5, v4, v4
	s_delay_alu instid0(VALU_DEP_2) | instskip(SKIP_2) | instid1(VALU_DEP_3)
	v_pk_fma_f32 v[24:25], v[26:27], v[30:31], v[24:25] op_sel_hi:[1,0,1]
	s_wait_dscnt 0x0
	v_mov_b32_e32 v30, v39
	v_div_scale_f32 v7, null, v5, v5, 1.0
	v_mov_b32_e32 v31, v38
	v_pk_fma_f32 v[24:25], v[26:27], v[28:29], v[24:25] op_sel:[0,0,1] op_sel_hi:[1,0,0] neg_lo:[0,1,0]
	ds_load_b64 v[26:27], v17 offset:32
	ds_load_b64 v[28:29], v23 offset:352
	v_rcp_f32_e32 v40, v7
	v_pk_fma_f32 v[24:25], v[36:37], v[32:33], v[24:25] op_sel:[1,0,0] op_sel_hi:[0,0,1]
	s_delay_alu instid0(TRANS32_DEP_1) | instskip(NEXT) | instid1(VALU_DEP_2)
	v_fma_f32 v41, -v7, v40, 1.0
	v_pk_fma_f32 v[24:25], v[36:37], v[32:33], v[24:25] op_sel:[0,1,0] neg_lo:[0,1,0]
	v_div_scale_f32 v33, vcc_lo, 1.0, v5, 1.0
	s_delay_alu instid0(VALU_DEP_3) | instskip(NEXT) | instid1(VALU_DEP_3)
	v_dual_mov_b32 v32, v35 :: v_dual_fmac_f32 v40, v41, v40
	v_pk_fma_f32 v[24:25], v[30:31], v[34:35], v[24:25] op_sel_hi:[1,0,1]
	s_delay_alu instid0(VALU_DEP_2) | instskip(NEXT) | instid1(VALU_DEP_2)
	v_dual_mov_b32 v30, v3 :: v_dual_mul_f32 v34, v33, v40
	v_pk_fma_f32 v[24:25], v[38:39], v[32:33], v[24:25] op_sel_hi:[1,0,1] neg_lo:[0,1,0]
	s_delay_alu instid0(VALU_DEP_2) | instskip(SKIP_1) | instid1(VALU_DEP_2)
	v_fma_f32 v32, -v7, v34, v33
	s_wait_dscnt 0x0
	v_pk_fma_f32 v[24:25], v[28:29], v[26:27], v[24:25] op_sel:[1,0,0] op_sel_hi:[0,0,1]
	s_delay_alu instid0(VALU_DEP_2) | instskip(NEXT) | instid1(VALU_DEP_2)
	v_dual_mov_b32 v31, v2 :: v_dual_fmac_f32 v34, v32, v40
	v_pk_fma_f32 v[2:3], v[28:29], v[26:27], v[24:25] op_sel:[0,1,0] neg_lo:[0,1,0]
	s_delay_alu instid0(VALU_DEP_2) | instskip(NEXT) | instid1(VALU_DEP_2)
	v_fma_f32 v7, -v7, v34, v33
	v_pk_add_f32 v[2:3], v[30:31], v[2:3] neg_lo:[0,1] neg_hi:[0,1]
	s_delay_alu instid0(VALU_DEP_2) | instskip(NEXT) | instid1(VALU_DEP_2)
	v_div_fmas_f32 v24, v7, v40, v34
	v_pk_mul_f32 v[6:7], v[6:7], v[2:3] op_sel:[0,1] op_sel_hi:[0,0] neg_lo:[0,1]
	s_delay_alu instid0(VALU_DEP_2) | instskip(NEXT) | instid1(VALU_DEP_2)
	v_div_fixup_f32 v24, v24, v5, 1.0
	v_pk_fma_f32 v[2:3], v[2:3], v[4:5], v[6:7] op_sel_hi:[1,0,1]
	s_delay_alu instid0(VALU_DEP_1) | instskip(NEXT) | instid1(VALU_DEP_1)
	v_pk_mul_f32 v[2:3], v[24:25], v[2:3] op_sel_hi:[0,1]
	v_dual_mov_b32 v4, v3 :: v_dual_mov_b32 v5, v2
	ds_store_b64 v17, v[4:5] offset:40
	s_wait_storecnt_dscnt 0x0
	ds_load_b64 v[4:5], v13 offset:40
	ds_load_b64 v[6:7], v12
	s_wait_dscnt 0x0
	v_pk_fma_f32 v[6:7], v[2:3], v[4:5], v[6:7] op_sel:[1,0,0] op_sel_hi:[0,0,1]
	s_delay_alu instid0(VALU_DEP_1)
	v_pk_fma_f32 v[2:3], v[2:3], v[4:5], v[6:7] op_sel:[0,1,0] neg_hi:[0,1,0]
	ds_store_b64 v12, v[2:3]
	s_wait_dscnt 0x0
	ds_load_b64 v[2:3], v23 offset:432
	s_wait_dscnt 0x0
	v_readfirstlane_b32 s20, v2
	v_readfirstlane_b32 s21, v3
	ds_load_b64 v[2:3], v17 offset:48
	s_cmp_neq_f32 s20, 0
	s_cselect_b32 s22, -1, 0
	s_cmp_neq_f32 s21, 0
	s_cselect_b32 s23, -1, 0
	s_delay_alu instid0(SALU_CYCLE_1) | instskip(NEXT) | instid1(SALU_CYCLE_1)
	s_or_b32 s22, s22, s23
	s_nor_b32 s23, s22, s0
	s_and_b32 s22, s22, exec_lo
	s_cselect_b32 s20, s20, 1.0
	s_cselect_b32 s21, s21, 0
	s_delay_alu instid0(SALU_CYCLE_1)
	v_dual_mov_b32 v4, s20 :: v_dual_mov_b32 v6, s21
	s_and_saveexec_b32 s20, s23
	s_cbranch_execz .LBB46_17
; %bb.68:                               ;   in Loop: Header=BB46_19 Depth=1
	v_mbcnt_lo_u32_b32 v4, exec_lo, 0
	s_mov_b32 s21, exec_lo
	s_delay_alu instid0(VALU_DEP_1)
	v_cmpx_eq_u32_e32 0, v4
	s_cbranch_execz .LBB46_16
; %bb.69:                               ;   in Loop: Header=BB46_19 Depth=1
	v_mov_b32_e32 v4, s19
	global_atomic_min_i32 v23, v4, s[10:11] scope:SCOPE_DEV
	s_branch .LBB46_16
.LBB46_70:
	s_wait_xcnt 0x0
	v_mov_b32_e32 v0, v10
	s_wait_kmcnt 0x0
	s_cmp_lg_u32 s1, 0
	s_cselect_b32 s5, -1, 0
	s_cmp_eq_u32 s1, 0
	s_cbranch_scc1 .LBB46_72
; %bb.71:
	v_mad_u32_u24 v0, v8, 7, v9
.LBB46_72:
	s_mul_i32 s4, s26, 49
	v_lshl_add_u32 v3, v9, 6, 0x380
	s_delay_alu instid0(VALU_DEP_2)
	v_add_nc_u32_e32 v0, s4, v0
	v_cmp_ne_u32_e64 s1, 0, v9
	s_mov_b32 s0, exec_lo
	v_lshl_add_u32 v1, v8, 3, v3
	global_load_b64 v[4:5], v0, s[16:17] scale_offset
	s_wait_loadcnt 0x0
	ds_store_b64 v1, v[4:5]
	s_wait_dscnt 0x0
	v_cmpx_eq_u32_e32 0, v9
	s_cbranch_execz .LBB46_82
; %bb.73:
	v_mov_b32_e32 v0, 0
	ds_load_2addr_b64 v[4:7], v0 offset0:112 offset1:168
	s_wait_dscnt 0x0
	v_readfirstlane_b32 s12, v6
	v_readfirstlane_b32 s13, v4
	;; [unrolled: 1-line block ×3, first 2 shown]
	s_sub_f32 s12, s13, s12
	v_readfirstlane_b32 s13, v7
	s_delay_alu instid0(SALU_CYCLE_2) | instskip(SKIP_4) | instid1(SALU_CYCLE_1)
	s_xor_b32 s18, s12, 0x80000000
	s_cmp_lt_f32 s12, 0
	s_sub_f32 s15, s14, s13
	s_mov_b32 s14, 0
	s_cselect_b32 s12, s18, s12
	s_xor_b32 s13, s15, 0x80000000
	s_cmp_lt_f32 s15, 0
	s_cselect_b32 s13, s13, s15
	s_delay_alu instid0(SALU_CYCLE_1)
	s_cmp_ngt_f32 s12, s13
	s_cbranch_scc0 .LBB46_79
; %bb.74:
	s_cmp_eq_f32 s15, 0
	s_cbranch_scc1 .LBB46_76
; %bb.75:
	v_div_scale_f32 v0, null, s13, s13, s12
	v_div_scale_f32 v5, vcc_lo, s12, s13, s12
	s_delay_alu instid0(VALU_DEP_2)
	v_rcp_f32_e32 v2, v0
	v_nop
	v_xor_b32_e32 v0, 0x80000000, v0
	s_delay_alu instid0(TRANS32_DEP_1) | instid1(VALU_DEP_1)
	v_fma_f32 v4, v0, v2, 1.0
	s_delay_alu instid0(VALU_DEP_1) | instskip(NEXT) | instid1(VALU_DEP_1)
	v_fmac_f32_e32 v2, v4, v2
	v_mul_f32_e32 v4, v5, v2
	s_delay_alu instid0(VALU_DEP_1) | instskip(NEXT) | instid1(VALU_DEP_1)
	v_fma_f32 v6, v0, v4, v5
	v_fmac_f32_e32 v4, v6, v2
	s_delay_alu instid0(VALU_DEP_1) | instskip(NEXT) | instid1(VALU_DEP_1)
	v_fmac_f32_e32 v5, v0, v4
	v_div_fmas_f32 v0, v5, v2, v4
	s_delay_alu instid0(VALU_DEP_1) | instskip(NEXT) | instid1(VALU_DEP_1)
	v_div_fixup_f32 v0, v0, s13, s12
	v_readfirstlane_b32 s14, v0
	s_fmaak_f32 s14, s14, s14, 0x3f800000
	s_delay_alu instid0(SALU_CYCLE_3) | instskip(SKIP_1) | instid1(SALU_CYCLE_2)
	s_mul_f32 s15, s14, 0x4f800000
	s_cmp_lt_f32 s14, 0xf800000
	s_cselect_b32 s15, s15, s14
	s_delay_alu instid0(SALU_CYCLE_1) | instskip(SKIP_1) | instid1(TRANS32_DEP_1)
	v_s_sqrt_f32 s18, s15
	s_mov_b32 s20, s15
	s_add_co_i32 s19, s18, -1
	s_delay_alu instid0(SALU_CYCLE_1) | instskip(NEXT) | instid1(SALU_CYCLE_1)
	s_xor_b32 s21, s19, 0x80000000
	s_fmac_f32 s20, s21, s18
	s_mov_b32 s21, s15
	s_delay_alu instid0(SALU_CYCLE_2) | instskip(SKIP_2) | instid1(SALU_CYCLE_1)
	s_cmp_le_f32 s20, 0
	s_cselect_b32 s19, s19, s18
	s_add_co_i32 s20, s18, 1
	s_xor_b32 s22, s20, 0x80000000
	s_delay_alu instid0(SALU_CYCLE_1) | instskip(NEXT) | instid1(SALU_CYCLE_3)
	s_fmac_f32 s21, s22, s18
	s_cmp_gt_f32 s21, 0
	s_cselect_b32 s18, s20, s19
	s_cmp_lt_f32 s14, 0xf800000
	s_mul_f32 s14, s18, 0x37800000
	v_cmp_class_f32_e64 s19, s15, 0x260
	s_delay_alu instid0(SALU_CYCLE_2) | instskip(SKIP_2) | instid1(SALU_CYCLE_1)
	s_cselect_b32 s14, s14, s18
	s_and_b32 s18, s19, exec_lo
	s_cselect_b32 s14, s15, s14
	s_mul_f32 s14, s13, s14
.LBB46_76:
	s_cbranch_execz .LBB46_80
	s_branch .LBB46_81
.LBB46_77:
	s_cbranch_execnz .LBB46_177
.LBB46_78:
	s_endpgm
.LBB46_79:
                                        ; implicit-def: $sgpr14
.LBB46_80:
	v_div_scale_f32 v0, null, s12, s12, s13
	v_div_scale_f32 v5, vcc_lo, s13, s12, s13
	s_delay_alu instid0(VALU_DEP_2)
	v_rcp_f32_e32 v2, v0
	v_nop
	v_xor_b32_e32 v0, 0x80000000, v0
	s_delay_alu instid0(TRANS32_DEP_1) | instid1(VALU_DEP_1)
	v_fma_f32 v4, v0, v2, 1.0
	s_delay_alu instid0(VALU_DEP_1) | instskip(NEXT) | instid1(VALU_DEP_1)
	v_fmac_f32_e32 v2, v4, v2
	v_mul_f32_e32 v4, v5, v2
	s_delay_alu instid0(VALU_DEP_1) | instskip(NEXT) | instid1(VALU_DEP_1)
	v_fma_f32 v6, v0, v4, v5
	v_fmac_f32_e32 v4, v6, v2
	s_delay_alu instid0(VALU_DEP_1) | instskip(NEXT) | instid1(VALU_DEP_1)
	v_fmac_f32_e32 v5, v0, v4
	v_div_fmas_f32 v0, v5, v2, v4
	s_delay_alu instid0(VALU_DEP_1) | instskip(NEXT) | instid1(VALU_DEP_1)
	v_div_fixup_f32 v0, v0, s12, s13
	v_readfirstlane_b32 s13, v0
	s_fmaak_f32 s13, s13, s13, 0x3f800000
	s_delay_alu instid0(SALU_CYCLE_3) | instskip(SKIP_1) | instid1(SALU_CYCLE_2)
	s_mul_f32 s14, s13, 0x4f800000
	s_cmp_lt_f32 s13, 0xf800000
	s_cselect_b32 s14, s14, s13
	s_delay_alu instid0(SALU_CYCLE_1) | instskip(SKIP_1) | instid1(TRANS32_DEP_1)
	v_s_sqrt_f32 s15, s14
	s_mov_b32 s19, s14
	s_add_co_i32 s18, s15, -1
	s_delay_alu instid0(SALU_CYCLE_1) | instskip(NEXT) | instid1(SALU_CYCLE_1)
	s_xor_b32 s20, s18, 0x80000000
	s_fmac_f32 s19, s20, s15
	s_mov_b32 s20, s14
	s_delay_alu instid0(SALU_CYCLE_2) | instskip(SKIP_2) | instid1(SALU_CYCLE_1)
	s_cmp_le_f32 s19, 0
	s_cselect_b32 s18, s18, s15
	s_add_co_i32 s19, s15, 1
	s_xor_b32 s21, s19, 0x80000000
	s_delay_alu instid0(SALU_CYCLE_1) | instskip(NEXT) | instid1(SALU_CYCLE_3)
	s_fmac_f32 s20, s21, s15
	s_cmp_gt_f32 s20, 0
	s_cselect_b32 s15, s19, s18
	s_cmp_lt_f32 s13, 0xf800000
	s_mul_f32 s13, s15, 0x37800000
	v_cmp_class_f32_e64 s18, s14, 0x260
	s_delay_alu instid0(SALU_CYCLE_2) | instskip(SKIP_2) | instid1(SALU_CYCLE_1)
	s_cselect_b32 s13, s13, s15
	s_and_b32 s15, s18, exec_lo
	s_cselect_b32 s13, s14, s13
	s_mul_f32 s14, s12, s13
.LBB46_81:
	s_delay_alu instid0(SALU_CYCLE_3) | instskip(SKIP_2) | instid1(SALU_CYCLE_1)
	s_mul_f32 s12, s14, 0x4f800000
	s_cmp_lt_f32 s14, 0xf800000
	v_mov_b32_e32 v5, 0
	s_cselect_b32 s12, s12, s14
	s_delay_alu instid0(SALU_CYCLE_1) | instskip(SKIP_1) | instid1(TRANS32_DEP_1)
	v_s_sqrt_f32 s13, s12
	s_mov_b32 s18, s12
	s_add_co_i32 s15, s13, -1
	s_delay_alu instid0(SALU_CYCLE_1) | instskip(NEXT) | instid1(SALU_CYCLE_1)
	s_xor_b32 s19, s15, 0x80000000
	s_fmac_f32 s18, s19, s13
	s_mov_b32 s19, s12
	s_delay_alu instid0(SALU_CYCLE_2) | instskip(SKIP_2) | instid1(SALU_CYCLE_1)
	s_cmp_le_f32 s18, 0
	s_cselect_b32 s15, s15, s13
	s_add_co_i32 s18, s13, 1
	s_xor_b32 s20, s18, 0x80000000
	s_delay_alu instid0(SALU_CYCLE_1) | instskip(SKIP_1) | instid1(SALU_CYCLE_2)
	s_fmac_f32 s19, s20, s13
	v_cmp_class_f32_e64 s13, s12, 0x260
	s_cmp_gt_f32 s19, 0
	s_cselect_b32 s15, s18, s15
	s_cmp_lt_f32 s14, 0xf800000
	s_mul_f32 s14, s15, 0x37800000
	s_delay_alu instid0(SALU_CYCLE_3) | instskip(SKIP_2) | instid1(SALU_CYCLE_1)
	s_cselect_b32 s14, s14, s15
	s_and_b32 s13, s13, exec_lo
	s_cselect_b32 s12, s12, s14
	v_mov_b32_e32 v4, s12
	ds_store_b64 v5, v[4:5] offset:896
.LBB46_82:
	s_or_b32 exec_lo, exec_lo, s0
	v_mov_b32_e32 v0, 0
	s_wait_dscnt 0x0
	s_add_co_i32 s12, s8, s9
	ds_load_b64 v[4:5], v0 offset:896
	s_wait_dscnt 0x0
	v_readfirstlane_b32 s13, v4
	v_readfirstlane_b32 s14, v5
	v_or_b32_e32 v4, v8, v9
	s_cmp_neq_f32 s13, 0
	s_delay_alu instid0(VALU_DEP_1) | instskip(SKIP_3) | instid1(SALU_CYCLE_1)
	v_cmp_ne_u32_e64 s0, 0, v4
	s_cselect_b32 s15, -1, 0
	s_cmp_neq_f32 s14, 0
	s_cselect_b32 s18, -1, 0
	s_or_b32 s15, s15, s18
	s_delay_alu instid0(SALU_CYCLE_1) | instskip(SKIP_3) | instid1(SALU_CYCLE_1)
	s_nor_b32 s18, s15, s0
	s_and_b32 s15, s15, exec_lo
	s_cselect_b32 s13, s13, 1.0
	s_cselect_b32 s14, s14, 0
	v_dual_mov_b32 v0, s13 :: v_dual_mov_b32 v2, s14
	s_and_saveexec_b32 s13, s18
	s_cbranch_execz .LBB46_86
; %bb.83:
	v_mbcnt_lo_u32_b32 v0, exec_lo, 0
	s_mov_b32 s14, exec_lo
	s_delay_alu instid0(VALU_DEP_1)
	v_cmpx_eq_u32_e32 0, v0
	s_cbranch_execz .LBB46_85
; %bb.84:
	v_dual_mov_b32 v0, 0 :: v_dual_mov_b32 v2, s12
	global_atomic_min_i32 v0, v2, s[10:11] scope:SCOPE_DEV
.LBB46_85:
	s_wait_xcnt 0x0
	s_or_b32 exec_lo, exec_lo, s14
	v_dual_mov_b32 v2, 0 :: v_dual_mov_b32 v0, 1.0
.LBB46_86:
	s_or_b32 exec_lo, exec_lo, s13
	s_and_saveexec_b32 s13, s1
	s_cbranch_execz .LBB46_88
; %bb.87:
	s_delay_alu instid0(VALU_DEP_1) | instskip(SKIP_3) | instid1(VALU_DEP_1)
	v_mul_f32_e32 v5, v2, v2
	ds_load_b64 v[6:7], v3
	ds_load_b64 v[16:17], v14
	v_fmac_f32_e32 v5, v0, v0
	v_div_scale_f32 v15, null, v5, v5, 1.0
	s_delay_alu instid0(VALU_DEP_1) | instskip(SKIP_2) | instid1(TRANS32_DEP_1)
	v_rcp_f32_e32 v18, v15
	s_wait_dscnt 0x0
	v_pk_add_f32 v[6:7], v[6:7], v[16:17] op_sel:[1,1] op_sel_hi:[0,0] neg_lo:[0,1] neg_hi:[0,1]
	v_fma_f32 v19, -v15, v18, 1.0
	s_delay_alu instid0(VALU_DEP_2) | instskip(NEXT) | instid1(VALU_DEP_2)
	v_pk_mul_f32 v[16:17], v[2:3], v[6:7] op_sel:[0,1] op_sel_hi:[0,0] neg_lo:[0,1]
	v_fmac_f32_e32 v18, v19, v18
	v_div_scale_f32 v20, vcc_lo, 1.0, v5, 1.0
	s_delay_alu instid0(VALU_DEP_3) | instskip(NEXT) | instid1(VALU_DEP_2)
	v_pk_fma_f32 v[6:7], v[6:7], v[0:1], v[16:17] op_sel_hi:[1,0,1]
	v_mul_f32_e32 v19, v20, v18
	s_delay_alu instid0(VALU_DEP_1) | instskip(NEXT) | instid1(VALU_DEP_1)
	v_fma_f32 v21, -v15, v19, v20
	v_fmac_f32_e32 v19, v21, v18
	s_delay_alu instid0(VALU_DEP_1) | instskip(NEXT) | instid1(VALU_DEP_1)
	v_fma_f32 v15, -v15, v19, v20
	v_div_fmas_f32 v2, v15, v18, v19
	s_delay_alu instid0(VALU_DEP_1) | instskip(NEXT) | instid1(VALU_DEP_1)
	v_div_fixup_f32 v0, v2, v5, 1.0
	v_pk_mul_f32 v[6:7], v[0:1], v[6:7] op_sel_hi:[0,1]
	s_delay_alu instid0(VALU_DEP_1)
	v_dual_mov_b32 v16, v7 :: v_dual_mov_b32 v17, v6
	ds_store_b64 v3, v[16:17]
	s_wait_storecnt_dscnt 0x0
	ds_load_b64 v[16:17], v13
	ds_load_b64 v[18:19], v12
	s_wait_dscnt 0x0
	v_pk_fma_f32 v[18:19], v[6:7], v[16:17], v[18:19] op_sel:[1,0,0] op_sel_hi:[0,0,1]
	s_delay_alu instid0(VALU_DEP_1)
	v_pk_fma_f32 v[6:7], v[6:7], v[16:17], v[18:19] op_sel:[0,1,0] neg_hi:[0,1,0]
	ds_store_b64 v12, v[6:7]
.LBB46_88:
	s_or_b32 exec_lo, exec_lo, s13
	s_delay_alu instid0(SALU_CYCLE_1)
	s_mov_b32 s1, exec_lo
	s_wait_storecnt_dscnt 0x0
	v_cmpx_eq_u32_e32 1, v9
	s_cbranch_execz .LBB46_96
; %bb.89:
	v_mov_b32_e32 v0, 0
	ds_load_2addr_b64 v[16:19], v0 offset0:121 offset1:177
	s_wait_dscnt 0x0
	v_readfirstlane_b32 s13, v18
	v_readfirstlane_b32 s14, v16
	v_readfirstlane_b32 s15, v17
	s_sub_f32 s13, s14, s13
	v_readfirstlane_b32 s14, v19
	s_delay_alu instid0(SALU_CYCLE_2) | instskip(SKIP_4) | instid1(SALU_CYCLE_1)
	s_xor_b32 s19, s13, 0x80000000
	s_cmp_lt_f32 s13, 0
	s_sub_f32 s18, s15, s14
	s_mov_b32 s15, 0
	s_cselect_b32 s13, s19, s13
	s_xor_b32 s14, s18, 0x80000000
	s_cmp_lt_f32 s18, 0
	s_cselect_b32 s14, s14, s18
	s_delay_alu instid0(SALU_CYCLE_1)
	s_cmp_gt_f32 s13, s14
	s_cbranch_scc1 .LBB46_93
; %bb.90:
	s_cmp_eq_f32 s18, 0
	s_cbranch_scc1 .LBB46_92
; %bb.91:
	v_div_scale_f32 v0, null, s14, s14, s13
	v_div_scale_f32 v6, vcc_lo, s13, s14, s13
	s_delay_alu instid0(VALU_DEP_2)
	v_rcp_f32_e32 v2, v0
	v_nop
	v_xor_b32_e32 v0, 0x80000000, v0
	s_delay_alu instid0(TRANS32_DEP_1) | instid1(VALU_DEP_1)
	v_fma_f32 v5, v0, v2, 1.0
	s_delay_alu instid0(VALU_DEP_1) | instskip(NEXT) | instid1(VALU_DEP_1)
	v_fmac_f32_e32 v2, v5, v2
	v_mul_f32_e32 v5, v6, v2
	s_delay_alu instid0(VALU_DEP_1) | instskip(NEXT) | instid1(VALU_DEP_1)
	v_fma_f32 v7, v0, v5, v6
	v_fmac_f32_e32 v5, v7, v2
	s_delay_alu instid0(VALU_DEP_1) | instskip(NEXT) | instid1(VALU_DEP_1)
	v_fmac_f32_e32 v6, v0, v5
	v_div_fmas_f32 v0, v6, v2, v5
	s_delay_alu instid0(VALU_DEP_1) | instskip(NEXT) | instid1(VALU_DEP_1)
	v_div_fixup_f32 v0, v0, s14, s13
	v_readfirstlane_b32 s15, v0
	s_fmaak_f32 s15, s15, s15, 0x3f800000
	s_delay_alu instid0(SALU_CYCLE_3) | instskip(SKIP_1) | instid1(SALU_CYCLE_2)
	s_mul_f32 s18, s15, 0x4f800000
	s_cmp_lt_f32 s15, 0xf800000
	s_cselect_b32 s18, s18, s15
	s_delay_alu instid0(SALU_CYCLE_1) | instskip(SKIP_1) | instid1(TRANS32_DEP_1)
	v_s_sqrt_f32 s19, s18
	s_mov_b32 s21, s18
	s_add_co_i32 s20, s19, -1
	s_delay_alu instid0(SALU_CYCLE_1) | instskip(NEXT) | instid1(SALU_CYCLE_1)
	s_xor_b32 s22, s20, 0x80000000
	s_fmac_f32 s21, s22, s19
	s_mov_b32 s22, s18
	s_delay_alu instid0(SALU_CYCLE_2) | instskip(SKIP_2) | instid1(SALU_CYCLE_1)
	s_cmp_le_f32 s21, 0
	s_cselect_b32 s20, s20, s19
	s_add_co_i32 s21, s19, 1
	s_xor_b32 s23, s21, 0x80000000
	s_delay_alu instid0(SALU_CYCLE_1) | instskip(NEXT) | instid1(SALU_CYCLE_3)
	s_fmac_f32 s22, s23, s19
	s_cmp_gt_f32 s22, 0
	s_cselect_b32 s19, s21, s20
	s_cmp_lt_f32 s15, 0xf800000
	s_mul_f32 s15, s19, 0x37800000
	v_cmp_class_f32_e64 s20, s18, 0x260
	s_delay_alu instid0(SALU_CYCLE_2) | instskip(SKIP_2) | instid1(SALU_CYCLE_1)
	s_cselect_b32 s15, s15, s19
	s_and_b32 s19, s20, exec_lo
	s_cselect_b32 s15, s18, s15
	s_mul_f32 s15, s14, s15
.LBB46_92:
	s_cbranch_execz .LBB46_94
	s_branch .LBB46_95
.LBB46_93:
                                        ; implicit-def: $sgpr15
.LBB46_94:
	v_div_scale_f32 v0, null, s13, s13, s14
	v_div_scale_f32 v6, vcc_lo, s14, s13, s14
	s_delay_alu instid0(VALU_DEP_2)
	v_rcp_f32_e32 v2, v0
	v_nop
	v_xor_b32_e32 v0, 0x80000000, v0
	s_delay_alu instid0(TRANS32_DEP_1) | instid1(VALU_DEP_1)
	v_fma_f32 v5, v0, v2, 1.0
	s_delay_alu instid0(VALU_DEP_1) | instskip(NEXT) | instid1(VALU_DEP_1)
	v_fmac_f32_e32 v2, v5, v2
	v_mul_f32_e32 v5, v6, v2
	s_delay_alu instid0(VALU_DEP_1) | instskip(NEXT) | instid1(VALU_DEP_1)
	v_fma_f32 v7, v0, v5, v6
	v_fmac_f32_e32 v5, v7, v2
	s_delay_alu instid0(VALU_DEP_1) | instskip(NEXT) | instid1(VALU_DEP_1)
	v_fmac_f32_e32 v6, v0, v5
	v_div_fmas_f32 v0, v6, v2, v5
	s_delay_alu instid0(VALU_DEP_1) | instskip(NEXT) | instid1(VALU_DEP_1)
	v_div_fixup_f32 v0, v0, s13, s14
	v_readfirstlane_b32 s14, v0
	s_fmaak_f32 s14, s14, s14, 0x3f800000
	s_delay_alu instid0(SALU_CYCLE_3) | instskip(SKIP_1) | instid1(SALU_CYCLE_2)
	s_mul_f32 s15, s14, 0x4f800000
	s_cmp_lt_f32 s14, 0xf800000
	s_cselect_b32 s15, s15, s14
	s_delay_alu instid0(SALU_CYCLE_1) | instskip(SKIP_1) | instid1(TRANS32_DEP_1)
	v_s_sqrt_f32 s18, s15
	s_mov_b32 s20, s15
	s_add_co_i32 s19, s18, -1
	s_delay_alu instid0(SALU_CYCLE_1) | instskip(NEXT) | instid1(SALU_CYCLE_1)
	s_xor_b32 s21, s19, 0x80000000
	s_fmac_f32 s20, s21, s18
	s_mov_b32 s21, s15
	s_delay_alu instid0(SALU_CYCLE_2) | instskip(SKIP_2) | instid1(SALU_CYCLE_1)
	s_cmp_le_f32 s20, 0
	s_cselect_b32 s19, s19, s18
	s_add_co_i32 s20, s18, 1
	s_xor_b32 s22, s20, 0x80000000
	s_delay_alu instid0(SALU_CYCLE_1) | instskip(NEXT) | instid1(SALU_CYCLE_3)
	s_fmac_f32 s21, s22, s18
	s_cmp_gt_f32 s21, 0
	s_cselect_b32 s18, s20, s19
	s_cmp_lt_f32 s14, 0xf800000
	s_mul_f32 s14, s18, 0x37800000
	v_cmp_class_f32_e64 s19, s15, 0x260
	s_delay_alu instid0(SALU_CYCLE_2) | instskip(SKIP_2) | instid1(SALU_CYCLE_1)
	s_cselect_b32 s14, s14, s18
	s_and_b32 s18, s19, exec_lo
	s_cselect_b32 s14, s15, s14
	s_mul_f32 s15, s13, s14
.LBB46_95:
	s_delay_alu instid0(SALU_CYCLE_3) | instskip(SKIP_2) | instid1(SALU_CYCLE_1)
	s_mul_f32 s13, s15, 0x4f800000
	s_cmp_lt_f32 s15, 0xf800000
	v_mov_b32_e32 v7, 0
	s_cselect_b32 s13, s13, s15
	s_delay_alu instid0(SALU_CYCLE_1) | instskip(SKIP_1) | instid1(TRANS32_DEP_1)
	v_s_sqrt_f32 s14, s13
	s_mov_b32 s19, s13
	s_add_co_i32 s18, s14, -1
	s_delay_alu instid0(SALU_CYCLE_1) | instskip(NEXT) | instid1(SALU_CYCLE_1)
	s_xor_b32 s20, s18, 0x80000000
	s_fmac_f32 s19, s20, s14
	s_mov_b32 s20, s13
	s_delay_alu instid0(SALU_CYCLE_2) | instskip(SKIP_2) | instid1(SALU_CYCLE_1)
	s_cmp_le_f32 s19, 0
	s_cselect_b32 s18, s18, s14
	s_add_co_i32 s19, s14, 1
	s_xor_b32 s21, s19, 0x80000000
	s_delay_alu instid0(SALU_CYCLE_1) | instskip(SKIP_1) | instid1(SALU_CYCLE_2)
	s_fmac_f32 s20, s21, s14
	v_cmp_class_f32_e64 s14, s13, 0x260
	s_cmp_gt_f32 s20, 0
	s_cselect_b32 s18, s19, s18
	s_cmp_lt_f32 s15, 0xf800000
	s_mul_f32 s15, s18, 0x37800000
	s_delay_alu instid0(SALU_CYCLE_3) | instskip(SKIP_2) | instid1(SALU_CYCLE_1)
	s_cselect_b32 s15, s15, s18
	s_and_b32 s14, s14, exec_lo
	s_cselect_b32 s13, s13, s15
	v_mov_b32_e32 v6, s13
	ds_store_b64 v7, v[6:7] offset:968
.LBB46_96:
	s_or_b32 exec_lo, exec_lo, s1
	v_mov_b32_e32 v0, 0
	s_wait_dscnt 0x0
	ds_load_b64 v[6:7], v0 offset:968
	s_wait_dscnt 0x0
	v_readfirstlane_b32 s1, v6
	v_readfirstlane_b32 s13, v7
	s_cmp_neq_f32 s1, 0
	s_cselect_b32 s14, -1, 0
	s_cmp_neq_f32 s13, 0
	s_cselect_b32 s15, -1, 0
	s_delay_alu instid0(SALU_CYCLE_1) | instskip(NEXT) | instid1(SALU_CYCLE_1)
	s_or_b32 s14, s14, s15
	s_nor_b32 s15, s14, s0
	s_and_b32 s14, s14, exec_lo
	s_cselect_b32 s1, s1, 1.0
	s_cselect_b32 s13, s13, 0
	s_delay_alu instid0(SALU_CYCLE_1)
	v_dual_mov_b32 v0, s1 :: v_dual_mov_b32 v2, s13
	s_and_saveexec_b32 s1, s15
	s_cbranch_execz .LBB46_100
; %bb.97:
	v_mbcnt_lo_u32_b32 v0, exec_lo, 0
	s_mov_b32 s13, exec_lo
	s_delay_alu instid0(VALU_DEP_1)
	v_cmpx_eq_u32_e32 0, v0
	s_cbranch_execz .LBB46_99
; %bb.98:
	v_dual_mov_b32 v0, 0 :: v_dual_mov_b32 v2, s12
	global_atomic_min_i32 v0, v2, s[10:11] scope:SCOPE_DEV
.LBB46_99:
	s_wait_xcnt 0x0
	s_or_b32 exec_lo, exec_lo, s13
	v_dual_mov_b32 v2, 0 :: v_dual_mov_b32 v0, 1.0
.LBB46_100:
	s_or_b32 exec_lo, exec_lo, s1
	s_delay_alu instid0(SALU_CYCLE_1)
	s_mov_b32 s1, exec_lo
	v_cmpx_lt_u32_e32 1, v9
	s_cbranch_execz .LBB46_102
; %bb.101:
	v_mul_f32_e32 v5, v2, v2
	ds_load_b64 v[6:7], v3 offset:8
	ds_load_b64 v[16:17], v14 offset:8
	v_fmac_f32_e32 v5, v0, v0
	s_delay_alu instid0(VALU_DEP_1) | instskip(NEXT) | instid1(VALU_DEP_1)
	v_div_scale_f32 v15, null, v5, v5, 1.0
	v_rcp_f32_e32 v18, v15
	s_wait_dscnt 0x0
	v_pk_add_f32 v[6:7], v[6:7], v[16:17] op_sel:[1,1] op_sel_hi:[0,0] neg_lo:[0,1] neg_hi:[0,1]
	s_delay_alu instid0(TRANS32_DEP_1) | instskip(NEXT) | instid1(VALU_DEP_2)
	v_fma_f32 v19, -v15, v18, 1.0
	v_pk_mul_f32 v[16:17], v[2:3], v[6:7] op_sel:[0,1] op_sel_hi:[0,0] neg_lo:[0,1]
	s_delay_alu instid0(VALU_DEP_2) | instskip(SKIP_1) | instid1(VALU_DEP_3)
	v_fmac_f32_e32 v18, v19, v18
	v_div_scale_f32 v20, vcc_lo, 1.0, v5, 1.0
	v_pk_fma_f32 v[6:7], v[6:7], v[0:1], v[16:17] op_sel_hi:[1,0,1]
	s_delay_alu instid0(VALU_DEP_2) | instskip(NEXT) | instid1(VALU_DEP_1)
	v_mul_f32_e32 v19, v20, v18
	v_fma_f32 v21, -v15, v19, v20
	s_delay_alu instid0(VALU_DEP_1) | instskip(NEXT) | instid1(VALU_DEP_1)
	v_fmac_f32_e32 v19, v21, v18
	v_fma_f32 v15, -v15, v19, v20
	s_delay_alu instid0(VALU_DEP_1) | instskip(NEXT) | instid1(VALU_DEP_1)
	v_div_fmas_f32 v2, v15, v18, v19
	v_div_fixup_f32 v0, v2, v5, 1.0
	s_delay_alu instid0(VALU_DEP_1) | instskip(NEXT) | instid1(VALU_DEP_1)
	v_pk_mul_f32 v[6:7], v[0:1], v[6:7] op_sel_hi:[0,1]
	v_dual_mov_b32 v16, v7 :: v_dual_mov_b32 v17, v6
	ds_store_b64 v3, v[16:17] offset:8
	s_wait_storecnt_dscnt 0x0
	ds_load_b64 v[16:17], v13 offset:8
	ds_load_b64 v[18:19], v12
	s_wait_dscnt 0x0
	v_pk_fma_f32 v[18:19], v[6:7], v[16:17], v[18:19] op_sel:[1,0,0] op_sel_hi:[0,0,1]
	s_delay_alu instid0(VALU_DEP_1)
	v_pk_fma_f32 v[6:7], v[6:7], v[16:17], v[18:19] op_sel:[0,1,0] neg_hi:[0,1,0]
	ds_store_b64 v12, v[6:7]
.LBB46_102:
	s_or_b32 exec_lo, exec_lo, s1
	s_delay_alu instid0(SALU_CYCLE_1)
	s_mov_b32 s1, exec_lo
	s_wait_storecnt_dscnt 0x0
	v_cmpx_eq_u32_e32 2, v9
	s_cbranch_execz .LBB46_110
; %bb.103:
	v_mov_b32_e32 v0, 0
	ds_load_2addr_b64 v[16:19], v0 offset0:130 offset1:186
	s_wait_dscnt 0x0
	v_readfirstlane_b32 s13, v18
	v_readfirstlane_b32 s14, v16
	;; [unrolled: 1-line block ×3, first 2 shown]
	s_sub_f32 s13, s14, s13
	v_readfirstlane_b32 s14, v19
	s_delay_alu instid0(SALU_CYCLE_2) | instskip(SKIP_4) | instid1(SALU_CYCLE_1)
	s_xor_b32 s19, s13, 0x80000000
	s_cmp_lt_f32 s13, 0
	s_sub_f32 s18, s15, s14
	s_mov_b32 s15, 0
	s_cselect_b32 s13, s19, s13
	s_xor_b32 s14, s18, 0x80000000
	s_cmp_lt_f32 s18, 0
	s_cselect_b32 s14, s14, s18
	s_delay_alu instid0(SALU_CYCLE_1)
	s_cmp_gt_f32 s13, s14
	s_cbranch_scc1 .LBB46_107
; %bb.104:
	s_cmp_eq_f32 s18, 0
	s_cbranch_scc1 .LBB46_106
; %bb.105:
	v_div_scale_f32 v0, null, s14, s14, s13
	v_div_scale_f32 v6, vcc_lo, s13, s14, s13
	s_delay_alu instid0(VALU_DEP_2)
	v_rcp_f32_e32 v2, v0
	v_nop
	v_xor_b32_e32 v0, 0x80000000, v0
	s_delay_alu instid0(TRANS32_DEP_1) | instid1(VALU_DEP_1)
	v_fma_f32 v5, v0, v2, 1.0
	s_delay_alu instid0(VALU_DEP_1) | instskip(NEXT) | instid1(VALU_DEP_1)
	v_fmac_f32_e32 v2, v5, v2
	v_mul_f32_e32 v5, v6, v2
	s_delay_alu instid0(VALU_DEP_1) | instskip(NEXT) | instid1(VALU_DEP_1)
	v_fma_f32 v7, v0, v5, v6
	v_fmac_f32_e32 v5, v7, v2
	s_delay_alu instid0(VALU_DEP_1) | instskip(NEXT) | instid1(VALU_DEP_1)
	v_fmac_f32_e32 v6, v0, v5
	v_div_fmas_f32 v0, v6, v2, v5
	s_delay_alu instid0(VALU_DEP_1) | instskip(NEXT) | instid1(VALU_DEP_1)
	v_div_fixup_f32 v0, v0, s14, s13
	v_readfirstlane_b32 s15, v0
	s_fmaak_f32 s15, s15, s15, 0x3f800000
	s_delay_alu instid0(SALU_CYCLE_3) | instskip(SKIP_1) | instid1(SALU_CYCLE_2)
	s_mul_f32 s18, s15, 0x4f800000
	s_cmp_lt_f32 s15, 0xf800000
	s_cselect_b32 s18, s18, s15
	s_delay_alu instid0(SALU_CYCLE_1) | instskip(SKIP_1) | instid1(TRANS32_DEP_1)
	v_s_sqrt_f32 s19, s18
	s_mov_b32 s21, s18
	s_add_co_i32 s20, s19, -1
	s_delay_alu instid0(SALU_CYCLE_1) | instskip(NEXT) | instid1(SALU_CYCLE_1)
	s_xor_b32 s22, s20, 0x80000000
	s_fmac_f32 s21, s22, s19
	s_mov_b32 s22, s18
	s_delay_alu instid0(SALU_CYCLE_2) | instskip(SKIP_2) | instid1(SALU_CYCLE_1)
	s_cmp_le_f32 s21, 0
	s_cselect_b32 s20, s20, s19
	s_add_co_i32 s21, s19, 1
	s_xor_b32 s23, s21, 0x80000000
	s_delay_alu instid0(SALU_CYCLE_1) | instskip(NEXT) | instid1(SALU_CYCLE_3)
	s_fmac_f32 s22, s23, s19
	s_cmp_gt_f32 s22, 0
	s_cselect_b32 s19, s21, s20
	s_cmp_lt_f32 s15, 0xf800000
	s_mul_f32 s15, s19, 0x37800000
	v_cmp_class_f32_e64 s20, s18, 0x260
	s_delay_alu instid0(SALU_CYCLE_2) | instskip(SKIP_2) | instid1(SALU_CYCLE_1)
	s_cselect_b32 s15, s15, s19
	s_and_b32 s19, s20, exec_lo
	s_cselect_b32 s15, s18, s15
	s_mul_f32 s15, s14, s15
.LBB46_106:
	s_cbranch_execz .LBB46_108
	s_branch .LBB46_109
.LBB46_107:
                                        ; implicit-def: $sgpr15
.LBB46_108:
	v_div_scale_f32 v0, null, s13, s13, s14
	v_div_scale_f32 v6, vcc_lo, s14, s13, s14
	s_delay_alu instid0(VALU_DEP_2)
	v_rcp_f32_e32 v2, v0
	v_nop
	v_xor_b32_e32 v0, 0x80000000, v0
	s_delay_alu instid0(TRANS32_DEP_1) | instid1(VALU_DEP_1)
	v_fma_f32 v5, v0, v2, 1.0
	s_delay_alu instid0(VALU_DEP_1) | instskip(NEXT) | instid1(VALU_DEP_1)
	v_fmac_f32_e32 v2, v5, v2
	v_mul_f32_e32 v5, v6, v2
	s_delay_alu instid0(VALU_DEP_1) | instskip(NEXT) | instid1(VALU_DEP_1)
	v_fma_f32 v7, v0, v5, v6
	v_fmac_f32_e32 v5, v7, v2
	s_delay_alu instid0(VALU_DEP_1) | instskip(NEXT) | instid1(VALU_DEP_1)
	v_fmac_f32_e32 v6, v0, v5
	v_div_fmas_f32 v0, v6, v2, v5
	s_delay_alu instid0(VALU_DEP_1) | instskip(NEXT) | instid1(VALU_DEP_1)
	v_div_fixup_f32 v0, v0, s13, s14
	v_readfirstlane_b32 s14, v0
	s_fmaak_f32 s14, s14, s14, 0x3f800000
	s_delay_alu instid0(SALU_CYCLE_3) | instskip(SKIP_1) | instid1(SALU_CYCLE_2)
	s_mul_f32 s15, s14, 0x4f800000
	s_cmp_lt_f32 s14, 0xf800000
	s_cselect_b32 s15, s15, s14
	s_delay_alu instid0(SALU_CYCLE_1) | instskip(SKIP_1) | instid1(TRANS32_DEP_1)
	v_s_sqrt_f32 s18, s15
	s_mov_b32 s20, s15
	s_add_co_i32 s19, s18, -1
	s_delay_alu instid0(SALU_CYCLE_1) | instskip(NEXT) | instid1(SALU_CYCLE_1)
	s_xor_b32 s21, s19, 0x80000000
	s_fmac_f32 s20, s21, s18
	s_mov_b32 s21, s15
	s_delay_alu instid0(SALU_CYCLE_2) | instskip(SKIP_2) | instid1(SALU_CYCLE_1)
	s_cmp_le_f32 s20, 0
	s_cselect_b32 s19, s19, s18
	s_add_co_i32 s20, s18, 1
	s_xor_b32 s22, s20, 0x80000000
	s_delay_alu instid0(SALU_CYCLE_1) | instskip(NEXT) | instid1(SALU_CYCLE_3)
	s_fmac_f32 s21, s22, s18
	s_cmp_gt_f32 s21, 0
	s_cselect_b32 s18, s20, s19
	s_cmp_lt_f32 s14, 0xf800000
	s_mul_f32 s14, s18, 0x37800000
	v_cmp_class_f32_e64 s19, s15, 0x260
	s_delay_alu instid0(SALU_CYCLE_2) | instskip(SKIP_2) | instid1(SALU_CYCLE_1)
	s_cselect_b32 s14, s14, s18
	s_and_b32 s18, s19, exec_lo
	s_cselect_b32 s14, s15, s14
	s_mul_f32 s15, s13, s14
.LBB46_109:
	s_delay_alu instid0(SALU_CYCLE_3) | instskip(SKIP_2) | instid1(SALU_CYCLE_1)
	s_mul_f32 s13, s15, 0x4f800000
	s_cmp_lt_f32 s15, 0xf800000
	v_mov_b32_e32 v7, 0
	s_cselect_b32 s13, s13, s15
	s_delay_alu instid0(SALU_CYCLE_1) | instskip(SKIP_1) | instid1(TRANS32_DEP_1)
	v_s_sqrt_f32 s14, s13
	s_mov_b32 s19, s13
	s_add_co_i32 s18, s14, -1
	s_delay_alu instid0(SALU_CYCLE_1) | instskip(NEXT) | instid1(SALU_CYCLE_1)
	s_xor_b32 s20, s18, 0x80000000
	s_fmac_f32 s19, s20, s14
	s_mov_b32 s20, s13
	s_delay_alu instid0(SALU_CYCLE_2) | instskip(SKIP_2) | instid1(SALU_CYCLE_1)
	s_cmp_le_f32 s19, 0
	s_cselect_b32 s18, s18, s14
	s_add_co_i32 s19, s14, 1
	s_xor_b32 s21, s19, 0x80000000
	s_delay_alu instid0(SALU_CYCLE_1) | instskip(SKIP_1) | instid1(SALU_CYCLE_2)
	s_fmac_f32 s20, s21, s14
	v_cmp_class_f32_e64 s14, s13, 0x260
	s_cmp_gt_f32 s20, 0
	s_cselect_b32 s18, s19, s18
	s_cmp_lt_f32 s15, 0xf800000
	s_mul_f32 s15, s18, 0x37800000
	s_delay_alu instid0(SALU_CYCLE_3) | instskip(SKIP_2) | instid1(SALU_CYCLE_1)
	s_cselect_b32 s15, s15, s18
	s_and_b32 s14, s14, exec_lo
	s_cselect_b32 s13, s13, s15
	v_mov_b32_e32 v6, s13
	ds_store_b64 v7, v[6:7] offset:1040
.LBB46_110:
	s_or_b32 exec_lo, exec_lo, s1
	v_mov_b32_e32 v0, 0
	s_wait_dscnt 0x0
	ds_load_b64 v[6:7], v0 offset:1040
	s_wait_dscnt 0x0
	v_readfirstlane_b32 s1, v6
	v_readfirstlane_b32 s13, v7
	s_cmp_neq_f32 s1, 0
	s_cselect_b32 s14, -1, 0
	s_cmp_neq_f32 s13, 0
	s_cselect_b32 s15, -1, 0
	s_delay_alu instid0(SALU_CYCLE_1) | instskip(NEXT) | instid1(SALU_CYCLE_1)
	s_or_b32 s14, s14, s15
	s_nor_b32 s15, s14, s0
	s_and_b32 s14, s14, exec_lo
	s_cselect_b32 s1, s1, 1.0
	s_cselect_b32 s13, s13, 0
	s_delay_alu instid0(SALU_CYCLE_1)
	v_dual_mov_b32 v0, s1 :: v_dual_mov_b32 v2, s13
	s_and_saveexec_b32 s1, s15
	s_cbranch_execz .LBB46_114
; %bb.111:
	v_mbcnt_lo_u32_b32 v0, exec_lo, 0
	s_mov_b32 s13, exec_lo
	s_delay_alu instid0(VALU_DEP_1)
	v_cmpx_eq_u32_e32 0, v0
	s_cbranch_execz .LBB46_113
; %bb.112:
	v_dual_mov_b32 v0, 0 :: v_dual_mov_b32 v2, s12
	global_atomic_min_i32 v0, v2, s[10:11] scope:SCOPE_DEV
.LBB46_113:
	s_wait_xcnt 0x0
	s_or_b32 exec_lo, exec_lo, s13
	v_dual_mov_b32 v2, 0 :: v_dual_mov_b32 v0, 1.0
.LBB46_114:
	s_or_b32 exec_lo, exec_lo, s1
	s_delay_alu instid0(SALU_CYCLE_1)
	s_mov_b32 s1, exec_lo
	v_cmpx_lt_u32_e32 2, v9
	s_cbranch_execz .LBB46_116
; %bb.115:
	v_mul_f32_e32 v5, v2, v2
	ds_load_b64 v[6:7], v3 offset:16
	ds_load_b64 v[16:17], v14 offset:16
	v_fmac_f32_e32 v5, v0, v0
	s_delay_alu instid0(VALU_DEP_1) | instskip(NEXT) | instid1(VALU_DEP_1)
	v_div_scale_f32 v15, null, v5, v5, 1.0
	v_rcp_f32_e32 v18, v15
	s_wait_dscnt 0x0
	v_pk_add_f32 v[6:7], v[6:7], v[16:17] op_sel:[1,1] op_sel_hi:[0,0] neg_lo:[0,1] neg_hi:[0,1]
	s_delay_alu instid0(TRANS32_DEP_1) | instskip(NEXT) | instid1(VALU_DEP_2)
	v_fma_f32 v19, -v15, v18, 1.0
	v_pk_mul_f32 v[16:17], v[2:3], v[6:7] op_sel:[0,1] op_sel_hi:[0,0] neg_lo:[0,1]
	s_delay_alu instid0(VALU_DEP_2) | instskip(SKIP_1) | instid1(VALU_DEP_3)
	v_fmac_f32_e32 v18, v19, v18
	v_div_scale_f32 v20, vcc_lo, 1.0, v5, 1.0
	v_pk_fma_f32 v[6:7], v[6:7], v[0:1], v[16:17] op_sel_hi:[1,0,1]
	s_delay_alu instid0(VALU_DEP_2) | instskip(NEXT) | instid1(VALU_DEP_1)
	v_mul_f32_e32 v19, v20, v18
	v_fma_f32 v21, -v15, v19, v20
	s_delay_alu instid0(VALU_DEP_1) | instskip(NEXT) | instid1(VALU_DEP_1)
	v_fmac_f32_e32 v19, v21, v18
	v_fma_f32 v15, -v15, v19, v20
	s_delay_alu instid0(VALU_DEP_1) | instskip(NEXT) | instid1(VALU_DEP_1)
	v_div_fmas_f32 v2, v15, v18, v19
	v_div_fixup_f32 v0, v2, v5, 1.0
	s_delay_alu instid0(VALU_DEP_1) | instskip(NEXT) | instid1(VALU_DEP_1)
	v_pk_mul_f32 v[6:7], v[0:1], v[6:7] op_sel_hi:[0,1]
	v_dual_mov_b32 v16, v7 :: v_dual_mov_b32 v17, v6
	ds_store_b64 v3, v[16:17] offset:16
	s_wait_storecnt_dscnt 0x0
	ds_load_b64 v[16:17], v13 offset:16
	ds_load_b64 v[18:19], v12
	s_wait_dscnt 0x0
	v_pk_fma_f32 v[18:19], v[6:7], v[16:17], v[18:19] op_sel:[1,0,0] op_sel_hi:[0,0,1]
	s_delay_alu instid0(VALU_DEP_1)
	v_pk_fma_f32 v[6:7], v[6:7], v[16:17], v[18:19] op_sel:[0,1,0] neg_hi:[0,1,0]
	ds_store_b64 v12, v[6:7]
.LBB46_116:
	s_or_b32 exec_lo, exec_lo, s1
	s_delay_alu instid0(SALU_CYCLE_1)
	s_mov_b32 s1, exec_lo
	s_wait_storecnt_dscnt 0x0
	v_cmpx_eq_u32_e32 3, v9
	s_cbranch_execz .LBB46_124
; %bb.117:
	v_mov_b32_e32 v0, 0
	ds_load_2addr_b64 v[16:19], v0 offset0:139 offset1:195
	s_wait_dscnt 0x0
	v_readfirstlane_b32 s13, v18
	v_readfirstlane_b32 s14, v16
	;; [unrolled: 1-line block ×3, first 2 shown]
	s_sub_f32 s13, s14, s13
	v_readfirstlane_b32 s14, v19
	s_delay_alu instid0(SALU_CYCLE_2) | instskip(SKIP_4) | instid1(SALU_CYCLE_1)
	s_xor_b32 s19, s13, 0x80000000
	s_cmp_lt_f32 s13, 0
	s_sub_f32 s18, s15, s14
	s_mov_b32 s15, 0
	s_cselect_b32 s13, s19, s13
	s_xor_b32 s14, s18, 0x80000000
	s_cmp_lt_f32 s18, 0
	s_cselect_b32 s14, s14, s18
	s_delay_alu instid0(SALU_CYCLE_1)
	s_cmp_gt_f32 s13, s14
	s_cbranch_scc1 .LBB46_121
; %bb.118:
	s_cmp_eq_f32 s18, 0
	s_cbranch_scc1 .LBB46_120
; %bb.119:
	v_div_scale_f32 v0, null, s14, s14, s13
	v_div_scale_f32 v6, vcc_lo, s13, s14, s13
	s_delay_alu instid0(VALU_DEP_2)
	v_rcp_f32_e32 v2, v0
	v_nop
	v_xor_b32_e32 v0, 0x80000000, v0
	s_delay_alu instid0(TRANS32_DEP_1) | instid1(VALU_DEP_1)
	v_fma_f32 v5, v0, v2, 1.0
	s_delay_alu instid0(VALU_DEP_1) | instskip(NEXT) | instid1(VALU_DEP_1)
	v_fmac_f32_e32 v2, v5, v2
	v_mul_f32_e32 v5, v6, v2
	s_delay_alu instid0(VALU_DEP_1) | instskip(NEXT) | instid1(VALU_DEP_1)
	v_fma_f32 v7, v0, v5, v6
	v_fmac_f32_e32 v5, v7, v2
	s_delay_alu instid0(VALU_DEP_1) | instskip(NEXT) | instid1(VALU_DEP_1)
	v_fmac_f32_e32 v6, v0, v5
	v_div_fmas_f32 v0, v6, v2, v5
	s_delay_alu instid0(VALU_DEP_1) | instskip(NEXT) | instid1(VALU_DEP_1)
	v_div_fixup_f32 v0, v0, s14, s13
	v_readfirstlane_b32 s15, v0
	s_fmaak_f32 s15, s15, s15, 0x3f800000
	s_delay_alu instid0(SALU_CYCLE_3) | instskip(SKIP_1) | instid1(SALU_CYCLE_2)
	s_mul_f32 s18, s15, 0x4f800000
	s_cmp_lt_f32 s15, 0xf800000
	s_cselect_b32 s18, s18, s15
	s_delay_alu instid0(SALU_CYCLE_1) | instskip(SKIP_1) | instid1(TRANS32_DEP_1)
	v_s_sqrt_f32 s19, s18
	s_mov_b32 s21, s18
	s_add_co_i32 s20, s19, -1
	s_delay_alu instid0(SALU_CYCLE_1) | instskip(NEXT) | instid1(SALU_CYCLE_1)
	s_xor_b32 s22, s20, 0x80000000
	s_fmac_f32 s21, s22, s19
	s_mov_b32 s22, s18
	s_delay_alu instid0(SALU_CYCLE_2) | instskip(SKIP_2) | instid1(SALU_CYCLE_1)
	s_cmp_le_f32 s21, 0
	s_cselect_b32 s20, s20, s19
	s_add_co_i32 s21, s19, 1
	s_xor_b32 s23, s21, 0x80000000
	s_delay_alu instid0(SALU_CYCLE_1) | instskip(NEXT) | instid1(SALU_CYCLE_3)
	s_fmac_f32 s22, s23, s19
	s_cmp_gt_f32 s22, 0
	s_cselect_b32 s19, s21, s20
	s_cmp_lt_f32 s15, 0xf800000
	s_mul_f32 s15, s19, 0x37800000
	v_cmp_class_f32_e64 s20, s18, 0x260
	s_delay_alu instid0(SALU_CYCLE_2) | instskip(SKIP_2) | instid1(SALU_CYCLE_1)
	s_cselect_b32 s15, s15, s19
	s_and_b32 s19, s20, exec_lo
	s_cselect_b32 s15, s18, s15
	s_mul_f32 s15, s14, s15
.LBB46_120:
	s_cbranch_execz .LBB46_122
	s_branch .LBB46_123
.LBB46_121:
                                        ; implicit-def: $sgpr15
.LBB46_122:
	v_div_scale_f32 v0, null, s13, s13, s14
	v_div_scale_f32 v6, vcc_lo, s14, s13, s14
	s_delay_alu instid0(VALU_DEP_2)
	v_rcp_f32_e32 v2, v0
	v_nop
	v_xor_b32_e32 v0, 0x80000000, v0
	s_delay_alu instid0(TRANS32_DEP_1) | instid1(VALU_DEP_1)
	v_fma_f32 v5, v0, v2, 1.0
	s_delay_alu instid0(VALU_DEP_1) | instskip(NEXT) | instid1(VALU_DEP_1)
	v_fmac_f32_e32 v2, v5, v2
	v_mul_f32_e32 v5, v6, v2
	s_delay_alu instid0(VALU_DEP_1) | instskip(NEXT) | instid1(VALU_DEP_1)
	v_fma_f32 v7, v0, v5, v6
	v_fmac_f32_e32 v5, v7, v2
	s_delay_alu instid0(VALU_DEP_1) | instskip(NEXT) | instid1(VALU_DEP_1)
	v_fmac_f32_e32 v6, v0, v5
	v_div_fmas_f32 v0, v6, v2, v5
	s_delay_alu instid0(VALU_DEP_1) | instskip(NEXT) | instid1(VALU_DEP_1)
	v_div_fixup_f32 v0, v0, s13, s14
	v_readfirstlane_b32 s14, v0
	s_fmaak_f32 s14, s14, s14, 0x3f800000
	s_delay_alu instid0(SALU_CYCLE_3) | instskip(SKIP_1) | instid1(SALU_CYCLE_2)
	s_mul_f32 s15, s14, 0x4f800000
	s_cmp_lt_f32 s14, 0xf800000
	s_cselect_b32 s15, s15, s14
	s_delay_alu instid0(SALU_CYCLE_1) | instskip(SKIP_1) | instid1(TRANS32_DEP_1)
	v_s_sqrt_f32 s18, s15
	s_mov_b32 s20, s15
	s_add_co_i32 s19, s18, -1
	s_delay_alu instid0(SALU_CYCLE_1) | instskip(NEXT) | instid1(SALU_CYCLE_1)
	s_xor_b32 s21, s19, 0x80000000
	s_fmac_f32 s20, s21, s18
	s_mov_b32 s21, s15
	s_delay_alu instid0(SALU_CYCLE_2) | instskip(SKIP_2) | instid1(SALU_CYCLE_1)
	s_cmp_le_f32 s20, 0
	s_cselect_b32 s19, s19, s18
	s_add_co_i32 s20, s18, 1
	s_xor_b32 s22, s20, 0x80000000
	s_delay_alu instid0(SALU_CYCLE_1) | instskip(NEXT) | instid1(SALU_CYCLE_3)
	s_fmac_f32 s21, s22, s18
	s_cmp_gt_f32 s21, 0
	s_cselect_b32 s18, s20, s19
	s_cmp_lt_f32 s14, 0xf800000
	s_mul_f32 s14, s18, 0x37800000
	v_cmp_class_f32_e64 s19, s15, 0x260
	s_delay_alu instid0(SALU_CYCLE_2) | instskip(SKIP_2) | instid1(SALU_CYCLE_1)
	s_cselect_b32 s14, s14, s18
	s_and_b32 s18, s19, exec_lo
	s_cselect_b32 s14, s15, s14
	s_mul_f32 s15, s13, s14
.LBB46_123:
	s_delay_alu instid0(SALU_CYCLE_3) | instskip(SKIP_2) | instid1(SALU_CYCLE_1)
	s_mul_f32 s13, s15, 0x4f800000
	s_cmp_lt_f32 s15, 0xf800000
	v_mov_b32_e32 v7, 0
	s_cselect_b32 s13, s13, s15
	s_delay_alu instid0(SALU_CYCLE_1) | instskip(SKIP_1) | instid1(TRANS32_DEP_1)
	v_s_sqrt_f32 s14, s13
	s_mov_b32 s19, s13
	s_add_co_i32 s18, s14, -1
	s_delay_alu instid0(SALU_CYCLE_1) | instskip(NEXT) | instid1(SALU_CYCLE_1)
	s_xor_b32 s20, s18, 0x80000000
	s_fmac_f32 s19, s20, s14
	s_mov_b32 s20, s13
	s_delay_alu instid0(SALU_CYCLE_2) | instskip(SKIP_2) | instid1(SALU_CYCLE_1)
	s_cmp_le_f32 s19, 0
	s_cselect_b32 s18, s18, s14
	s_add_co_i32 s19, s14, 1
	s_xor_b32 s21, s19, 0x80000000
	s_delay_alu instid0(SALU_CYCLE_1) | instskip(SKIP_1) | instid1(SALU_CYCLE_2)
	s_fmac_f32 s20, s21, s14
	v_cmp_class_f32_e64 s14, s13, 0x260
	s_cmp_gt_f32 s20, 0
	s_cselect_b32 s18, s19, s18
	s_cmp_lt_f32 s15, 0xf800000
	s_mul_f32 s15, s18, 0x37800000
	s_delay_alu instid0(SALU_CYCLE_3) | instskip(SKIP_2) | instid1(SALU_CYCLE_1)
	s_cselect_b32 s15, s15, s18
	s_and_b32 s14, s14, exec_lo
	s_cselect_b32 s13, s13, s15
	v_mov_b32_e32 v6, s13
	ds_store_b64 v7, v[6:7] offset:1112
.LBB46_124:
	s_or_b32 exec_lo, exec_lo, s1
	v_mov_b32_e32 v0, 0
	s_wait_dscnt 0x0
	ds_load_b64 v[6:7], v0 offset:1112
	s_wait_dscnt 0x0
	v_readfirstlane_b32 s1, v6
	v_readfirstlane_b32 s13, v7
	s_cmp_neq_f32 s1, 0
	s_cselect_b32 s14, -1, 0
	s_cmp_neq_f32 s13, 0
	s_cselect_b32 s15, -1, 0
	s_delay_alu instid0(SALU_CYCLE_1) | instskip(NEXT) | instid1(SALU_CYCLE_1)
	s_or_b32 s14, s14, s15
	s_nor_b32 s15, s14, s0
	s_and_b32 s14, s14, exec_lo
	s_cselect_b32 s1, s1, 1.0
	s_cselect_b32 s13, s13, 0
	s_delay_alu instid0(SALU_CYCLE_1)
	v_dual_mov_b32 v0, s1 :: v_dual_mov_b32 v2, s13
	s_and_saveexec_b32 s1, s15
	s_cbranch_execz .LBB46_128
; %bb.125:
	v_mbcnt_lo_u32_b32 v0, exec_lo, 0
	s_mov_b32 s13, exec_lo
	s_delay_alu instid0(VALU_DEP_1)
	v_cmpx_eq_u32_e32 0, v0
	s_cbranch_execz .LBB46_127
; %bb.126:
	v_dual_mov_b32 v0, 0 :: v_dual_mov_b32 v2, s12
	global_atomic_min_i32 v0, v2, s[10:11] scope:SCOPE_DEV
.LBB46_127:
	s_wait_xcnt 0x0
	s_or_b32 exec_lo, exec_lo, s13
	v_dual_mov_b32 v2, 0 :: v_dual_mov_b32 v0, 1.0
.LBB46_128:
	s_or_b32 exec_lo, exec_lo, s1
	s_delay_alu instid0(SALU_CYCLE_1)
	s_mov_b32 s1, exec_lo
	v_cmpx_lt_u32_e32 3, v9
	s_cbranch_execz .LBB46_130
; %bb.129:
	v_mul_f32_e32 v5, v2, v2
	ds_load_b64 v[6:7], v3 offset:24
	ds_load_b64 v[16:17], v14 offset:24
	v_fmac_f32_e32 v5, v0, v0
	s_delay_alu instid0(VALU_DEP_1) | instskip(NEXT) | instid1(VALU_DEP_1)
	v_div_scale_f32 v15, null, v5, v5, 1.0
	v_rcp_f32_e32 v18, v15
	s_wait_dscnt 0x0
	v_pk_add_f32 v[6:7], v[6:7], v[16:17] op_sel:[1,1] op_sel_hi:[0,0] neg_lo:[0,1] neg_hi:[0,1]
	s_delay_alu instid0(TRANS32_DEP_1) | instskip(NEXT) | instid1(VALU_DEP_2)
	v_fma_f32 v19, -v15, v18, 1.0
	v_pk_mul_f32 v[16:17], v[2:3], v[6:7] op_sel:[0,1] op_sel_hi:[0,0] neg_lo:[0,1]
	s_delay_alu instid0(VALU_DEP_2) | instskip(SKIP_1) | instid1(VALU_DEP_3)
	v_fmac_f32_e32 v18, v19, v18
	v_div_scale_f32 v20, vcc_lo, 1.0, v5, 1.0
	v_pk_fma_f32 v[6:7], v[6:7], v[0:1], v[16:17] op_sel_hi:[1,0,1]
	s_delay_alu instid0(VALU_DEP_2) | instskip(NEXT) | instid1(VALU_DEP_1)
	v_mul_f32_e32 v19, v20, v18
	v_fma_f32 v21, -v15, v19, v20
	s_delay_alu instid0(VALU_DEP_1) | instskip(NEXT) | instid1(VALU_DEP_1)
	v_fmac_f32_e32 v19, v21, v18
	v_fma_f32 v15, -v15, v19, v20
	s_delay_alu instid0(VALU_DEP_1) | instskip(NEXT) | instid1(VALU_DEP_1)
	v_div_fmas_f32 v2, v15, v18, v19
	v_div_fixup_f32 v0, v2, v5, 1.0
	s_delay_alu instid0(VALU_DEP_1) | instskip(NEXT) | instid1(VALU_DEP_1)
	v_pk_mul_f32 v[6:7], v[0:1], v[6:7] op_sel_hi:[0,1]
	v_dual_mov_b32 v16, v7 :: v_dual_mov_b32 v17, v6
	ds_store_b64 v3, v[16:17] offset:24
	s_wait_storecnt_dscnt 0x0
	ds_load_b64 v[16:17], v13 offset:24
	ds_load_b64 v[18:19], v12
	s_wait_dscnt 0x0
	v_pk_fma_f32 v[18:19], v[6:7], v[16:17], v[18:19] op_sel:[1,0,0] op_sel_hi:[0,0,1]
	s_delay_alu instid0(VALU_DEP_1)
	v_pk_fma_f32 v[6:7], v[6:7], v[16:17], v[18:19] op_sel:[0,1,0] neg_hi:[0,1,0]
	ds_store_b64 v12, v[6:7]
.LBB46_130:
	s_or_b32 exec_lo, exec_lo, s1
	s_delay_alu instid0(SALU_CYCLE_1)
	s_mov_b32 s1, exec_lo
	s_wait_storecnt_dscnt 0x0
	v_cmpx_eq_u32_e32 4, v9
	s_cbranch_execz .LBB46_138
; %bb.131:
	v_mov_b32_e32 v0, 0
	ds_load_2addr_b64 v[16:19], v0 offset0:148 offset1:204
	s_wait_dscnt 0x0
	v_readfirstlane_b32 s13, v18
	v_readfirstlane_b32 s14, v16
	;; [unrolled: 1-line block ×3, first 2 shown]
	s_sub_f32 s13, s14, s13
	v_readfirstlane_b32 s14, v19
	s_delay_alu instid0(SALU_CYCLE_2) | instskip(SKIP_4) | instid1(SALU_CYCLE_1)
	s_xor_b32 s19, s13, 0x80000000
	s_cmp_lt_f32 s13, 0
	s_sub_f32 s18, s15, s14
	s_mov_b32 s15, 0
	s_cselect_b32 s13, s19, s13
	s_xor_b32 s14, s18, 0x80000000
	s_cmp_lt_f32 s18, 0
	s_cselect_b32 s14, s14, s18
	s_delay_alu instid0(SALU_CYCLE_1)
	s_cmp_gt_f32 s13, s14
	s_cbranch_scc1 .LBB46_135
; %bb.132:
	s_cmp_eq_f32 s18, 0
	s_cbranch_scc1 .LBB46_134
; %bb.133:
	v_div_scale_f32 v0, null, s14, s14, s13
	v_div_scale_f32 v6, vcc_lo, s13, s14, s13
	s_delay_alu instid0(VALU_DEP_2)
	v_rcp_f32_e32 v2, v0
	v_nop
	v_xor_b32_e32 v0, 0x80000000, v0
	s_delay_alu instid0(TRANS32_DEP_1) | instid1(VALU_DEP_1)
	v_fma_f32 v5, v0, v2, 1.0
	s_delay_alu instid0(VALU_DEP_1) | instskip(NEXT) | instid1(VALU_DEP_1)
	v_fmac_f32_e32 v2, v5, v2
	v_mul_f32_e32 v5, v6, v2
	s_delay_alu instid0(VALU_DEP_1) | instskip(NEXT) | instid1(VALU_DEP_1)
	v_fma_f32 v7, v0, v5, v6
	v_fmac_f32_e32 v5, v7, v2
	s_delay_alu instid0(VALU_DEP_1) | instskip(NEXT) | instid1(VALU_DEP_1)
	v_fmac_f32_e32 v6, v0, v5
	v_div_fmas_f32 v0, v6, v2, v5
	s_delay_alu instid0(VALU_DEP_1) | instskip(NEXT) | instid1(VALU_DEP_1)
	v_div_fixup_f32 v0, v0, s14, s13
	v_readfirstlane_b32 s15, v0
	s_fmaak_f32 s15, s15, s15, 0x3f800000
	s_delay_alu instid0(SALU_CYCLE_3) | instskip(SKIP_1) | instid1(SALU_CYCLE_2)
	s_mul_f32 s18, s15, 0x4f800000
	s_cmp_lt_f32 s15, 0xf800000
	s_cselect_b32 s18, s18, s15
	s_delay_alu instid0(SALU_CYCLE_1) | instskip(SKIP_1) | instid1(TRANS32_DEP_1)
	v_s_sqrt_f32 s19, s18
	s_mov_b32 s21, s18
	s_add_co_i32 s20, s19, -1
	s_delay_alu instid0(SALU_CYCLE_1) | instskip(NEXT) | instid1(SALU_CYCLE_1)
	s_xor_b32 s22, s20, 0x80000000
	s_fmac_f32 s21, s22, s19
	s_mov_b32 s22, s18
	s_delay_alu instid0(SALU_CYCLE_2) | instskip(SKIP_2) | instid1(SALU_CYCLE_1)
	s_cmp_le_f32 s21, 0
	s_cselect_b32 s20, s20, s19
	s_add_co_i32 s21, s19, 1
	s_xor_b32 s23, s21, 0x80000000
	s_delay_alu instid0(SALU_CYCLE_1) | instskip(NEXT) | instid1(SALU_CYCLE_3)
	s_fmac_f32 s22, s23, s19
	s_cmp_gt_f32 s22, 0
	s_cselect_b32 s19, s21, s20
	s_cmp_lt_f32 s15, 0xf800000
	s_mul_f32 s15, s19, 0x37800000
	v_cmp_class_f32_e64 s20, s18, 0x260
	s_delay_alu instid0(SALU_CYCLE_2) | instskip(SKIP_2) | instid1(SALU_CYCLE_1)
	s_cselect_b32 s15, s15, s19
	s_and_b32 s19, s20, exec_lo
	s_cselect_b32 s15, s18, s15
	s_mul_f32 s15, s14, s15
.LBB46_134:
	s_cbranch_execz .LBB46_136
	s_branch .LBB46_137
.LBB46_135:
                                        ; implicit-def: $sgpr15
.LBB46_136:
	v_div_scale_f32 v0, null, s13, s13, s14
	v_div_scale_f32 v6, vcc_lo, s14, s13, s14
	s_delay_alu instid0(VALU_DEP_2)
	v_rcp_f32_e32 v2, v0
	v_nop
	v_xor_b32_e32 v0, 0x80000000, v0
	s_delay_alu instid0(TRANS32_DEP_1) | instid1(VALU_DEP_1)
	v_fma_f32 v5, v0, v2, 1.0
	s_delay_alu instid0(VALU_DEP_1) | instskip(NEXT) | instid1(VALU_DEP_1)
	v_fmac_f32_e32 v2, v5, v2
	v_mul_f32_e32 v5, v6, v2
	s_delay_alu instid0(VALU_DEP_1) | instskip(NEXT) | instid1(VALU_DEP_1)
	v_fma_f32 v7, v0, v5, v6
	v_fmac_f32_e32 v5, v7, v2
	s_delay_alu instid0(VALU_DEP_1) | instskip(NEXT) | instid1(VALU_DEP_1)
	v_fmac_f32_e32 v6, v0, v5
	v_div_fmas_f32 v0, v6, v2, v5
	s_delay_alu instid0(VALU_DEP_1) | instskip(NEXT) | instid1(VALU_DEP_1)
	v_div_fixup_f32 v0, v0, s13, s14
	v_readfirstlane_b32 s14, v0
	s_fmaak_f32 s14, s14, s14, 0x3f800000
	s_delay_alu instid0(SALU_CYCLE_3) | instskip(SKIP_1) | instid1(SALU_CYCLE_2)
	s_mul_f32 s15, s14, 0x4f800000
	s_cmp_lt_f32 s14, 0xf800000
	s_cselect_b32 s15, s15, s14
	s_delay_alu instid0(SALU_CYCLE_1) | instskip(SKIP_1) | instid1(TRANS32_DEP_1)
	v_s_sqrt_f32 s18, s15
	s_mov_b32 s20, s15
	s_add_co_i32 s19, s18, -1
	s_delay_alu instid0(SALU_CYCLE_1) | instskip(NEXT) | instid1(SALU_CYCLE_1)
	s_xor_b32 s21, s19, 0x80000000
	s_fmac_f32 s20, s21, s18
	s_mov_b32 s21, s15
	s_delay_alu instid0(SALU_CYCLE_2) | instskip(SKIP_2) | instid1(SALU_CYCLE_1)
	s_cmp_le_f32 s20, 0
	s_cselect_b32 s19, s19, s18
	s_add_co_i32 s20, s18, 1
	s_xor_b32 s22, s20, 0x80000000
	s_delay_alu instid0(SALU_CYCLE_1) | instskip(NEXT) | instid1(SALU_CYCLE_3)
	s_fmac_f32 s21, s22, s18
	s_cmp_gt_f32 s21, 0
	s_cselect_b32 s18, s20, s19
	s_cmp_lt_f32 s14, 0xf800000
	s_mul_f32 s14, s18, 0x37800000
	v_cmp_class_f32_e64 s19, s15, 0x260
	s_delay_alu instid0(SALU_CYCLE_2) | instskip(SKIP_2) | instid1(SALU_CYCLE_1)
	s_cselect_b32 s14, s14, s18
	s_and_b32 s18, s19, exec_lo
	s_cselect_b32 s14, s15, s14
	s_mul_f32 s15, s13, s14
.LBB46_137:
	s_delay_alu instid0(SALU_CYCLE_3) | instskip(SKIP_2) | instid1(SALU_CYCLE_1)
	s_mul_f32 s13, s15, 0x4f800000
	s_cmp_lt_f32 s15, 0xf800000
	v_mov_b32_e32 v7, 0
	s_cselect_b32 s13, s13, s15
	s_delay_alu instid0(SALU_CYCLE_1) | instskip(SKIP_1) | instid1(TRANS32_DEP_1)
	v_s_sqrt_f32 s14, s13
	s_mov_b32 s19, s13
	s_add_co_i32 s18, s14, -1
	s_delay_alu instid0(SALU_CYCLE_1) | instskip(NEXT) | instid1(SALU_CYCLE_1)
	s_xor_b32 s20, s18, 0x80000000
	s_fmac_f32 s19, s20, s14
	s_mov_b32 s20, s13
	s_delay_alu instid0(SALU_CYCLE_2) | instskip(SKIP_2) | instid1(SALU_CYCLE_1)
	s_cmp_le_f32 s19, 0
	s_cselect_b32 s18, s18, s14
	s_add_co_i32 s19, s14, 1
	s_xor_b32 s21, s19, 0x80000000
	s_delay_alu instid0(SALU_CYCLE_1) | instskip(SKIP_1) | instid1(SALU_CYCLE_2)
	s_fmac_f32 s20, s21, s14
	v_cmp_class_f32_e64 s14, s13, 0x260
	s_cmp_gt_f32 s20, 0
	s_cselect_b32 s18, s19, s18
	s_cmp_lt_f32 s15, 0xf800000
	s_mul_f32 s15, s18, 0x37800000
	s_delay_alu instid0(SALU_CYCLE_3) | instskip(SKIP_2) | instid1(SALU_CYCLE_1)
	s_cselect_b32 s15, s15, s18
	s_and_b32 s14, s14, exec_lo
	s_cselect_b32 s13, s13, s15
	v_mov_b32_e32 v6, s13
	ds_store_b64 v7, v[6:7] offset:1184
.LBB46_138:
	s_or_b32 exec_lo, exec_lo, s1
	v_mov_b32_e32 v0, 0
	s_wait_dscnt 0x0
	ds_load_b64 v[6:7], v0 offset:1184
	s_wait_dscnt 0x0
	v_readfirstlane_b32 s1, v6
	v_readfirstlane_b32 s13, v7
	s_cmp_neq_f32 s1, 0
	s_cselect_b32 s14, -1, 0
	s_cmp_neq_f32 s13, 0
	s_cselect_b32 s15, -1, 0
	s_delay_alu instid0(SALU_CYCLE_1) | instskip(NEXT) | instid1(SALU_CYCLE_1)
	s_or_b32 s14, s14, s15
	s_nor_b32 s15, s14, s0
	s_and_b32 s14, s14, exec_lo
	s_cselect_b32 s1, s1, 1.0
	s_cselect_b32 s13, s13, 0
	s_delay_alu instid0(SALU_CYCLE_1)
	v_dual_mov_b32 v0, s1 :: v_dual_mov_b32 v2, s13
	s_and_saveexec_b32 s1, s15
	s_cbranch_execz .LBB46_142
; %bb.139:
	v_mbcnt_lo_u32_b32 v0, exec_lo, 0
	s_mov_b32 s13, exec_lo
	s_delay_alu instid0(VALU_DEP_1)
	v_cmpx_eq_u32_e32 0, v0
	s_cbranch_execz .LBB46_141
; %bb.140:
	v_dual_mov_b32 v0, 0 :: v_dual_mov_b32 v2, s12
	global_atomic_min_i32 v0, v2, s[10:11] scope:SCOPE_DEV
.LBB46_141:
	s_wait_xcnt 0x0
	s_or_b32 exec_lo, exec_lo, s13
	v_dual_mov_b32 v2, 0 :: v_dual_mov_b32 v0, 1.0
.LBB46_142:
	s_or_b32 exec_lo, exec_lo, s1
	s_delay_alu instid0(SALU_CYCLE_1)
	s_mov_b32 s1, exec_lo
	v_cmpx_lt_u32_e32 4, v9
	s_cbranch_execz .LBB46_144
; %bb.143:
	v_mul_f32_e32 v5, v2, v2
	ds_load_b64 v[6:7], v3 offset:32
	ds_load_b64 v[16:17], v14 offset:32
	v_fmac_f32_e32 v5, v0, v0
	s_delay_alu instid0(VALU_DEP_1) | instskip(NEXT) | instid1(VALU_DEP_1)
	v_div_scale_f32 v15, null, v5, v5, 1.0
	v_rcp_f32_e32 v18, v15
	s_wait_dscnt 0x0
	v_pk_add_f32 v[6:7], v[6:7], v[16:17] op_sel:[1,1] op_sel_hi:[0,0] neg_lo:[0,1] neg_hi:[0,1]
	s_delay_alu instid0(TRANS32_DEP_1) | instskip(NEXT) | instid1(VALU_DEP_2)
	v_fma_f32 v19, -v15, v18, 1.0
	v_pk_mul_f32 v[16:17], v[2:3], v[6:7] op_sel:[0,1] op_sel_hi:[0,0] neg_lo:[0,1]
	s_delay_alu instid0(VALU_DEP_2) | instskip(SKIP_1) | instid1(VALU_DEP_3)
	v_fmac_f32_e32 v18, v19, v18
	v_div_scale_f32 v20, vcc_lo, 1.0, v5, 1.0
	v_pk_fma_f32 v[6:7], v[6:7], v[0:1], v[16:17] op_sel_hi:[1,0,1]
	s_delay_alu instid0(VALU_DEP_2) | instskip(NEXT) | instid1(VALU_DEP_1)
	v_mul_f32_e32 v19, v20, v18
	v_fma_f32 v21, -v15, v19, v20
	s_delay_alu instid0(VALU_DEP_1) | instskip(NEXT) | instid1(VALU_DEP_1)
	v_fmac_f32_e32 v19, v21, v18
	v_fma_f32 v15, -v15, v19, v20
	s_delay_alu instid0(VALU_DEP_1) | instskip(NEXT) | instid1(VALU_DEP_1)
	v_div_fmas_f32 v2, v15, v18, v19
	v_div_fixup_f32 v0, v2, v5, 1.0
	s_delay_alu instid0(VALU_DEP_1) | instskip(NEXT) | instid1(VALU_DEP_1)
	v_pk_mul_f32 v[6:7], v[0:1], v[6:7] op_sel_hi:[0,1]
	v_dual_mov_b32 v16, v7 :: v_dual_mov_b32 v17, v6
	ds_store_b64 v3, v[16:17] offset:32
	s_wait_storecnt_dscnt 0x0
	ds_load_b64 v[16:17], v13 offset:32
	ds_load_b64 v[18:19], v12
	s_wait_dscnt 0x0
	v_pk_fma_f32 v[18:19], v[6:7], v[16:17], v[18:19] op_sel:[1,0,0] op_sel_hi:[0,0,1]
	s_delay_alu instid0(VALU_DEP_1)
	v_pk_fma_f32 v[6:7], v[6:7], v[16:17], v[18:19] op_sel:[0,1,0] neg_hi:[0,1,0]
	ds_store_b64 v12, v[6:7]
.LBB46_144:
	s_or_b32 exec_lo, exec_lo, s1
	s_delay_alu instid0(SALU_CYCLE_1)
	s_mov_b32 s1, exec_lo
	s_wait_storecnt_dscnt 0x0
	v_cmpx_eq_u32_e32 5, v9
	s_cbranch_execz .LBB46_152
; %bb.145:
	v_mov_b32_e32 v0, 0
	ds_load_2addr_b64 v[16:19], v0 offset0:157 offset1:213
	s_wait_dscnt 0x0
	v_readfirstlane_b32 s13, v18
	v_readfirstlane_b32 s14, v16
	;; [unrolled: 1-line block ×3, first 2 shown]
	s_sub_f32 s13, s14, s13
	v_readfirstlane_b32 s14, v19
	s_delay_alu instid0(SALU_CYCLE_2) | instskip(SKIP_4) | instid1(SALU_CYCLE_1)
	s_xor_b32 s19, s13, 0x80000000
	s_cmp_lt_f32 s13, 0
	s_sub_f32 s18, s15, s14
	s_mov_b32 s15, 0
	s_cselect_b32 s13, s19, s13
	s_xor_b32 s14, s18, 0x80000000
	s_cmp_lt_f32 s18, 0
	s_cselect_b32 s14, s14, s18
	s_delay_alu instid0(SALU_CYCLE_1)
	s_cmp_gt_f32 s13, s14
	s_cbranch_scc1 .LBB46_149
; %bb.146:
	s_cmp_eq_f32 s18, 0
	s_cbranch_scc1 .LBB46_148
; %bb.147:
	v_div_scale_f32 v0, null, s14, s14, s13
	v_div_scale_f32 v6, vcc_lo, s13, s14, s13
	s_delay_alu instid0(VALU_DEP_2)
	v_rcp_f32_e32 v2, v0
	v_nop
	v_xor_b32_e32 v0, 0x80000000, v0
	s_delay_alu instid0(TRANS32_DEP_1) | instid1(VALU_DEP_1)
	v_fma_f32 v5, v0, v2, 1.0
	s_delay_alu instid0(VALU_DEP_1) | instskip(NEXT) | instid1(VALU_DEP_1)
	v_fmac_f32_e32 v2, v5, v2
	v_mul_f32_e32 v5, v6, v2
	s_delay_alu instid0(VALU_DEP_1) | instskip(NEXT) | instid1(VALU_DEP_1)
	v_fma_f32 v7, v0, v5, v6
	v_fmac_f32_e32 v5, v7, v2
	s_delay_alu instid0(VALU_DEP_1) | instskip(NEXT) | instid1(VALU_DEP_1)
	v_fmac_f32_e32 v6, v0, v5
	v_div_fmas_f32 v0, v6, v2, v5
	s_delay_alu instid0(VALU_DEP_1) | instskip(NEXT) | instid1(VALU_DEP_1)
	v_div_fixup_f32 v0, v0, s14, s13
	v_readfirstlane_b32 s15, v0
	s_fmaak_f32 s15, s15, s15, 0x3f800000
	s_delay_alu instid0(SALU_CYCLE_3) | instskip(SKIP_1) | instid1(SALU_CYCLE_2)
	s_mul_f32 s18, s15, 0x4f800000
	s_cmp_lt_f32 s15, 0xf800000
	s_cselect_b32 s18, s18, s15
	s_delay_alu instid0(SALU_CYCLE_1) | instskip(SKIP_1) | instid1(TRANS32_DEP_1)
	v_s_sqrt_f32 s19, s18
	s_mov_b32 s21, s18
	s_add_co_i32 s20, s19, -1
	s_delay_alu instid0(SALU_CYCLE_1) | instskip(NEXT) | instid1(SALU_CYCLE_1)
	s_xor_b32 s22, s20, 0x80000000
	s_fmac_f32 s21, s22, s19
	s_mov_b32 s22, s18
	s_delay_alu instid0(SALU_CYCLE_2) | instskip(SKIP_2) | instid1(SALU_CYCLE_1)
	s_cmp_le_f32 s21, 0
	s_cselect_b32 s20, s20, s19
	s_add_co_i32 s21, s19, 1
	s_xor_b32 s23, s21, 0x80000000
	s_delay_alu instid0(SALU_CYCLE_1) | instskip(NEXT) | instid1(SALU_CYCLE_3)
	s_fmac_f32 s22, s23, s19
	s_cmp_gt_f32 s22, 0
	s_cselect_b32 s19, s21, s20
	s_cmp_lt_f32 s15, 0xf800000
	s_mul_f32 s15, s19, 0x37800000
	v_cmp_class_f32_e64 s20, s18, 0x260
	s_delay_alu instid0(SALU_CYCLE_2) | instskip(SKIP_2) | instid1(SALU_CYCLE_1)
	s_cselect_b32 s15, s15, s19
	s_and_b32 s19, s20, exec_lo
	s_cselect_b32 s15, s18, s15
	s_mul_f32 s15, s14, s15
.LBB46_148:
	s_cbranch_execz .LBB46_150
	s_branch .LBB46_151
.LBB46_149:
                                        ; implicit-def: $sgpr15
.LBB46_150:
	v_div_scale_f32 v0, null, s13, s13, s14
	v_div_scale_f32 v6, vcc_lo, s14, s13, s14
	s_delay_alu instid0(VALU_DEP_2)
	v_rcp_f32_e32 v2, v0
	v_nop
	v_xor_b32_e32 v0, 0x80000000, v0
	s_delay_alu instid0(TRANS32_DEP_1) | instid1(VALU_DEP_1)
	v_fma_f32 v5, v0, v2, 1.0
	s_delay_alu instid0(VALU_DEP_1) | instskip(NEXT) | instid1(VALU_DEP_1)
	v_fmac_f32_e32 v2, v5, v2
	v_mul_f32_e32 v5, v6, v2
	s_delay_alu instid0(VALU_DEP_1) | instskip(NEXT) | instid1(VALU_DEP_1)
	v_fma_f32 v7, v0, v5, v6
	v_fmac_f32_e32 v5, v7, v2
	s_delay_alu instid0(VALU_DEP_1) | instskip(NEXT) | instid1(VALU_DEP_1)
	v_fmac_f32_e32 v6, v0, v5
	v_div_fmas_f32 v0, v6, v2, v5
	s_delay_alu instid0(VALU_DEP_1) | instskip(NEXT) | instid1(VALU_DEP_1)
	v_div_fixup_f32 v0, v0, s13, s14
	v_readfirstlane_b32 s14, v0
	s_fmaak_f32 s14, s14, s14, 0x3f800000
	s_delay_alu instid0(SALU_CYCLE_3) | instskip(SKIP_1) | instid1(SALU_CYCLE_2)
	s_mul_f32 s15, s14, 0x4f800000
	s_cmp_lt_f32 s14, 0xf800000
	s_cselect_b32 s15, s15, s14
	s_delay_alu instid0(SALU_CYCLE_1) | instskip(SKIP_1) | instid1(TRANS32_DEP_1)
	v_s_sqrt_f32 s18, s15
	s_mov_b32 s20, s15
	s_add_co_i32 s19, s18, -1
	s_delay_alu instid0(SALU_CYCLE_1) | instskip(NEXT) | instid1(SALU_CYCLE_1)
	s_xor_b32 s21, s19, 0x80000000
	s_fmac_f32 s20, s21, s18
	s_mov_b32 s21, s15
	s_delay_alu instid0(SALU_CYCLE_2) | instskip(SKIP_2) | instid1(SALU_CYCLE_1)
	s_cmp_le_f32 s20, 0
	s_cselect_b32 s19, s19, s18
	s_add_co_i32 s20, s18, 1
	s_xor_b32 s22, s20, 0x80000000
	s_delay_alu instid0(SALU_CYCLE_1) | instskip(NEXT) | instid1(SALU_CYCLE_3)
	s_fmac_f32 s21, s22, s18
	s_cmp_gt_f32 s21, 0
	s_cselect_b32 s18, s20, s19
	s_cmp_lt_f32 s14, 0xf800000
	s_mul_f32 s14, s18, 0x37800000
	v_cmp_class_f32_e64 s19, s15, 0x260
	s_delay_alu instid0(SALU_CYCLE_2) | instskip(SKIP_2) | instid1(SALU_CYCLE_1)
	s_cselect_b32 s14, s14, s18
	s_and_b32 s18, s19, exec_lo
	s_cselect_b32 s14, s15, s14
	s_mul_f32 s15, s13, s14
.LBB46_151:
	s_delay_alu instid0(SALU_CYCLE_3) | instskip(SKIP_2) | instid1(SALU_CYCLE_1)
	s_mul_f32 s13, s15, 0x4f800000
	s_cmp_lt_f32 s15, 0xf800000
	v_mov_b32_e32 v7, 0
	s_cselect_b32 s13, s13, s15
	s_delay_alu instid0(SALU_CYCLE_1) | instskip(SKIP_1) | instid1(TRANS32_DEP_1)
	v_s_sqrt_f32 s14, s13
	s_mov_b32 s19, s13
	s_add_co_i32 s18, s14, -1
	s_delay_alu instid0(SALU_CYCLE_1) | instskip(NEXT) | instid1(SALU_CYCLE_1)
	s_xor_b32 s20, s18, 0x80000000
	s_fmac_f32 s19, s20, s14
	s_mov_b32 s20, s13
	s_delay_alu instid0(SALU_CYCLE_2) | instskip(SKIP_2) | instid1(SALU_CYCLE_1)
	s_cmp_le_f32 s19, 0
	s_cselect_b32 s18, s18, s14
	s_add_co_i32 s19, s14, 1
	s_xor_b32 s21, s19, 0x80000000
	s_delay_alu instid0(SALU_CYCLE_1) | instskip(SKIP_1) | instid1(SALU_CYCLE_2)
	s_fmac_f32 s20, s21, s14
	v_cmp_class_f32_e64 s14, s13, 0x260
	s_cmp_gt_f32 s20, 0
	s_cselect_b32 s18, s19, s18
	s_cmp_lt_f32 s15, 0xf800000
	s_mul_f32 s15, s18, 0x37800000
	s_delay_alu instid0(SALU_CYCLE_3) | instskip(SKIP_2) | instid1(SALU_CYCLE_1)
	s_cselect_b32 s15, s15, s18
	s_and_b32 s14, s14, exec_lo
	s_cselect_b32 s13, s13, s15
	v_mov_b32_e32 v6, s13
	ds_store_b64 v7, v[6:7] offset:1256
.LBB46_152:
	s_or_b32 exec_lo, exec_lo, s1
	v_mov_b32_e32 v0, 0
	s_wait_dscnt 0x0
	ds_load_b64 v[6:7], v0 offset:1256
	s_wait_dscnt 0x0
	v_readfirstlane_b32 s1, v6
	v_readfirstlane_b32 s13, v7
	s_cmp_neq_f32 s1, 0
	s_cselect_b32 s14, -1, 0
	s_cmp_neq_f32 s13, 0
	s_cselect_b32 s15, -1, 0
	s_delay_alu instid0(SALU_CYCLE_1) | instskip(NEXT) | instid1(SALU_CYCLE_1)
	s_or_b32 s14, s14, s15
	s_nor_b32 s15, s14, s0
	s_and_b32 s14, s14, exec_lo
	s_cselect_b32 s1, s1, 1.0
	s_cselect_b32 s13, s13, 0
	s_delay_alu instid0(SALU_CYCLE_1)
	v_dual_mov_b32 v0, s1 :: v_dual_mov_b32 v2, s13
	s_and_saveexec_b32 s1, s15
	s_cbranch_execz .LBB46_156
; %bb.153:
	v_mbcnt_lo_u32_b32 v0, exec_lo, 0
	s_mov_b32 s13, exec_lo
	s_delay_alu instid0(VALU_DEP_1)
	v_cmpx_eq_u32_e32 0, v0
	s_cbranch_execz .LBB46_155
; %bb.154:
	v_dual_mov_b32 v0, 0 :: v_dual_mov_b32 v2, s12
	global_atomic_min_i32 v0, v2, s[10:11] scope:SCOPE_DEV
.LBB46_155:
	s_wait_xcnt 0x0
	s_or_b32 exec_lo, exec_lo, s13
	v_dual_mov_b32 v2, 0 :: v_dual_mov_b32 v0, 1.0
.LBB46_156:
	s_or_b32 exec_lo, exec_lo, s1
	s_delay_alu instid0(SALU_CYCLE_1)
	s_mov_b32 s1, exec_lo
	v_cmpx_lt_u32_e32 5, v9
	s_cbranch_execz .LBB46_158
; %bb.157:
	v_mul_f32_e32 v5, v2, v2
	ds_load_b64 v[6:7], v3 offset:40
	ds_load_b64 v[16:17], v14 offset:40
	v_fmac_f32_e32 v5, v0, v0
	s_delay_alu instid0(VALU_DEP_1) | instskip(NEXT) | instid1(VALU_DEP_1)
	v_div_scale_f32 v15, null, v5, v5, 1.0
	v_rcp_f32_e32 v18, v15
	s_wait_dscnt 0x0
	v_pk_add_f32 v[6:7], v[6:7], v[16:17] op_sel:[1,1] op_sel_hi:[0,0] neg_lo:[0,1] neg_hi:[0,1]
	s_delay_alu instid0(TRANS32_DEP_1) | instskip(NEXT) | instid1(VALU_DEP_2)
	v_fma_f32 v19, -v15, v18, 1.0
	v_pk_mul_f32 v[16:17], v[2:3], v[6:7] op_sel:[0,1] op_sel_hi:[0,0] neg_lo:[0,1]
	s_delay_alu instid0(VALU_DEP_2) | instskip(SKIP_1) | instid1(VALU_DEP_3)
	v_fmac_f32_e32 v18, v19, v18
	v_div_scale_f32 v20, vcc_lo, 1.0, v5, 1.0
	v_pk_fma_f32 v[6:7], v[6:7], v[0:1], v[16:17] op_sel_hi:[1,0,1]
	s_delay_alu instid0(VALU_DEP_2) | instskip(NEXT) | instid1(VALU_DEP_1)
	v_mul_f32_e32 v19, v20, v18
	v_fma_f32 v21, -v15, v19, v20
	s_delay_alu instid0(VALU_DEP_1) | instskip(NEXT) | instid1(VALU_DEP_1)
	v_fmac_f32_e32 v19, v21, v18
	v_fma_f32 v15, -v15, v19, v20
	s_delay_alu instid0(VALU_DEP_1) | instskip(NEXT) | instid1(VALU_DEP_1)
	v_div_fmas_f32 v2, v15, v18, v19
	v_div_fixup_f32 v0, v2, v5, 1.0
	s_delay_alu instid0(VALU_DEP_1) | instskip(NEXT) | instid1(VALU_DEP_1)
	v_pk_mul_f32 v[6:7], v[0:1], v[6:7] op_sel_hi:[0,1]
	v_dual_mov_b32 v16, v7 :: v_dual_mov_b32 v17, v6
	ds_store_b64 v3, v[16:17] offset:40
	s_wait_storecnt_dscnt 0x0
	ds_load_b64 v[16:17], v13 offset:40
	ds_load_b64 v[18:19], v12
	s_wait_dscnt 0x0
	v_pk_fma_f32 v[18:19], v[6:7], v[16:17], v[18:19] op_sel:[1,0,0] op_sel_hi:[0,0,1]
	s_delay_alu instid0(VALU_DEP_1)
	v_pk_fma_f32 v[6:7], v[6:7], v[16:17], v[18:19] op_sel:[0,1,0] neg_hi:[0,1,0]
	ds_store_b64 v12, v[6:7]
.LBB46_158:
	s_or_b32 exec_lo, exec_lo, s1
	s_delay_alu instid0(SALU_CYCLE_1)
	s_mov_b32 s1, exec_lo
	s_wait_storecnt_dscnt 0x0
	v_cmpx_eq_u32_e32 6, v9
	s_cbranch_execz .LBB46_166
; %bb.159:
	v_mov_b32_e32 v0, 0
	ds_load_2addr_b64 v[16:19], v0 offset0:166 offset1:222
	s_wait_dscnt 0x0
	v_readfirstlane_b32 s13, v18
	v_readfirstlane_b32 s14, v16
	;; [unrolled: 1-line block ×3, first 2 shown]
	s_sub_f32 s13, s14, s13
	v_readfirstlane_b32 s14, v19
	s_delay_alu instid0(SALU_CYCLE_2) | instskip(SKIP_4) | instid1(SALU_CYCLE_1)
	s_xor_b32 s19, s13, 0x80000000
	s_cmp_lt_f32 s13, 0
	s_sub_f32 s18, s15, s14
	s_mov_b32 s15, 0
	s_cselect_b32 s13, s19, s13
	s_xor_b32 s14, s18, 0x80000000
	s_cmp_lt_f32 s18, 0
	s_cselect_b32 s14, s14, s18
	s_delay_alu instid0(SALU_CYCLE_1)
	s_cmp_gt_f32 s13, s14
	s_cbranch_scc1 .LBB46_163
; %bb.160:
	s_cmp_eq_f32 s18, 0
	s_cbranch_scc1 .LBB46_162
; %bb.161:
	v_div_scale_f32 v0, null, s14, s14, s13
	v_div_scale_f32 v6, vcc_lo, s13, s14, s13
	s_delay_alu instid0(VALU_DEP_2)
	v_rcp_f32_e32 v2, v0
	v_nop
	v_xor_b32_e32 v0, 0x80000000, v0
	s_delay_alu instid0(TRANS32_DEP_1) | instid1(VALU_DEP_1)
	v_fma_f32 v5, v0, v2, 1.0
	s_delay_alu instid0(VALU_DEP_1) | instskip(NEXT) | instid1(VALU_DEP_1)
	v_fmac_f32_e32 v2, v5, v2
	v_mul_f32_e32 v5, v6, v2
	s_delay_alu instid0(VALU_DEP_1) | instskip(NEXT) | instid1(VALU_DEP_1)
	v_fma_f32 v7, v0, v5, v6
	v_fmac_f32_e32 v5, v7, v2
	s_delay_alu instid0(VALU_DEP_1) | instskip(NEXT) | instid1(VALU_DEP_1)
	v_fmac_f32_e32 v6, v0, v5
	v_div_fmas_f32 v0, v6, v2, v5
	s_delay_alu instid0(VALU_DEP_1) | instskip(NEXT) | instid1(VALU_DEP_1)
	v_div_fixup_f32 v0, v0, s14, s13
	v_readfirstlane_b32 s15, v0
	s_fmaak_f32 s15, s15, s15, 0x3f800000
	s_delay_alu instid0(SALU_CYCLE_3) | instskip(SKIP_1) | instid1(SALU_CYCLE_2)
	s_mul_f32 s18, s15, 0x4f800000
	s_cmp_lt_f32 s15, 0xf800000
	s_cselect_b32 s18, s18, s15
	s_delay_alu instid0(SALU_CYCLE_1) | instskip(SKIP_1) | instid1(TRANS32_DEP_1)
	v_s_sqrt_f32 s19, s18
	s_mov_b32 s21, s18
	s_add_co_i32 s20, s19, -1
	s_delay_alu instid0(SALU_CYCLE_1) | instskip(NEXT) | instid1(SALU_CYCLE_1)
	s_xor_b32 s22, s20, 0x80000000
	s_fmac_f32 s21, s22, s19
	s_mov_b32 s22, s18
	s_delay_alu instid0(SALU_CYCLE_2) | instskip(SKIP_2) | instid1(SALU_CYCLE_1)
	s_cmp_le_f32 s21, 0
	s_cselect_b32 s20, s20, s19
	s_add_co_i32 s21, s19, 1
	s_xor_b32 s23, s21, 0x80000000
	s_delay_alu instid0(SALU_CYCLE_1) | instskip(NEXT) | instid1(SALU_CYCLE_3)
	s_fmac_f32 s22, s23, s19
	s_cmp_gt_f32 s22, 0
	s_cselect_b32 s19, s21, s20
	s_cmp_lt_f32 s15, 0xf800000
	s_mul_f32 s15, s19, 0x37800000
	v_cmp_class_f32_e64 s20, s18, 0x260
	s_delay_alu instid0(SALU_CYCLE_2) | instskip(SKIP_2) | instid1(SALU_CYCLE_1)
	s_cselect_b32 s15, s15, s19
	s_and_b32 s19, s20, exec_lo
	s_cselect_b32 s15, s18, s15
	s_mul_f32 s15, s14, s15
.LBB46_162:
	s_cbranch_execz .LBB46_164
	s_branch .LBB46_165
.LBB46_163:
                                        ; implicit-def: $sgpr15
.LBB46_164:
	v_div_scale_f32 v0, null, s13, s13, s14
	v_div_scale_f32 v6, vcc_lo, s14, s13, s14
	s_delay_alu instid0(VALU_DEP_2)
	v_rcp_f32_e32 v2, v0
	v_nop
	v_xor_b32_e32 v0, 0x80000000, v0
	s_delay_alu instid0(TRANS32_DEP_1) | instid1(VALU_DEP_1)
	v_fma_f32 v5, v0, v2, 1.0
	s_delay_alu instid0(VALU_DEP_1) | instskip(NEXT) | instid1(VALU_DEP_1)
	v_fmac_f32_e32 v2, v5, v2
	v_mul_f32_e32 v5, v6, v2
	s_delay_alu instid0(VALU_DEP_1) | instskip(NEXT) | instid1(VALU_DEP_1)
	v_fma_f32 v7, v0, v5, v6
	v_fmac_f32_e32 v5, v7, v2
	s_delay_alu instid0(VALU_DEP_1) | instskip(NEXT) | instid1(VALU_DEP_1)
	v_fmac_f32_e32 v6, v0, v5
	v_div_fmas_f32 v0, v6, v2, v5
	s_delay_alu instid0(VALU_DEP_1) | instskip(NEXT) | instid1(VALU_DEP_1)
	v_div_fixup_f32 v0, v0, s13, s14
	v_readfirstlane_b32 s14, v0
	s_fmaak_f32 s14, s14, s14, 0x3f800000
	s_delay_alu instid0(SALU_CYCLE_3) | instskip(SKIP_1) | instid1(SALU_CYCLE_2)
	s_mul_f32 s15, s14, 0x4f800000
	s_cmp_lt_f32 s14, 0xf800000
	s_cselect_b32 s15, s15, s14
	s_delay_alu instid0(SALU_CYCLE_1) | instskip(SKIP_1) | instid1(TRANS32_DEP_1)
	v_s_sqrt_f32 s18, s15
	s_mov_b32 s20, s15
	s_add_co_i32 s19, s18, -1
	s_delay_alu instid0(SALU_CYCLE_1) | instskip(NEXT) | instid1(SALU_CYCLE_1)
	s_xor_b32 s21, s19, 0x80000000
	s_fmac_f32 s20, s21, s18
	s_mov_b32 s21, s15
	s_delay_alu instid0(SALU_CYCLE_2) | instskip(SKIP_2) | instid1(SALU_CYCLE_1)
	s_cmp_le_f32 s20, 0
	s_cselect_b32 s19, s19, s18
	s_add_co_i32 s20, s18, 1
	s_xor_b32 s22, s20, 0x80000000
	s_delay_alu instid0(SALU_CYCLE_1) | instskip(NEXT) | instid1(SALU_CYCLE_3)
	s_fmac_f32 s21, s22, s18
	s_cmp_gt_f32 s21, 0
	s_cselect_b32 s18, s20, s19
	s_cmp_lt_f32 s14, 0xf800000
	s_mul_f32 s14, s18, 0x37800000
	v_cmp_class_f32_e64 s19, s15, 0x260
	s_delay_alu instid0(SALU_CYCLE_2) | instskip(SKIP_2) | instid1(SALU_CYCLE_1)
	s_cselect_b32 s14, s14, s18
	s_and_b32 s18, s19, exec_lo
	s_cselect_b32 s14, s15, s14
	s_mul_f32 s15, s13, s14
.LBB46_165:
	s_delay_alu instid0(SALU_CYCLE_3) | instskip(SKIP_2) | instid1(SALU_CYCLE_1)
	s_mul_f32 s13, s15, 0x4f800000
	s_cmp_lt_f32 s15, 0xf800000
	v_mov_b32_e32 v7, 0
	s_cselect_b32 s13, s13, s15
	s_delay_alu instid0(SALU_CYCLE_1) | instskip(SKIP_1) | instid1(TRANS32_DEP_1)
	v_s_sqrt_f32 s14, s13
	s_mov_b32 s19, s13
	s_add_co_i32 s18, s14, -1
	s_delay_alu instid0(SALU_CYCLE_1) | instskip(NEXT) | instid1(SALU_CYCLE_1)
	s_xor_b32 s20, s18, 0x80000000
	s_fmac_f32 s19, s20, s14
	s_mov_b32 s20, s13
	s_delay_alu instid0(SALU_CYCLE_2) | instskip(SKIP_2) | instid1(SALU_CYCLE_1)
	s_cmp_le_f32 s19, 0
	s_cselect_b32 s18, s18, s14
	s_add_co_i32 s19, s14, 1
	s_xor_b32 s21, s19, 0x80000000
	s_delay_alu instid0(SALU_CYCLE_1) | instskip(SKIP_1) | instid1(SALU_CYCLE_2)
	s_fmac_f32 s20, s21, s14
	v_cmp_class_f32_e64 s14, s13, 0x260
	s_cmp_gt_f32 s20, 0
	s_cselect_b32 s18, s19, s18
	s_cmp_lt_f32 s15, 0xf800000
	s_mul_f32 s15, s18, 0x37800000
	s_delay_alu instid0(SALU_CYCLE_3) | instskip(SKIP_2) | instid1(SALU_CYCLE_1)
	s_cselect_b32 s15, s15, s18
	s_and_b32 s14, s14, exec_lo
	s_cselect_b32 s13, s13, s15
	v_mov_b32_e32 v6, s13
	ds_store_b64 v7, v[6:7] offset:1328
.LBB46_166:
	s_or_b32 exec_lo, exec_lo, s1
	v_mov_b32_e32 v0, 0
	s_wait_dscnt 0x0
	ds_load_b64 v[6:7], v0 offset:1328
	s_wait_dscnt 0x0
	v_readfirstlane_b32 s1, v6
	v_readfirstlane_b32 s13, v7
	s_cmp_neq_f32 s1, 0
	s_cselect_b32 s14, -1, 0
	s_cmp_neq_f32 s13, 0
	s_cselect_b32 s15, -1, 0
	s_delay_alu instid0(SALU_CYCLE_1) | instskip(NEXT) | instid1(SALU_CYCLE_1)
	s_or_b32 s14, s14, s15
	s_nor_b32 s15, s14, s0
	s_and_b32 s0, s14, exec_lo
	s_cselect_b32 s0, s1, 1.0
	s_cselect_b32 s1, s13, 0
	s_delay_alu instid0(SALU_CYCLE_1)
	v_dual_mov_b32 v0, s0 :: v_dual_mov_b32 v2, s1
	s_and_saveexec_b32 s0, s15
	s_cbranch_execz .LBB46_170
; %bb.167:
	v_mbcnt_lo_u32_b32 v0, exec_lo, 0
	s_mov_b32 s1, exec_lo
	s_delay_alu instid0(VALU_DEP_1)
	v_cmpx_eq_u32_e32 0, v0
	s_cbranch_execz .LBB46_169
; %bb.168:
	v_dual_mov_b32 v0, 0 :: v_dual_mov_b32 v2, s12
	global_atomic_min_i32 v0, v2, s[10:11] scope:SCOPE_DEV
.LBB46_169:
	s_wait_xcnt 0x0
	s_or_b32 exec_lo, exec_lo, s1
	v_dual_mov_b32 v2, 0 :: v_dual_mov_b32 v0, 1.0
.LBB46_170:
	s_or_b32 exec_lo, exec_lo, s0
	s_delay_alu instid0(SALU_CYCLE_1)
	s_mov_b32 s0, exec_lo
	v_cmpx_lt_u32_e32 6, v9
	s_cbranch_execz .LBB46_172
; %bb.171:
	v_mul_f32_e32 v5, v2, v2
	ds_load_b64 v[6:7], v3 offset:48
	ds_load_b64 v[14:15], v14 offset:48
	v_fmac_f32_e32 v5, v0, v0
	s_delay_alu instid0(VALU_DEP_1) | instskip(SKIP_1) | instid1(VALU_DEP_2)
	v_div_scale_f32 v16, null, v5, v5, 1.0
	v_div_scale_f32 v19, vcc_lo, 1.0, v5, 1.0
	v_rcp_f32_e32 v17, v16
	s_wait_dscnt 0x0
	v_pk_add_f32 v[6:7], v[6:7], v[14:15] op_sel:[1,1] op_sel_hi:[0,0] neg_lo:[0,1] neg_hi:[0,1]
	s_delay_alu instid0(TRANS32_DEP_1) | instskip(NEXT) | instid1(VALU_DEP_2)
	v_fma_f32 v18, -v16, v17, 1.0
	v_pk_mul_f32 v[14:15], v[2:3], v[6:7] op_sel:[0,1] op_sel_hi:[0,0] neg_lo:[0,1]
	s_delay_alu instid0(VALU_DEP_2) | instskip(NEXT) | instid1(VALU_DEP_2)
	v_fmac_f32_e32 v17, v18, v17
	v_pk_fma_f32 v[6:7], v[6:7], v[0:1], v[14:15] op_sel_hi:[1,0,1]
	s_delay_alu instid0(VALU_DEP_2) | instskip(NEXT) | instid1(VALU_DEP_1)
	v_mul_f32_e32 v18, v19, v17
	v_fma_f32 v20, -v16, v18, v19
	s_delay_alu instid0(VALU_DEP_1) | instskip(NEXT) | instid1(VALU_DEP_1)
	v_fmac_f32_e32 v18, v20, v17
	v_fma_f32 v16, -v16, v18, v19
	s_delay_alu instid0(VALU_DEP_1) | instskip(NEXT) | instid1(VALU_DEP_1)
	v_div_fmas_f32 v2, v16, v17, v18
	v_div_fixup_f32 v0, v2, v5, 1.0
	s_delay_alu instid0(VALU_DEP_1) | instskip(NEXT) | instid1(VALU_DEP_1)
	v_pk_mul_f32 v[6:7], v[0:1], v[6:7] op_sel_hi:[0,1]
	v_dual_mov_b32 v14, v7 :: v_dual_mov_b32 v15, v6
	ds_store_b64 v3, v[14:15] offset:48
	s_wait_storecnt_dscnt 0x0
	ds_load_b64 v[2:3], v13 offset:48
	ds_load_b64 v[14:15], v12
	s_wait_dscnt 0x0
	v_pk_fma_f32 v[14:15], v[6:7], v[2:3], v[14:15] op_sel:[1,0,0] op_sel_hi:[0,0,1]
	s_delay_alu instid0(VALU_DEP_1)
	v_pk_fma_f32 v[2:3], v[6:7], v[2:3], v[14:15] op_sel:[0,1,0] neg_hi:[0,1,0]
	ds_store_b64 v12, v[2:3]
.LBB46_172:
	s_or_b32 exec_lo, exec_lo, s0
	s_delay_alu instid0(SALU_CYCLE_1)
	s_and_not1_b32 vcc_lo, exec_lo, s5
	s_wait_storecnt_dscnt 0x0
	s_cbranch_vccnz .LBB46_174
; %bb.173:
	v_mov_b32_e32 v10, v11
.LBB46_174:
	ds_load_b64 v[0:1], v1
	v_add_nc_u32_e32 v2, s4, v10
	s_mov_b32 s0, 0
	s_mov_b32 s1, exec_lo
	s_wait_dscnt 0x0
	global_store_b64 v2, v[0:1], s[16:17] scale_offset
	s_wait_xcnt 0x0
	v_cmpx_eq_u32_e32 0, v4
	s_cbranch_execz .LBB46_176
; %bb.175:
	v_dual_mov_b32 v0, 0 :: v_dual_mov_b32 v1, 1
	s_add_nc_u64 s[4:5], s[6:7], s[2:3]
	global_wb scope:SCOPE_DEV
	s_wait_storecnt 0x0
	global_store_b32 v0, v1, s[4:5] scope:SCOPE_DEV
.LBB46_176:
	s_wait_xcnt 0x0
	s_or_b32 exec_lo, exec_lo, s1
	s_delay_alu instid0(SALU_CYCLE_1)
	s_and_b32 vcc_lo, exec_lo, s0
	s_cbranch_vccz .LBB46_78
.LBB46_177:
	v_or_b32_e32 v0, v8, v9
	s_mov_b32 s0, exec_lo
	s_delay_alu instid0(VALU_DEP_1)
	v_cmpx_eq_u32_e32 0, v0
	s_cbranch_execz .LBB46_78
; %bb.178:
	v_mbcnt_lo_u32_b32 v0, exec_lo, 0
	s_mov_b32 s0, exec_lo
	s_delay_alu instid0(VALU_DEP_1)
	v_cmpx_eq_u32_e32 0, v0
	s_cbranch_execz .LBB46_180
; %bb.179:
	s_add_co_i32 s1, s8, s9
	s_delay_alu instid0(SALU_CYCLE_1)
	v_dual_mov_b32 v0, 0 :: v_dual_mov_b32 v1, s1
	global_atomic_min_i32 v0, v1, s[10:11] scope:SCOPE_DEV
.LBB46_180:
	s_wait_xcnt 0x0
	s_or_b32 exec_lo, exec_lo, s0
	v_dual_mov_b32 v0, 0 :: v_dual_mov_b32 v1, 1
	s_add_nc_u64 s[0:1], s[6:7], s[2:3]
	global_wb scope:SCOPE_DEV
	s_wait_storecnt 0x0
	global_store_b32 v0, v1, s[0:1] scope:SCOPE_DEV
	s_endpgm
	.section	.rodata,"a",@progbits
	.p2align	6, 0x0
	.amdhsa_kernel _ZN9rocsparseL26bsric0_2_8_unrolled_kernelILi49ELi32ELi7E21rocsparse_complex_numIfEEEv20rocsparse_direction_iiPKiS5_PT2_S5_PiS5_S8_21rocsparse_index_base_
		.amdhsa_group_segment_fixed_size 2176
		.amdhsa_private_segment_fixed_size 0
		.amdhsa_kernarg_size 76
		.amdhsa_user_sgpr_count 2
		.amdhsa_user_sgpr_dispatch_ptr 0
		.amdhsa_user_sgpr_queue_ptr 0
		.amdhsa_user_sgpr_kernarg_segment_ptr 1
		.amdhsa_user_sgpr_dispatch_id 0
		.amdhsa_user_sgpr_kernarg_preload_length 0
		.amdhsa_user_sgpr_kernarg_preload_offset 0
		.amdhsa_user_sgpr_private_segment_size 0
		.amdhsa_wavefront_size32 1
		.amdhsa_uses_dynamic_stack 0
		.amdhsa_enable_private_segment 0
		.amdhsa_system_sgpr_workgroup_id_x 1
		.amdhsa_system_sgpr_workgroup_id_y 0
		.amdhsa_system_sgpr_workgroup_id_z 0
		.amdhsa_system_sgpr_workgroup_info 0
		.amdhsa_system_vgpr_workitem_id 1
		.amdhsa_next_free_vgpr 56
		.amdhsa_next_free_sgpr 37
		.amdhsa_named_barrier_count 0
		.amdhsa_reserve_vcc 1
		.amdhsa_float_round_mode_32 0
		.amdhsa_float_round_mode_16_64 0
		.amdhsa_float_denorm_mode_32 3
		.amdhsa_float_denorm_mode_16_64 3
		.amdhsa_fp16_overflow 0
		.amdhsa_memory_ordered 1
		.amdhsa_forward_progress 1
		.amdhsa_inst_pref_size 124
		.amdhsa_round_robin_scheduling 0
		.amdhsa_exception_fp_ieee_invalid_op 0
		.amdhsa_exception_fp_denorm_src 0
		.amdhsa_exception_fp_ieee_div_zero 0
		.amdhsa_exception_fp_ieee_overflow 0
		.amdhsa_exception_fp_ieee_underflow 0
		.amdhsa_exception_fp_ieee_inexact 0
		.amdhsa_exception_int_div_zero 0
	.end_amdhsa_kernel
	.section	.text._ZN9rocsparseL26bsric0_2_8_unrolled_kernelILi49ELi32ELi7E21rocsparse_complex_numIfEEEv20rocsparse_direction_iiPKiS5_PT2_S5_PiS5_S8_21rocsparse_index_base_,"axG",@progbits,_ZN9rocsparseL26bsric0_2_8_unrolled_kernelILi49ELi32ELi7E21rocsparse_complex_numIfEEEv20rocsparse_direction_iiPKiS5_PT2_S5_PiS5_S8_21rocsparse_index_base_,comdat
.Lfunc_end46:
	.size	_ZN9rocsparseL26bsric0_2_8_unrolled_kernelILi49ELi32ELi7E21rocsparse_complex_numIfEEEv20rocsparse_direction_iiPKiS5_PT2_S5_PiS5_S8_21rocsparse_index_base_, .Lfunc_end46-_ZN9rocsparseL26bsric0_2_8_unrolled_kernelILi49ELi32ELi7E21rocsparse_complex_numIfEEEv20rocsparse_direction_iiPKiS5_PT2_S5_PiS5_S8_21rocsparse_index_base_
                                        ; -- End function
	.set _ZN9rocsparseL26bsric0_2_8_unrolled_kernelILi49ELi32ELi7E21rocsparse_complex_numIfEEEv20rocsparse_direction_iiPKiS5_PT2_S5_PiS5_S8_21rocsparse_index_base_.num_vgpr, 56
	.set _ZN9rocsparseL26bsric0_2_8_unrolled_kernelILi49ELi32ELi7E21rocsparse_complex_numIfEEEv20rocsparse_direction_iiPKiS5_PT2_S5_PiS5_S8_21rocsparse_index_base_.num_agpr, 0
	.set _ZN9rocsparseL26bsric0_2_8_unrolled_kernelILi49ELi32ELi7E21rocsparse_complex_numIfEEEv20rocsparse_direction_iiPKiS5_PT2_S5_PiS5_S8_21rocsparse_index_base_.numbered_sgpr, 37
	.set _ZN9rocsparseL26bsric0_2_8_unrolled_kernelILi49ELi32ELi7E21rocsparse_complex_numIfEEEv20rocsparse_direction_iiPKiS5_PT2_S5_PiS5_S8_21rocsparse_index_base_.num_named_barrier, 0
	.set _ZN9rocsparseL26bsric0_2_8_unrolled_kernelILi49ELi32ELi7E21rocsparse_complex_numIfEEEv20rocsparse_direction_iiPKiS5_PT2_S5_PiS5_S8_21rocsparse_index_base_.private_seg_size, 0
	.set _ZN9rocsparseL26bsric0_2_8_unrolled_kernelILi49ELi32ELi7E21rocsparse_complex_numIfEEEv20rocsparse_direction_iiPKiS5_PT2_S5_PiS5_S8_21rocsparse_index_base_.uses_vcc, 1
	.set _ZN9rocsparseL26bsric0_2_8_unrolled_kernelILi49ELi32ELi7E21rocsparse_complex_numIfEEEv20rocsparse_direction_iiPKiS5_PT2_S5_PiS5_S8_21rocsparse_index_base_.uses_flat_scratch, 0
	.set _ZN9rocsparseL26bsric0_2_8_unrolled_kernelILi49ELi32ELi7E21rocsparse_complex_numIfEEEv20rocsparse_direction_iiPKiS5_PT2_S5_PiS5_S8_21rocsparse_index_base_.has_dyn_sized_stack, 0
	.set _ZN9rocsparseL26bsric0_2_8_unrolled_kernelILi49ELi32ELi7E21rocsparse_complex_numIfEEEv20rocsparse_direction_iiPKiS5_PT2_S5_PiS5_S8_21rocsparse_index_base_.has_recursion, 0
	.set _ZN9rocsparseL26bsric0_2_8_unrolled_kernelILi49ELi32ELi7E21rocsparse_complex_numIfEEEv20rocsparse_direction_iiPKiS5_PT2_S5_PiS5_S8_21rocsparse_index_base_.has_indirect_call, 0
	.section	.AMDGPU.csdata,"",@progbits
; Kernel info:
; codeLenInByte = 15772
; TotalNumSgprs: 39
; NumVgprs: 56
; ScratchSize: 0
; MemoryBound: 0
; FloatMode: 240
; IeeeMode: 1
; LDSByteSize: 2176 bytes/workgroup (compile time only)
; SGPRBlocks: 0
; VGPRBlocks: 3
; NumSGPRsForWavesPerEU: 39
; NumVGPRsForWavesPerEU: 56
; NamedBarCnt: 0
; Occupancy: 16
; WaveLimiterHint : 1
; COMPUTE_PGM_RSRC2:SCRATCH_EN: 0
; COMPUTE_PGM_RSRC2:USER_SGPR: 2
; COMPUTE_PGM_RSRC2:TRAP_HANDLER: 0
; COMPUTE_PGM_RSRC2:TGID_X_EN: 1
; COMPUTE_PGM_RSRC2:TGID_Y_EN: 0
; COMPUTE_PGM_RSRC2:TGID_Z_EN: 0
; COMPUTE_PGM_RSRC2:TIDIG_COMP_CNT: 1
	.section	.text._ZN9rocsparseL26bsric0_2_8_unrolled_kernelILi64ELi32ELi8E21rocsparse_complex_numIfEEEv20rocsparse_direction_iiPKiS5_PT2_S5_PiS5_S8_21rocsparse_index_base_,"axG",@progbits,_ZN9rocsparseL26bsric0_2_8_unrolled_kernelILi64ELi32ELi8E21rocsparse_complex_numIfEEEv20rocsparse_direction_iiPKiS5_PT2_S5_PiS5_S8_21rocsparse_index_base_,comdat
	.globl	_ZN9rocsparseL26bsric0_2_8_unrolled_kernelILi64ELi32ELi8E21rocsparse_complex_numIfEEEv20rocsparse_direction_iiPKiS5_PT2_S5_PiS5_S8_21rocsparse_index_base_ ; -- Begin function _ZN9rocsparseL26bsric0_2_8_unrolled_kernelILi64ELi32ELi8E21rocsparse_complex_numIfEEEv20rocsparse_direction_iiPKiS5_PT2_S5_PiS5_S8_21rocsparse_index_base_
	.p2align	8
	.type	_ZN9rocsparseL26bsric0_2_8_unrolled_kernelILi64ELi32ELi8E21rocsparse_complex_numIfEEEv20rocsparse_direction_iiPKiS5_PT2_S5_PiS5_S8_21rocsparse_index_base_,@function
_ZN9rocsparseL26bsric0_2_8_unrolled_kernelILi64ELi32ELi8E21rocsparse_complex_numIfEEEv20rocsparse_direction_iiPKiS5_PT2_S5_PiS5_S8_21rocsparse_index_base_: ; @_ZN9rocsparseL26bsric0_2_8_unrolled_kernelILi64ELi32ELi8E21rocsparse_complex_numIfEEEv20rocsparse_direction_iiPKiS5_PT2_S5_PiS5_S8_21rocsparse_index_base_
; %bb.0:
	s_load_b256 s[4:11], s[0:1], 0x28
	s_bfe_u32 s2, ttmp6, 0x4000c
	s_and_b32 s3, ttmp6, 15
	s_add_co_i32 s2, s2, 1
	s_getreg_b32 s12, hwreg(HW_REG_IB_STS2, 6, 4)
	s_mul_i32 s2, ttmp9, s2
	v_and_b32_e32 v10, 0x3ff, v0
	s_add_co_i32 s3, s3, s2
	s_cmp_eq_u32 s12, 0
	v_bfe_u32 v11, v0, 10, 10
	s_cselect_b32 s2, ttmp9, s3
	s_wait_kmcnt 0x0
	s_load_b32 s8, s[8:9], s2 offset:0x0 scale_offset
	s_wait_kmcnt 0x0
	s_ashr_i32 s9, s8, 31
	s_delay_alu instid0(SALU_CYCLE_1) | instskip(NEXT) | instid1(SALU_CYCLE_1)
	s_lshl_b64 s[2:3], s[8:9], 2
	s_add_nc_u64 s[12:13], s[4:5], s[2:3]
	s_load_b32 s26, s[12:13], 0x0
	s_load_b32 s9, s[0:1], 0x48
	s_wait_kmcnt 0x0
	s_cmp_lg_u32 s26, -1
	s_cbranch_scc0 .LBB47_15
; %bb.1:
	s_load_b128 s[12:15], s[0:1], 0x10
	v_lshlrev_b32_e32 v16, 3, v11
	s_delay_alu instid0(VALU_DEP_1)
	v_add_nc_u32_e32 v15, v16, v10
	s_wait_kmcnt 0x0
	s_add_nc_u64 s[16:17], s[12:13], s[2:3]
	s_load_b32 s17, s[16:17], 0x0
	s_wait_xcnt 0x0
	s_mov_b32 s16, exec_lo
	s_wait_kmcnt 0x0
	s_sub_co_i32 s27, s17, s9
	s_delay_alu instid0(SALU_CYCLE_1) | instskip(NEXT) | instid1(VALU_DEP_1)
	v_add_nc_u32_e32 v0, s27, v15
	v_cmpx_ge_i32_e64 s26, v0
	s_cbranch_execz .LBB47_13
; %bb.2:
	v_add_nc_u32_e32 v1, s17, v15
	s_add_co_i32 s18, s26, 1
	v_not_b32_e32 v2, v10
	s_mov_b32 s19, -1
	s_delay_alu instid0(VALU_DEP_2) | instskip(NEXT) | instid1(VALU_DEP_1)
	v_subrev_nc_u32_e32 v1, s9, v1
	v_add_max_i32_e64 v1, v1, 64, s18
	s_mov_b32 s18, exec_lo
	s_delay_alu instid0(VALU_DEP_1) | instskip(SKIP_1) | instid1(VALU_DEP_1)
	v_add3_u32 v1, s9, v1, v2
	v_add_nc_u32_e32 v2, s17, v16
	v_sub_nc_u32_e32 v1, v1, v2
	s_delay_alu instid0(VALU_DEP_1)
	v_cmpx_lt_u32_e32 63, v1
	s_cbranch_execz .LBB47_10
; %bb.3:
	v_dual_lshrrev_b32 v4, 6, v1 :: v_dual_add_nc_u32 v1, 64, v0
	s_delay_alu instid0(VALU_DEP_1) | instskip(NEXT) | instid1(VALU_DEP_1)
	v_add_nc_u32_e32 v2, -1, v4
	v_lshrrev_b32_e32 v3, 1, v2
	s_delay_alu instid0(VALU_DEP_1)
	v_add_nc_u32_e32 v5, 1, v3
	v_cmp_lt_u32_e32 vcc_lo, 13, v2
	v_mov_b64_e32 v[2:3], v[0:1]
	s_and_saveexec_b32 s19, vcc_lo
	s_cbranch_execz .LBB47_7
; %bb.4:
	v_mov_b64_e32 v[2:3], v[0:1]
	v_and_b32_e32 v6, -8, v5
	s_mov_b32 s20, 0
.LBB47_5:                               ; =>This Inner Loop Header: Depth=1
	s_clause 0x1
	global_load_b32 v1, v2, s[14:15] scale_offset
	global_load_b32 v7, v3, s[14:15] scale_offset
	v_add_nc_u32_e32 v18, 0x200, v3
	v_add_nc_u32_e32 v14, 0x180, v3
	;; [unrolled: 1-line block ×14, first 2 shown]
	s_clause 0xd
	global_load_b32 v26, v18, s[14:15] scale_offset
	global_load_b32 v27, v14, s[14:15] scale_offset
	;; [unrolled: 1-line block ×14, first 2 shown]
	v_subrev_nc_u32_e32 v40, s27, v2
	v_subrev_nc_u32_e32 v41, s27, v3
	v_add_nc_u32_e32 v6, -8, v6
	s_wait_xcnt 0xa
	v_subrev_nc_u32_e32 v8, s27, v8
	s_wait_xcnt 0x9
	v_subrev_nc_u32_e32 v9, s27, v9
	v_dual_lshlrev_b32 v40, 2, v40 :: v_dual_lshlrev_b32 v41, 2, v41
	s_wait_xcnt 0x8
	v_subrev_nc_u32_e32 v13, s27, v13
	v_subrev_nc_u32_e32 v12, s27, v12
	v_cmp_eq_u32_e32 vcc_lo, 0, v6
	s_wait_xcnt 0x7
	v_subrev_nc_u32_e32 v17, s27, v17
	v_add_nc_u32_e32 v3, 0x400, v3
	v_subrev_nc_u32_e32 v14, s27, v14
	v_subrev_nc_u32_e32 v18, s27, v18
	s_wait_xcnt 0x6
	v_subrev_nc_u32_e32 v19, s27, v19
	s_wait_xcnt 0x3
	;; [unrolled: 2-line block ×3, first 2 shown]
	v_subrev_nc_u32_e32 v21, s27, v21
	v_subrev_nc_u32_e32 v22, s27, v22
	s_wait_xcnt 0x1
	v_subrev_nc_u32_e32 v23, s27, v23
	v_subrev_nc_u32_e32 v24, s27, v24
	s_wait_xcnt 0x0
	v_subrev_nc_u32_e32 v25, s27, v25
	v_add_nc_u32_e32 v2, 0x400, v2
	v_dual_lshlrev_b32 v9, 2, v9 :: v_dual_lshlrev_b32 v12, 2, v12
	v_dual_lshlrev_b32 v8, 2, v8 :: v_dual_lshlrev_b32 v13, 2, v13
	v_lshlrev_b32_e32 v14, 2, v14
	s_or_b32 s20, vcc_lo, s20
	v_dual_lshlrev_b32 v17, 2, v17 :: v_dual_lshlrev_b32 v19, 2, v19
	v_dual_lshlrev_b32 v18, 2, v18 :: v_dual_lshlrev_b32 v21, 2, v21
	;; [unrolled: 1-line block ×4, first 2 shown]
	v_lshlrev_b32_e32 v24, 2, v24
	s_wait_loadcnt 0xf
	v_subrev_nc_u32_e32 v1, s9, v1
	s_wait_loadcnt 0xe
	v_subrev_nc_u32_e32 v7, s9, v7
	ds_store_b32 v40, v1 offset:2560
	ds_store_b32 v41, v7 offset:2560
	s_wait_loadcnt 0xa
	v_subrev_nc_u32_e32 v1, s9, v29
	s_wait_loadcnt 0x9
	v_subrev_nc_u32_e32 v7, s9, v30
	;; [unrolled: 2-line block ×3, first 2 shown]
	v_subrev_nc_u32_e32 v28, s9, v28
	s_wait_loadcnt 0x7
	v_subrev_nc_u32_e32 v30, s9, v32
	v_subrev_nc_u32_e32 v27, s9, v27
	;; [unrolled: 1-line block ×3, first 2 shown]
	s_wait_loadcnt 0x6
	v_subrev_nc_u32_e32 v31, s9, v33
	s_wait_loadcnt 0x3
	v_subrev_nc_u32_e32 v32, s9, v36
	;; [unrolled: 2-line block ×3, first 2 shown]
	v_subrev_nc_u32_e32 v35, s9, v35
	s_wait_loadcnt 0x1
	v_subrev_nc_u32_e32 v36, s9, v38
	v_subrev_nc_u32_e32 v34, s9, v34
	s_wait_loadcnt 0x0
	v_subrev_nc_u32_e32 v37, s9, v39
	ds_store_b32 v9, v7 offset:2560
	ds_store_b32 v8, v1 offset:2560
	;; [unrolled: 1-line block ×14, first 2 shown]
	s_and_not1_b32 exec_lo, exec_lo, s20
	s_cbranch_execnz .LBB47_5
; %bb.6:
	s_or_b32 exec_lo, exec_lo, s20
.LBB47_7:
	s_delay_alu instid0(SALU_CYCLE_1) | instskip(SKIP_3) | instid1(VALU_DEP_1)
	s_or_b32 exec_lo, exec_lo, s19
	v_and_b32_e32 v1, 7, v5
	s_mov_b32 s20, 0
	s_mov_b32 s19, exec_lo
	v_cmpx_ne_u32_e32 0, v1
	s_cbranch_execz .LBB47_9
.LBB47_8:                               ; =>This Inner Loop Header: Depth=1
	s_clause 0x1
	global_load_b32 v5, v2, s[14:15] scale_offset
	global_load_b32 v6, v3, s[14:15] scale_offset
	v_subrev_nc_u32_e32 v7, s27, v2
	v_add_nc_u32_e32 v1, -1, v1
	v_subrev_nc_u32_e32 v8, s27, v3
	s_wait_xcnt 0x0
	v_add_nc_u32_e32 v3, 0x80, v3
	v_add_nc_u32_e32 v2, 0x80, v2
	v_lshlrev_b32_e32 v7, 2, v7
	v_cmp_eq_u32_e32 vcc_lo, 0, v1
	v_lshlrev_b32_e32 v8, 2, v8
	s_or_b32 s20, vcc_lo, s20
	s_wait_loadcnt 0x1
	v_subrev_nc_u32_e32 v5, s9, v5
	s_wait_loadcnt 0x0
	v_subrev_nc_u32_e32 v6, s9, v6
	ds_store_b32 v7, v5 offset:2560
	ds_store_b32 v8, v6 offset:2560
	s_and_not1_b32 exec_lo, exec_lo, s20
	s_cbranch_execnz .LBB47_8
.LBB47_9:
	s_or_b32 exec_lo, exec_lo, s19
	v_add_nc_u32_e32 v1, 1, v4
	s_delay_alu instid0(VALU_DEP_1) | instskip(NEXT) | instid1(VALU_DEP_1)
	v_and_b32_e32 v2, 0x7fffffe, v1
	v_cmp_ne_u32_e32 vcc_lo, v1, v2
	v_lshl_add_u32 v0, v2, 6, v0
	s_or_not1_b32 s19, vcc_lo, exec_lo
.LBB47_10:
	s_or_b32 exec_lo, exec_lo, s18
	s_delay_alu instid0(SALU_CYCLE_1)
	s_and_b32 exec_lo, exec_lo, s19
	s_cbranch_execz .LBB47_13
; %bb.11:
	v_add_nc_u32_e32 v1, s9, v0
	s_delay_alu instid0(VALU_DEP_1) | instskip(SKIP_2) | instid1(VALU_DEP_2)
	v_subrev_nc_u32_e32 v2, s17, v1
	v_ashrrev_i32_e32 v1, 31, v0
	s_mov_b32 s17, 0
	v_lshl_add_u32 v4, v2, 2, 0xa00
	s_delay_alu instid0(VALU_DEP_2)
	v_lshl_add_u64 v[2:3], v[0:1], 2, s[14:15]
.LBB47_12:                              ; =>This Inner Loop Header: Depth=1
	global_load_b32 v1, v[2:3], off
	v_add_nc_u32_e32 v0, 64, v0
	s_wait_xcnt 0x0
	v_add_nc_u64_e32 v[2:3], 0x100, v[2:3]
	s_delay_alu instid0(VALU_DEP_2)
	v_cmp_lt_i32_e32 vcc_lo, s26, v0
	s_or_b32 s17, vcc_lo, s17
	s_wait_loadcnt 0x0
	v_subrev_nc_u32_e32 v1, s9, v1
	ds_store_b32 v4, v1
	v_add_nc_u32_e32 v4, 0x100, v4
	s_and_not1_b32 exec_lo, exec_lo, s17
	s_cbranch_execnz .LBB47_12
.LBB47_13:
	s_or_b32 exec_lo, exec_lo, s16
	s_load_b64 s[16:17], s[0:1], 0x20
	s_movk_i32 s18, 0x48
	v_mov_b64_e32 v[0:1], 0
	v_mad_u32_u24 v13, v11, s18, 0x6c0
	s_cmp_lt_i32 s27, s26
	s_delay_alu instid0(VALU_DEP_1)
	v_lshl_add_u32 v12, v10, 3, v13
	ds_store_b64 v12, v[0:1]
	s_wait_dscnt 0x0
	s_cbranch_scc1 .LBB47_17
; %bb.14:
	v_lshl_add_u32 v17, v10, 3, v11
	v_or_b32_e32 v14, v10, v11
	s_wait_xcnt 0x0
	s_load_b32 s1, s[0:1], 0x0
	s_cbranch_execz .LBB47_18
	s_branch .LBB47_91
.LBB47_15:
	s_cbranch_execnz .LBB47_206
.LBB47_16:
	s_endpgm
.LBB47_17:
                                        ; implicit-def: $vgpr17
                                        ; implicit-def: $vgpr14
	s_wait_xcnt 0x0
	s_load_b32 s1, s[0:1], 0x0
.LBB47_18:
	v_dual_lshlrev_b32 v18, 3, v10 :: v_dual_bitop2_b32 v14, v10, v11 bitop3:0x54
	s_wait_xcnt 0x0
	s_movk_i32 s0, 0x48
	s_movk_i32 s18, 0x240
	s_wait_kmcnt 0x0
	s_cmp_lg_u32 s1, 0
	v_mad_u32_u24 v19, v11, s0, 0x480
	v_mad_u32_u24 v20, 0x48, v11, s18
	v_add_nc_u32_e32 v17, v18, v11
	s_cselect_b32 s28, -1, 0
	s_cmp_eq_u32 s1, 0
	v_add_nc_u32_e32 v21, v19, v18
	s_cselect_b32 vcc_lo, -1, 0
	v_mad_u32_u24 v22, 0x48, v11, v18
	v_dual_add_nc_u32 v23, v20, v18 :: v_dual_cndmask_b32 v25, v17, v15, vcc_lo
	v_mad_u32_u24 v24, v10, s0, 0x480
	v_cmp_ne_u32_e64 s0, 0, v14
	v_mov_b32_e32 v26, 0
	s_mov_b32 s18, s27
	s_branch .LBB47_20
.LBB47_19:                              ;   in Loop: Header=BB47_20 Depth=1
	s_and_b32 vcc_lo, exec_lo, s24
	s_cbranch_vccnz .LBB47_91
.LBB47_20:                              ; =>This Loop Header: Depth=1
                                        ;     Child Loop BB47_23 Depth 2
                                        ;     Child Loop BB47_34 Depth 2
	;; [unrolled: 1-line block ×10, first 2 shown]
	s_ashr_i32 s19, s18, 31
	s_delay_alu instid0(SALU_CYCLE_1) | instskip(NEXT) | instid1(SALU_CYCLE_1)
	s_lshl_b64 s[20:21], s[18:19], 2
	s_add_nc_u64 s[20:21], s[14:15], s[20:21]
	s_load_b32 s19, s[20:21], 0x0
	s_wait_kmcnt 0x0
	s_sub_co_i32 s22, s19, s9
	s_delay_alu instid0(SALU_CYCLE_1) | instskip(SKIP_2) | instid1(SALU_CYCLE_1)
	s_ashr_i32 s23, s22, 31
	s_wait_xcnt 0x0
	s_lshl_b64 s[20:21], s[22:23], 2
	s_add_nc_u64 s[24:25], s[4:5], s[20:21]
	s_load_b32 s23, s[24:25], 0x0
	s_wait_xcnt 0x0
	s_mov_b32 s24, -1
	s_wait_kmcnt 0x0
	s_cmp_eq_u32 s23, -1
	s_cbranch_scc1 .LBB47_19
; %bb.21:                               ;   in Loop: Header=BB47_20 Depth=1
	v_lshl_add_u32 v0, s18, 6, v25
	s_add_nc_u64 s[24:25], s[12:13], s[20:21]
	ds_load_b32 v1, v26 offset:2560
	s_load_b32 s24, s[24:25], 0x0
	global_load_b64 v[2:3], v0, s[16:17] scale_offset
	s_wait_dscnt 0x0
	v_cmp_ge_i32_e32 vcc_lo, s22, v1
	s_wait_kmcnt 0x0
	s_sub_co_i32 s24, s24, s9
	s_delay_alu instid0(SALU_CYCLE_1) | instskip(SKIP_1) | instid1(SALU_CYCLE_1)
	s_cmp_le_i32 s24, s23
	s_cselect_b32 s25, -1, 0
	s_and_b32 s25, s25, vcc_lo
	s_delay_alu instid0(SALU_CYCLE_1)
	s_and_not1_b32 vcc_lo, exec_lo, s25
	s_mov_b32 s25, 0
	s_wait_loadcnt 0x0
	ds_store_b64 v21, v[2:3]
	s_cbranch_vccnz .LBB47_33
; %bb.22:                               ;   in Loop: Header=BB47_20 Depth=1
	s_mov_b32 s29, 0
	s_mov_b32 s30, 0
.LBB47_23:                              ;   Parent Loop BB47_20 Depth=1
                                        ; =>  This Inner Loop Header: Depth=2
	s_ashr_i32 s25, s24, 31
	s_lshl_b32 s31, s30, 2
	s_lshl_b64 s[34:35], s[24:25], 2
	v_mov_b32_e32 v1, s31
	s_add_nc_u64 s[34:35], s[14:15], s[34:35]
                                        ; implicit-def: $sgpr33
	s_load_b32 s25, s[34:35], 0x0
	s_wait_xcnt 0x0
	s_mov_b32 s35, -1
	ds_load_b32 v1, v1 offset:2560
                                        ; implicit-def: $sgpr34
	s_wait_kmcnt 0x0
	s_sub_co_i32 s36, s25, s9
                                        ; implicit-def: $sgpr25
	s_wait_dscnt 0x0
	v_readfirstlane_b32 s31, v1
	v_cmp_ge_i32_e32 vcc_lo, s36, v1
	s_cbranch_vccz .LBB47_29
; %bb.24:                               ;   in Loop: Header=BB47_23 Depth=2
	s_cmp_le_i32 s36, s31
                                        ; implicit-def: $sgpr25
                                        ; implicit-def: $sgpr34
                                        ; implicit-def: $sgpr33
	s_cbranch_scc0 .LBB47_26
; %bb.25:                               ;   in Loop: Header=BB47_23 Depth=2
	s_add_co_i32 s25, s30, s27
	s_lshl_b32 s33, s29, 2
	s_lshl_b32 s25, s25, 6
	;; [unrolled: 1-line block ×3, first 2 shown]
	s_delay_alu instid0(SALU_CYCLE_1)
	v_dual_mov_b32 v1, s25 :: v_dual_mov_b32 v2, s34
	v_add_nc_u32_e64 v3, 0x800, s33
	s_add_co_i32 s33, s30, 1
	s_add_co_i32 s34, s24, 1
	;; [unrolled: 1-line block ×3, first 2 shown]
	s_mov_b32 s35, 0
	ds_store_2addr_b32 v3, v2, v1 offset0:64 offset1:96
.LBB47_26:                              ;   in Loop: Header=BB47_23 Depth=2
	s_and_not1_b32 vcc_lo, exec_lo, s35
	s_cbranch_vccnz .LBB47_28
; %bb.27:                               ;   in Loop: Header=BB47_23 Depth=2
	s_add_co_i32 s33, s30, 1
	s_mov_b32 s25, s29
	s_mov_b32 s34, s24
.LBB47_28:                              ;   in Loop: Header=BB47_23 Depth=2
	s_mov_b32 s35, 0
.LBB47_29:                              ;   in Loop: Header=BB47_23 Depth=2
	s_delay_alu instid0(SALU_CYCLE_1)
	s_and_not1_b32 vcc_lo, exec_lo, s35
	s_cbranch_vccnz .LBB47_31
; %bb.30:                               ;   in Loop: Header=BB47_23 Depth=2
	s_add_co_i32 s34, s24, 1
	s_mov_b32 s33, s30
	s_mov_b32 s25, s29
.LBB47_31:                              ;   in Loop: Header=BB47_23 Depth=2
	s_cmp_le_i32 s34, s23
	s_cselect_b32 s24, -1, 0
	s_cmp_le_i32 s31, s22
	s_cselect_b32 s29, -1, 0
	s_delay_alu instid0(SALU_CYCLE_1) | instskip(NEXT) | instid1(SALU_CYCLE_1)
	s_and_b32 s24, s24, s29
	s_and_b32 vcc_lo, exec_lo, s24
	s_cbranch_vccz .LBB47_33
; %bb.32:                               ;   in Loop: Header=BB47_23 Depth=2
	s_mov_b32 s29, s25
	s_mov_b32 s24, s34
	;; [unrolled: 1-line block ×3, first 2 shown]
	s_branch .LBB47_23
.LBB47_33:                              ;   in Loop: Header=BB47_20 Depth=1
	v_ashrrev_i32_e32 v1, 31, v0
	s_add_nc_u64 s[20:21], s[6:7], s[20:21]
	s_wait_dscnt 0x0
	s_wait_xcnt 0x0
	s_delay_alu instid0(VALU_DEP_1)
	v_lshl_add_u64 v[0:1], v[0:1], 3, s[16:17]
.LBB47_34:                              ;   Parent Loop BB47_20 Depth=1
                                        ; =>  This Inner Loop Header: Depth=2
	global_load_b32 v2, v26, s[20:21] scope:SCOPE_DEV
	s_wait_loadcnt 0x0
	v_cmp_eq_u32_e32 vcc_lo, 0, v2
	s_cbranch_vccnz .LBB47_34
; %bb.35:                               ;   in Loop: Header=BB47_20 Depth=1
	v_lshl_add_u32 v2, s23, 6, v25
	global_inv scope:SCOPE_DEV
	v_mov_b32_e32 v3, 0
	s_cmp_lt_i32 s25, 2
	global_load_b64 v[4:5], v2, s[16:17] scale_offset
	s_wait_xcnt 0x0
	v_mov_b32_e32 v2, 0
	s_wait_loadcnt 0x0
	ds_store_b64 v22, v[4:5]
	s_wait_dscnt 0x0
	s_cbranch_scc1 .LBB47_44
; %bb.36:                               ;   in Loop: Header=BB47_20 Depth=1
	v_mov_b64_e32 v[2:3], 0
	s_add_co_i32 s20, s25, -1
	s_movk_i32 s21, 0x900
.LBB47_37:                              ;   Parent Loop BB47_20 Depth=1
                                        ; =>  This Inner Loop Header: Depth=2
	s_wait_dscnt 0x0
	v_mov_b32_e32 v4, s21
	s_and_b32 vcc_lo, exec_lo, s28
	s_mov_b32 s22, -1
                                        ; implicit-def: $vgpr6_vgpr7
	ds_load_2addr_b32 v[4:5], v4 offset1:32
	s_cbranch_vccz .LBB47_40
; %bb.38:                               ;   in Loop: Header=BB47_37 Depth=2
	s_wait_dscnt 0x0
	v_dual_add_nc_u32 v27, v4, v10 :: v_dual_add_nc_u32 v54, v5, v11
	s_delay_alu instid0(VALU_DEP_1)
	v_dual_add_nc_u32 v30, 8, v27 :: v_dual_add_nc_u32 v38, 16, v54
	v_dual_add_nc_u32 v40, 16, v27 :: v_dual_add_nc_u32 v46, 32, v54
	v_add_nc_u32_e32 v47, 40, v27
	s_clause 0x2
	global_load_b64 v[6:7], v54, s[16:17] scale_offset
	global_load_b64 v[8:9], v30, s[16:17] scale_offset
	;; [unrolled: 1-line block ×3, first 2 shown]
	s_wait_xcnt 0x1
	v_dual_add_nc_u32 v30, 8, v54 :: v_dual_add_nc_u32 v39, 24, v27
	v_dual_add_nc_u32 v48, 32, v27 :: v_dual_add_nc_u32 v55, 48, v54
	v_add_nc_u32_e32 v56, 56, v27
	s_clause 0x3
	global_load_b64 v[30:31], v30, s[16:17] scale_offset
	global_load_b64 v[32:33], v38, s[16:17] scale_offset
	;; [unrolled: 1-line block ×4, first 2 shown]
	s_wait_xcnt 0x2
	v_dual_add_nc_u32 v38, 24, v54 :: v_dual_add_nc_u32 v27, 48, v27
	s_clause 0x3
	global_load_b64 v[38:39], v38, s[16:17] scale_offset
	global_load_b64 v[40:41], v46, s[16:17] scale_offset
	;; [unrolled: 1-line block ×4, first 2 shown]
	s_wait_xcnt 0x2
	v_add_nc_u32_e32 v46, 40, v54
	s_clause 0x3
	global_load_b64 v[46:47], v46, s[16:17] scale_offset
	global_load_b64 v[48:49], v55, s[16:17] scale_offset
	global_load_b64 v[50:51], v56, s[16:17] scale_offset
	global_load_b64 v[52:53], v27, s[16:17] scale_offset
	s_wait_xcnt 0x0
	v_add_nc_u32_e32 v27, 56, v54
	global_load_b64 v[54:55], v27, s[16:17] scale_offset
	s_wait_loadcnt 0xd
	v_pk_fma_f32 v[56:57], v[28:29], v[6:7], v[2:3] op_sel:[1,0,0] op_sel_hi:[0,0,1]
	s_delay_alu instid0(VALU_DEP_1) | instskip(SKIP_1) | instid1(VALU_DEP_1)
	v_pk_fma_f32 v[6:7], v[28:29], v[6:7], v[56:57] op_sel:[0,1,0] neg_lo:[0,1,0]
	s_wait_loadcnt 0xc
	v_pk_fma_f32 v[6:7], v[8:9], v[30:31], v[6:7] op_sel:[1,0,0] op_sel_hi:[0,0,1]
	s_delay_alu instid0(VALU_DEP_1) | instskip(SKIP_1) | instid1(VALU_DEP_1)
	v_pk_fma_f32 v[6:7], v[8:9], v[30:31], v[6:7] op_sel:[0,1,0] neg_lo:[0,1,0]
	;; [unrolled: 4-line block ×7, first 2 shown]
	s_wait_loadcnt 0x0
	v_pk_fma_f32 v[6:7], v[50:51], v[54:55], v[6:7] op_sel:[1,0,0] op_sel_hi:[0,0,1]
	s_delay_alu instid0(VALU_DEP_1)
	v_pk_fma_f32 v[6:7], v[50:51], v[54:55], v[6:7] op_sel:[0,1,0] neg_lo:[0,1,0]
	s_cbranch_execz .LBB47_41
.LBB47_39:                              ;   in Loop: Header=BB47_37 Depth=2
	s_add_co_i32 s20, s20, -1
	s_add_co_i32 s21, s21, 4
	s_cmp_eq_u32 s20, 0
	s_cbranch_scc0 .LBB47_42
	s_branch .LBB47_43
.LBB47_40:                              ;   in Loop: Header=BB47_37 Depth=2
	s_and_not1_b32 vcc_lo, exec_lo, s22
	s_cbranch_vccnz .LBB47_39
.LBB47_41:                              ;   in Loop: Header=BB47_37 Depth=2
	s_wait_dscnt 0x0
	v_dual_add_nc_u32 v4, v4, v18 :: v_dual_add_nc_u32 v6, v5, v16
	s_delay_alu instid0(VALU_DEP_1) | instskip(NEXT) | instid1(VALU_DEP_1)
	v_dual_ashrrev_i32 v5, 31, v4 :: v_dual_ashrrev_i32 v7, 31, v6
	v_lshl_add_u64 v[8:9], v[4:5], 3, s[16:17]
	s_delay_alu instid0(VALU_DEP_2)
	v_lshl_add_u64 v[56:57], v[6:7], 3, s[16:17]
	s_clause 0x7
	global_load_b128 v[4:7], v[8:9], off
	global_load_b128 v[28:31], v[56:57], off
	global_load_b128 v[32:35], v[56:57], off offset:16
	global_load_b128 v[36:39], v[8:9], off offset:16
	;; [unrolled: 1-line block ×6, first 2 shown]
	s_wait_loadcnt 0x7
	s_wait_xcnt 0x0
	v_dual_mov_b32 v8, v7 :: v_dual_mov_b32 v9, v6
	s_wait_loadcnt 0x6
	v_pk_fma_f32 v[2:3], v[4:5], v[28:29], v[2:3] op_sel:[1,0,0] op_sel_hi:[0,0,1]
	s_delay_alu instid0(VALU_DEP_1) | instskip(SKIP_1) | instid1(VALU_DEP_2)
	v_pk_fma_f32 v[2:3], v[4:5], v[28:29], v[2:3] op_sel:[0,1,0] neg_lo:[0,1,0]
	v_mov_b32_e32 v4, v31
	v_pk_fma_f32 v[2:3], v[8:9], v[30:31], v[2:3] op_sel_hi:[1,0,1]
	s_delay_alu instid0(VALU_DEP_1) | instskip(SKIP_3) | instid1(VALU_DEP_3)
	v_pk_fma_f32 v[2:3], v[6:7], v[4:5], v[2:3] op_sel_hi:[1,0,1] neg_lo:[0,1,0]
	s_wait_loadcnt 0x4
	v_dual_mov_b32 v4, v39 :: v_dual_mov_b32 v6, v35
	v_mov_b32_e32 v5, v38
	v_pk_fma_f32 v[2:3], v[36:37], v[32:33], v[2:3] op_sel:[1,0,0] op_sel_hi:[0,0,1]
	s_delay_alu instid0(VALU_DEP_1) | instskip(NEXT) | instid1(VALU_DEP_1)
	v_pk_fma_f32 v[2:3], v[36:37], v[32:33], v[2:3] op_sel:[0,1,0] neg_lo:[0,1,0]
	v_pk_fma_f32 v[2:3], v[4:5], v[34:35], v[2:3] op_sel_hi:[1,0,1]
	s_wait_loadcnt 0x3
	v_dual_mov_b32 v4, v43 :: v_dual_mov_b32 v5, v42
	s_delay_alu instid0(VALU_DEP_2) | instskip(SKIP_2) | instid1(VALU_DEP_2)
	v_pk_fma_f32 v[2:3], v[38:39], v[6:7], v[2:3] op_sel_hi:[1,0,1] neg_lo:[0,1,0]
	s_wait_loadcnt 0x2
	v_mov_b32_e32 v6, v47
	v_pk_fma_f32 v[2:3], v[40:41], v[44:45], v[2:3] op_sel:[1,0,0] op_sel_hi:[0,0,1]
	s_delay_alu instid0(VALU_DEP_1) | instskip(NEXT) | instid1(VALU_DEP_1)
	v_pk_fma_f32 v[2:3], v[40:41], v[44:45], v[2:3] op_sel:[0,1,0] neg_lo:[0,1,0]
	v_pk_fma_f32 v[2:3], v[4:5], v[46:47], v[2:3] op_sel_hi:[1,0,1]
	s_wait_loadcnt 0x0
	v_dual_mov_b32 v4, v55 :: v_dual_mov_b32 v5, v54
	s_delay_alu instid0(VALU_DEP_2) | instskip(NEXT) | instid1(VALU_DEP_1)
	v_pk_fma_f32 v[2:3], v[42:43], v[6:7], v[2:3] op_sel_hi:[1,0,1] neg_lo:[0,1,0]
	v_pk_fma_f32 v[2:3], v[52:53], v[48:49], v[2:3] op_sel:[1,0,0] op_sel_hi:[0,0,1]
	s_delay_alu instid0(VALU_DEP_1) | instskip(NEXT) | instid1(VALU_DEP_1)
	v_pk_fma_f32 v[2:3], v[52:53], v[48:49], v[2:3] op_sel:[0,1,0] neg_lo:[0,1,0]
	v_pk_fma_f32 v[2:3], v[4:5], v[50:51], v[2:3] op_sel_hi:[1,0,1]
	v_mov_b32_e32 v4, v51
	s_delay_alu instid0(VALU_DEP_1)
	v_pk_fma_f32 v[6:7], v[54:55], v[4:5], v[2:3] op_sel_hi:[1,0,1] neg_lo:[0,1,0]
	s_add_co_i32 s20, s20, -1
	s_add_co_i32 s21, s21, 4
	s_cmp_eq_u32 s20, 0
	s_cbranch_scc1 .LBB47_43
.LBB47_42:                              ;   in Loop: Header=BB47_37 Depth=2
	v_mov_b64_e32 v[2:3], v[6:7]
	s_branch .LBB47_37
.LBB47_43:                              ;   in Loop: Header=BB47_20 Depth=1
	v_dual_mov_b32 v3, v6 :: v_dual_mov_b32 v2, v7
.LBB47_44:                              ;   in Loop: Header=BB47_20 Depth=1
	ds_store_b64 v23, v[2:3]
	s_wait_dscnt 0x0
	ds_load_b64 v[2:3], v26
	s_wait_dscnt 0x0
	v_readfirstlane_b32 s20, v2
	v_readfirstlane_b32 s21, v3
	ds_load_b64 v[2:3], v19
	s_cmp_neq_f32 s20, 0
	s_cselect_b32 s22, -1, 0
	s_cmp_neq_f32 s21, 0
	s_cselect_b32 s23, -1, 0
	s_delay_alu instid0(SALU_CYCLE_1) | instskip(NEXT) | instid1(SALU_CYCLE_1)
	s_or_b32 s22, s22, s23
	s_nor_b32 s23, s22, s0
	s_and_b32 s22, s22, exec_lo
	s_cselect_b32 s20, s20, 1.0
	s_cselect_b32 s21, s21, 0
	s_delay_alu instid0(SALU_CYCLE_1)
	v_dual_mov_b32 v4, s20 :: v_dual_mov_b32 v6, s21
	s_and_saveexec_b32 s20, s23
	s_cbranch_execz .LBB47_48
; %bb.45:                               ;   in Loop: Header=BB47_20 Depth=1
	v_mbcnt_lo_u32_b32 v4, exec_lo, 0
	s_mov_b32 s21, exec_lo
	s_delay_alu instid0(VALU_DEP_1)
	v_cmpx_eq_u32_e32 0, v4
	s_cbranch_execz .LBB47_47
; %bb.46:                               ;   in Loop: Header=BB47_20 Depth=1
	v_mov_b32_e32 v4, s19
	global_atomic_min_i32 v26, v4, s[10:11] scope:SCOPE_DEV
.LBB47_47:                              ;   in Loop: Header=BB47_20 Depth=1
	s_wait_xcnt 0x0
	s_or_b32 exec_lo, exec_lo, s21
	v_dual_mov_b32 v6, 0 :: v_dual_mov_b32 v4, 1.0
.LBB47_48:                              ;   in Loop: Header=BB47_20 Depth=1
	s_or_b32 exec_lo, exec_lo, s20
	s_delay_alu instid0(VALU_DEP_1) | instskip(SKIP_2) | instid1(VALU_DEP_1)
	v_mul_f32_e32 v5, v6, v6
	ds_load_b64 v[8:9], v20
	v_fmac_f32_e32 v5, v4, v4
	v_div_scale_f32 v7, null, v5, v5, 1.0
	v_div_scale_f32 v29, vcc_lo, 1.0, v5, 1.0
	s_delay_alu instid0(VALU_DEP_2) | instskip(SKIP_2) | instid1(TRANS32_DEP_1)
	v_rcp_f32_e32 v27, v7
	s_wait_dscnt 0x0
	v_pk_add_f32 v[2:3], v[2:3], v[8:9] neg_lo:[0,1] neg_hi:[0,1]
	v_fma_f32 v28, -v7, v27, 1.0
	s_delay_alu instid0(VALU_DEP_1) | instskip(NEXT) | instid1(VALU_DEP_1)
	v_fmac_f32_e32 v27, v28, v27
	v_mul_f32_e32 v28, v29, v27
	s_delay_alu instid0(VALU_DEP_1) | instskip(NEXT) | instid1(VALU_DEP_1)
	v_fma_f32 v30, -v7, v28, v29
	v_fmac_f32_e32 v28, v30, v27
	s_delay_alu instid0(VALU_DEP_1) | instskip(SKIP_1) | instid1(VALU_DEP_2)
	v_fma_f32 v8, -v7, v28, v29
	v_pk_mul_f32 v[6:7], v[6:7], v[2:3] op_sel:[0,1] op_sel_hi:[0,0] neg_hi:[0,1]
	v_div_fmas_f32 v8, v8, v27, v28
	s_delay_alu instid0(VALU_DEP_2) | instskip(NEXT) | instid1(VALU_DEP_2)
	v_pk_fma_f32 v[2:3], v[2:3], v[4:5], v[6:7] op_sel_hi:[1,0,1]
	v_div_fixup_f32 v4, v8, v5, 1.0
	s_delay_alu instid0(VALU_DEP_1)
	v_pk_mul_f32 v[2:3], v[4:5], v[2:3] op_sel_hi:[0,1]
	ds_store_b64 v19, v[2:3]
	s_wait_storecnt_dscnt 0x0
	ds_load_b64 v[4:5], v24
	ds_load_b64 v[6:7], v12
	s_wait_dscnt 0x0
	v_pk_fma_f32 v[6:7], v[2:3], v[4:5], v[6:7] op_sel_hi:[1,0,1]
	s_delay_alu instid0(VALU_DEP_1) | instskip(NEXT) | instid1(VALU_DEP_1)
	v_pk_fma_f32 v[2:3], v[2:3], v[4:5], v[6:7] op_sel:[0,1,1] op_sel_hi:[1,1,0] neg_lo:[0,1,0]
	v_dual_mov_b32 v4, v3 :: v_dual_mov_b32 v5, v2
	ds_store_b64 v12, v[4:5]
	s_wait_dscnt 0x0
	ds_load_b64 v[2:3], v26 offset:80
	s_wait_dscnt 0x0
	v_readfirstlane_b32 s20, v2
	v_readfirstlane_b32 s21, v3
	ds_load_b64 v[2:3], v19 offset:8
	s_cmp_neq_f32 s20, 0
	s_cselect_b32 s22, -1, 0
	s_cmp_neq_f32 s21, 0
	s_cselect_b32 s23, -1, 0
	s_delay_alu instid0(SALU_CYCLE_1) | instskip(NEXT) | instid1(SALU_CYCLE_1)
	s_or_b32 s22, s22, s23
	s_nor_b32 s23, s22, s0
	s_and_b32 s22, s22, exec_lo
	s_cselect_b32 s20, s20, 1.0
	s_cselect_b32 s21, s21, 0
	s_delay_alu instid0(SALU_CYCLE_1)
	v_dual_mov_b32 v4, s20 :: v_dual_mov_b32 v6, s21
	s_and_saveexec_b32 s20, s23
	s_cbranch_execz .LBB47_52
; %bb.49:                               ;   in Loop: Header=BB47_20 Depth=1
	v_mbcnt_lo_u32_b32 v4, exec_lo, 0
	s_mov_b32 s21, exec_lo
	s_delay_alu instid0(VALU_DEP_1)
	v_cmpx_eq_u32_e32 0, v4
	s_cbranch_execz .LBB47_51
; %bb.50:                               ;   in Loop: Header=BB47_20 Depth=1
	v_mov_b32_e32 v4, s19
	global_atomic_min_i32 v26, v4, s[10:11] scope:SCOPE_DEV
.LBB47_51:                              ;   in Loop: Header=BB47_20 Depth=1
	s_wait_xcnt 0x0
	s_or_b32 exec_lo, exec_lo, s21
	v_dual_mov_b32 v6, 0 :: v_dual_mov_b32 v4, 1.0
.LBB47_52:                              ;   in Loop: Header=BB47_20 Depth=1
	s_or_b32 exec_lo, exec_lo, s20
	ds_load_b64 v[8:9], v20 offset:8
	s_mov_b32 s20, 0
.LBB47_53:                              ;   Parent Loop BB47_20 Depth=1
                                        ; =>  This Inner Loop Header: Depth=2
	s_delay_alu instid0(SALU_CYCLE_1)
	v_dual_add_nc_u32 v5, s20, v19 :: v_dual_mov_b32 v7, s20
	s_add_co_i32 s20, s20, 8
	ds_load_b64 v[28:29], v5
	ds_load_b64 v[30:31], v7 offset:72
	s_cmp_lg_u32 s20, 8
	s_wait_dscnt 0x0
	v_pk_fma_f32 v[8:9], v[30:31], v[28:29], v[8:9] op_sel_hi:[1,0,1]
	s_delay_alu instid0(VALU_DEP_1)
	v_pk_fma_f32 v[8:9], v[30:31], v[28:29], v[8:9] op_sel:[1,1,0] op_sel_hi:[0,1,1] neg_hi:[0,1,0]
	s_cbranch_scc1 .LBB47_53
; %bb.54:                               ;   in Loop: Header=BB47_20 Depth=1
	v_mul_f32_e32 v5, v6, v6
	s_delay_alu instid0(VALU_DEP_2) | instskip(NEXT) | instid1(VALU_DEP_2)
	v_pk_add_f32 v[2:3], v[2:3], v[8:9] neg_lo:[0,1] neg_hi:[0,1]
	v_fmac_f32_e32 v5, v4, v4
	s_delay_alu instid0(VALU_DEP_1) | instskip(SKIP_1) | instid1(VALU_DEP_2)
	v_div_scale_f32 v7, null, v5, v5, 1.0
	v_div_scale_f32 v29, vcc_lo, 1.0, v5, 1.0
	v_rcp_f32_e32 v27, v7
	v_nop
	s_delay_alu instid0(TRANS32_DEP_1) | instskip(NEXT) | instid1(VALU_DEP_1)
	v_fma_f32 v28, -v7, v27, 1.0
	v_fmac_f32_e32 v27, v28, v27
	s_delay_alu instid0(VALU_DEP_1) | instskip(NEXT) | instid1(VALU_DEP_1)
	v_mul_f32_e32 v28, v29, v27
	v_fma_f32 v30, -v7, v28, v29
	s_delay_alu instid0(VALU_DEP_1) | instskip(NEXT) | instid1(VALU_DEP_1)
	v_fmac_f32_e32 v28, v30, v27
	v_fma_f32 v8, -v7, v28, v29
	v_pk_mul_f32 v[6:7], v[6:7], v[2:3] op_sel:[0,1] op_sel_hi:[0,0] neg_hi:[0,1]
	s_delay_alu instid0(VALU_DEP_2) | instskip(NEXT) | instid1(VALU_DEP_2)
	v_div_fmas_f32 v8, v8, v27, v28
	v_pk_fma_f32 v[2:3], v[2:3], v[4:5], v[6:7] op_sel_hi:[1,0,1]
	s_delay_alu instid0(VALU_DEP_2) | instskip(NEXT) | instid1(VALU_DEP_1)
	v_div_fixup_f32 v4, v8, v5, 1.0
	v_pk_mul_f32 v[2:3], v[4:5], v[2:3] op_sel_hi:[0,1]
	ds_store_b64 v19, v[2:3] offset:8
	s_wait_storecnt_dscnt 0x0
	ds_load_b64 v[4:5], v24 offset:8
	ds_load_b64 v[6:7], v12
	s_wait_dscnt 0x0
	v_pk_fma_f32 v[6:7], v[2:3], v[4:5], v[6:7] op_sel_hi:[1,0,1]
	s_delay_alu instid0(VALU_DEP_1) | instskip(NEXT) | instid1(VALU_DEP_1)
	v_pk_fma_f32 v[2:3], v[2:3], v[4:5], v[6:7] op_sel:[0,1,1] op_sel_hi:[1,1,0] neg_lo:[0,1,0]
	v_dual_mov_b32 v4, v3 :: v_dual_mov_b32 v5, v2
	ds_store_b64 v12, v[4:5]
	s_wait_dscnt 0x0
	ds_load_b64 v[2:3], v26 offset:160
	s_wait_dscnt 0x0
	v_readfirstlane_b32 s20, v2
	v_readfirstlane_b32 s21, v3
	ds_load_b64 v[2:3], v19 offset:16
	s_cmp_neq_f32 s20, 0
	s_cselect_b32 s22, -1, 0
	s_cmp_neq_f32 s21, 0
	s_cselect_b32 s23, -1, 0
	s_delay_alu instid0(SALU_CYCLE_1) | instskip(NEXT) | instid1(SALU_CYCLE_1)
	s_or_b32 s22, s22, s23
	s_nor_b32 s23, s22, s0
	s_and_b32 s22, s22, exec_lo
	s_cselect_b32 s20, s20, 1.0
	s_cselect_b32 s21, s21, 0
	s_delay_alu instid0(SALU_CYCLE_1)
	v_dual_mov_b32 v4, s20 :: v_dual_mov_b32 v6, s21
	s_and_saveexec_b32 s20, s23
	s_cbranch_execz .LBB47_58
; %bb.55:                               ;   in Loop: Header=BB47_20 Depth=1
	v_mbcnt_lo_u32_b32 v4, exec_lo, 0
	s_mov_b32 s21, exec_lo
	s_delay_alu instid0(VALU_DEP_1)
	v_cmpx_eq_u32_e32 0, v4
	s_cbranch_execz .LBB47_57
; %bb.56:                               ;   in Loop: Header=BB47_20 Depth=1
	v_mov_b32_e32 v4, s19
	global_atomic_min_i32 v26, v4, s[10:11] scope:SCOPE_DEV
.LBB47_57:                              ;   in Loop: Header=BB47_20 Depth=1
	s_wait_xcnt 0x0
	s_or_b32 exec_lo, exec_lo, s21
	v_dual_mov_b32 v6, 0 :: v_dual_mov_b32 v4, 1.0
.LBB47_58:                              ;   in Loop: Header=BB47_20 Depth=1
	s_or_b32 exec_lo, exec_lo, s20
	ds_load_b64 v[8:9], v20 offset:16
	s_mov_b32 s20, 0
.LBB47_59:                              ;   Parent Loop BB47_20 Depth=1
                                        ; =>  This Inner Loop Header: Depth=2
	s_delay_alu instid0(SALU_CYCLE_1)
	v_dual_add_nc_u32 v5, s20, v19 :: v_dual_mov_b32 v7, s20
	s_add_co_i32 s20, s20, 8
	ds_load_b64 v[28:29], v5
	ds_load_b64 v[30:31], v7 offset:144
	s_cmp_lg_u32 s20, 16
	s_wait_dscnt 0x0
	v_pk_fma_f32 v[8:9], v[30:31], v[28:29], v[8:9] op_sel_hi:[1,0,1]
	s_delay_alu instid0(VALU_DEP_1)
	v_pk_fma_f32 v[8:9], v[30:31], v[28:29], v[8:9] op_sel:[1,1,0] op_sel_hi:[0,1,1] neg_hi:[0,1,0]
	s_cbranch_scc1 .LBB47_59
; %bb.60:                               ;   in Loop: Header=BB47_20 Depth=1
	v_mul_f32_e32 v5, v6, v6
	s_delay_alu instid0(VALU_DEP_2) | instskip(NEXT) | instid1(VALU_DEP_2)
	v_pk_add_f32 v[2:3], v[2:3], v[8:9] neg_lo:[0,1] neg_hi:[0,1]
	v_fmac_f32_e32 v5, v4, v4
	s_delay_alu instid0(VALU_DEP_1) | instskip(SKIP_1) | instid1(VALU_DEP_2)
	v_div_scale_f32 v7, null, v5, v5, 1.0
	v_div_scale_f32 v29, vcc_lo, 1.0, v5, 1.0
	v_rcp_f32_e32 v27, v7
	v_nop
	s_delay_alu instid0(TRANS32_DEP_1) | instskip(NEXT) | instid1(VALU_DEP_1)
	v_fma_f32 v28, -v7, v27, 1.0
	v_fmac_f32_e32 v27, v28, v27
	s_delay_alu instid0(VALU_DEP_1) | instskip(NEXT) | instid1(VALU_DEP_1)
	v_mul_f32_e32 v28, v29, v27
	v_fma_f32 v30, -v7, v28, v29
	s_delay_alu instid0(VALU_DEP_1) | instskip(NEXT) | instid1(VALU_DEP_1)
	v_fmac_f32_e32 v28, v30, v27
	v_fma_f32 v8, -v7, v28, v29
	v_pk_mul_f32 v[6:7], v[6:7], v[2:3] op_sel:[0,1] op_sel_hi:[0,0] neg_hi:[0,1]
	s_delay_alu instid0(VALU_DEP_2) | instskip(NEXT) | instid1(VALU_DEP_2)
	v_div_fmas_f32 v8, v8, v27, v28
	v_pk_fma_f32 v[2:3], v[2:3], v[4:5], v[6:7] op_sel_hi:[1,0,1]
	s_delay_alu instid0(VALU_DEP_2) | instskip(NEXT) | instid1(VALU_DEP_1)
	v_div_fixup_f32 v4, v8, v5, 1.0
	v_pk_mul_f32 v[2:3], v[4:5], v[2:3] op_sel_hi:[0,1]
	ds_store_b64 v19, v[2:3] offset:16
	s_wait_storecnt_dscnt 0x0
	ds_load_b64 v[4:5], v24 offset:16
	ds_load_b64 v[6:7], v12
	s_wait_dscnt 0x0
	v_pk_fma_f32 v[6:7], v[2:3], v[4:5], v[6:7] op_sel_hi:[1,0,1]
	s_delay_alu instid0(VALU_DEP_1) | instskip(NEXT) | instid1(VALU_DEP_1)
	v_pk_fma_f32 v[2:3], v[2:3], v[4:5], v[6:7] op_sel:[0,1,1] op_sel_hi:[1,1,0] neg_lo:[0,1,0]
	v_dual_mov_b32 v4, v3 :: v_dual_mov_b32 v5, v2
	ds_store_b64 v12, v[4:5]
	s_wait_dscnt 0x0
	ds_load_b64 v[2:3], v26 offset:240
	s_wait_dscnt 0x0
	v_readfirstlane_b32 s20, v2
	v_readfirstlane_b32 s21, v3
	ds_load_b64 v[2:3], v19 offset:24
	s_cmp_neq_f32 s20, 0
	s_cselect_b32 s22, -1, 0
	s_cmp_neq_f32 s21, 0
	s_cselect_b32 s23, -1, 0
	s_delay_alu instid0(SALU_CYCLE_1) | instskip(NEXT) | instid1(SALU_CYCLE_1)
	s_or_b32 s22, s22, s23
	s_nor_b32 s23, s22, s0
	s_and_b32 s22, s22, exec_lo
	s_cselect_b32 s20, s20, 1.0
	s_cselect_b32 s21, s21, 0
	s_delay_alu instid0(SALU_CYCLE_1)
	v_dual_mov_b32 v4, s20 :: v_dual_mov_b32 v6, s21
	s_and_saveexec_b32 s20, s23
	s_cbranch_execz .LBB47_64
; %bb.61:                               ;   in Loop: Header=BB47_20 Depth=1
	v_mbcnt_lo_u32_b32 v4, exec_lo, 0
	s_mov_b32 s21, exec_lo
	s_delay_alu instid0(VALU_DEP_1)
	v_cmpx_eq_u32_e32 0, v4
	s_cbranch_execz .LBB47_63
; %bb.62:                               ;   in Loop: Header=BB47_20 Depth=1
	v_mov_b32_e32 v4, s19
	global_atomic_min_i32 v26, v4, s[10:11] scope:SCOPE_DEV
.LBB47_63:                              ;   in Loop: Header=BB47_20 Depth=1
	s_wait_xcnt 0x0
	s_or_b32 exec_lo, exec_lo, s21
	v_dual_mov_b32 v6, 0 :: v_dual_mov_b32 v4, 1.0
.LBB47_64:                              ;   in Loop: Header=BB47_20 Depth=1
	s_or_b32 exec_lo, exec_lo, s20
	ds_load_b64 v[8:9], v20 offset:24
	s_mov_b32 s20, 0
.LBB47_65:                              ;   Parent Loop BB47_20 Depth=1
                                        ; =>  This Inner Loop Header: Depth=2
	s_delay_alu instid0(SALU_CYCLE_1)
	v_dual_add_nc_u32 v5, s20, v19 :: v_dual_mov_b32 v7, s20
	s_add_co_i32 s20, s20, 8
	ds_load_b64 v[28:29], v5
	ds_load_b64 v[30:31], v7 offset:216
	s_cmp_lg_u32 s20, 24
	s_wait_dscnt 0x0
	v_pk_fma_f32 v[8:9], v[30:31], v[28:29], v[8:9] op_sel_hi:[1,0,1]
	s_delay_alu instid0(VALU_DEP_1)
	v_pk_fma_f32 v[8:9], v[30:31], v[28:29], v[8:9] op_sel:[1,1,0] op_sel_hi:[0,1,1] neg_hi:[0,1,0]
	s_cbranch_scc1 .LBB47_65
; %bb.66:                               ;   in Loop: Header=BB47_20 Depth=1
	v_mul_f32_e32 v5, v6, v6
	s_delay_alu instid0(VALU_DEP_2) | instskip(NEXT) | instid1(VALU_DEP_2)
	v_pk_add_f32 v[2:3], v[2:3], v[8:9] neg_lo:[0,1] neg_hi:[0,1]
	v_fmac_f32_e32 v5, v4, v4
	s_delay_alu instid0(VALU_DEP_1) | instskip(SKIP_1) | instid1(VALU_DEP_2)
	v_div_scale_f32 v7, null, v5, v5, 1.0
	v_div_scale_f32 v29, vcc_lo, 1.0, v5, 1.0
	v_rcp_f32_e32 v27, v7
	v_nop
	s_delay_alu instid0(TRANS32_DEP_1) | instskip(NEXT) | instid1(VALU_DEP_1)
	v_fma_f32 v28, -v7, v27, 1.0
	v_fmac_f32_e32 v27, v28, v27
	s_delay_alu instid0(VALU_DEP_1) | instskip(NEXT) | instid1(VALU_DEP_1)
	v_mul_f32_e32 v28, v29, v27
	v_fma_f32 v30, -v7, v28, v29
	s_delay_alu instid0(VALU_DEP_1) | instskip(NEXT) | instid1(VALU_DEP_1)
	v_fmac_f32_e32 v28, v30, v27
	v_fma_f32 v8, -v7, v28, v29
	v_pk_mul_f32 v[6:7], v[6:7], v[2:3] op_sel:[0,1] op_sel_hi:[0,0] neg_hi:[0,1]
	s_delay_alu instid0(VALU_DEP_2) | instskip(NEXT) | instid1(VALU_DEP_2)
	v_div_fmas_f32 v8, v8, v27, v28
	v_pk_fma_f32 v[2:3], v[2:3], v[4:5], v[6:7] op_sel_hi:[1,0,1]
	s_delay_alu instid0(VALU_DEP_2) | instskip(NEXT) | instid1(VALU_DEP_1)
	v_div_fixup_f32 v4, v8, v5, 1.0
	v_pk_mul_f32 v[2:3], v[4:5], v[2:3] op_sel_hi:[0,1]
	ds_store_b64 v19, v[2:3] offset:24
	s_wait_storecnt_dscnt 0x0
	ds_load_b64 v[4:5], v24 offset:24
	ds_load_b64 v[6:7], v12
	s_wait_dscnt 0x0
	v_pk_fma_f32 v[6:7], v[2:3], v[4:5], v[6:7] op_sel_hi:[1,0,1]
	s_delay_alu instid0(VALU_DEP_1) | instskip(NEXT) | instid1(VALU_DEP_1)
	v_pk_fma_f32 v[2:3], v[2:3], v[4:5], v[6:7] op_sel:[0,1,1] op_sel_hi:[1,1,0] neg_lo:[0,1,0]
	v_dual_mov_b32 v4, v3 :: v_dual_mov_b32 v5, v2
	ds_store_b64 v12, v[4:5]
	s_wait_dscnt 0x0
	ds_load_b64 v[2:3], v26 offset:320
	s_wait_dscnt 0x0
	v_readfirstlane_b32 s20, v2
	v_readfirstlane_b32 s21, v3
	ds_load_b64 v[2:3], v19 offset:32
	s_cmp_neq_f32 s20, 0
	s_cselect_b32 s22, -1, 0
	s_cmp_neq_f32 s21, 0
	s_cselect_b32 s23, -1, 0
	s_delay_alu instid0(SALU_CYCLE_1) | instskip(NEXT) | instid1(SALU_CYCLE_1)
	s_or_b32 s22, s22, s23
	s_nor_b32 s23, s22, s0
	s_and_b32 s22, s22, exec_lo
	s_cselect_b32 s20, s20, 1.0
	s_cselect_b32 s21, s21, 0
	s_delay_alu instid0(SALU_CYCLE_1)
	v_dual_mov_b32 v4, s20 :: v_dual_mov_b32 v6, s21
	s_and_saveexec_b32 s20, s23
	s_cbranch_execz .LBB47_70
; %bb.67:                               ;   in Loop: Header=BB47_20 Depth=1
	v_mbcnt_lo_u32_b32 v4, exec_lo, 0
	s_mov_b32 s21, exec_lo
	s_delay_alu instid0(VALU_DEP_1)
	v_cmpx_eq_u32_e32 0, v4
	s_cbranch_execz .LBB47_69
; %bb.68:                               ;   in Loop: Header=BB47_20 Depth=1
	v_mov_b32_e32 v4, s19
	global_atomic_min_i32 v26, v4, s[10:11] scope:SCOPE_DEV
.LBB47_69:                              ;   in Loop: Header=BB47_20 Depth=1
	s_wait_xcnt 0x0
	s_or_b32 exec_lo, exec_lo, s21
	v_dual_mov_b32 v6, 0 :: v_dual_mov_b32 v4, 1.0
.LBB47_70:                              ;   in Loop: Header=BB47_20 Depth=1
	s_or_b32 exec_lo, exec_lo, s20
	ds_load_b64 v[8:9], v20 offset:32
	s_mov_b32 s20, 0
.LBB47_71:                              ;   Parent Loop BB47_20 Depth=1
                                        ; =>  This Inner Loop Header: Depth=2
	s_delay_alu instid0(SALU_CYCLE_1)
	v_dual_add_nc_u32 v5, s20, v19 :: v_dual_mov_b32 v7, s20
	s_add_co_i32 s20, s20, 8
	ds_load_b64 v[28:29], v5
	ds_load_b64 v[30:31], v7 offset:288
	s_cmp_lg_u32 s20, 32
	s_wait_dscnt 0x0
	v_pk_fma_f32 v[8:9], v[30:31], v[28:29], v[8:9] op_sel_hi:[1,0,1]
	s_delay_alu instid0(VALU_DEP_1)
	v_pk_fma_f32 v[8:9], v[30:31], v[28:29], v[8:9] op_sel:[1,1,0] op_sel_hi:[0,1,1] neg_hi:[0,1,0]
	s_cbranch_scc1 .LBB47_71
; %bb.72:                               ;   in Loop: Header=BB47_20 Depth=1
	v_mul_f32_e32 v5, v6, v6
	s_delay_alu instid0(VALU_DEP_2) | instskip(NEXT) | instid1(VALU_DEP_2)
	v_pk_add_f32 v[2:3], v[2:3], v[8:9] neg_lo:[0,1] neg_hi:[0,1]
	v_fmac_f32_e32 v5, v4, v4
	s_delay_alu instid0(VALU_DEP_1) | instskip(SKIP_1) | instid1(VALU_DEP_2)
	v_div_scale_f32 v7, null, v5, v5, 1.0
	v_div_scale_f32 v29, vcc_lo, 1.0, v5, 1.0
	v_rcp_f32_e32 v27, v7
	v_nop
	s_delay_alu instid0(TRANS32_DEP_1) | instskip(NEXT) | instid1(VALU_DEP_1)
	v_fma_f32 v28, -v7, v27, 1.0
	v_fmac_f32_e32 v27, v28, v27
	s_delay_alu instid0(VALU_DEP_1) | instskip(NEXT) | instid1(VALU_DEP_1)
	v_mul_f32_e32 v28, v29, v27
	v_fma_f32 v30, -v7, v28, v29
	s_delay_alu instid0(VALU_DEP_1) | instskip(NEXT) | instid1(VALU_DEP_1)
	v_fmac_f32_e32 v28, v30, v27
	v_fma_f32 v8, -v7, v28, v29
	v_pk_mul_f32 v[6:7], v[6:7], v[2:3] op_sel:[0,1] op_sel_hi:[0,0] neg_hi:[0,1]
	s_delay_alu instid0(VALU_DEP_2) | instskip(NEXT) | instid1(VALU_DEP_2)
	v_div_fmas_f32 v8, v8, v27, v28
	v_pk_fma_f32 v[2:3], v[2:3], v[4:5], v[6:7] op_sel_hi:[1,0,1]
	s_delay_alu instid0(VALU_DEP_2) | instskip(NEXT) | instid1(VALU_DEP_1)
	v_div_fixup_f32 v4, v8, v5, 1.0
	v_pk_mul_f32 v[2:3], v[4:5], v[2:3] op_sel_hi:[0,1]
	ds_store_b64 v19, v[2:3] offset:32
	s_wait_storecnt_dscnt 0x0
	ds_load_b64 v[4:5], v24 offset:32
	ds_load_b64 v[6:7], v12
	s_wait_dscnt 0x0
	v_pk_fma_f32 v[6:7], v[2:3], v[4:5], v[6:7] op_sel_hi:[1,0,1]
	s_delay_alu instid0(VALU_DEP_1) | instskip(NEXT) | instid1(VALU_DEP_1)
	v_pk_fma_f32 v[2:3], v[2:3], v[4:5], v[6:7] op_sel:[0,1,1] op_sel_hi:[1,1,0] neg_lo:[0,1,0]
	v_dual_mov_b32 v4, v3 :: v_dual_mov_b32 v5, v2
	ds_store_b64 v12, v[4:5]
	s_wait_dscnt 0x0
	ds_load_b64 v[2:3], v26 offset:400
	s_wait_dscnt 0x0
	v_readfirstlane_b32 s20, v2
	v_readfirstlane_b32 s21, v3
	ds_load_b64 v[2:3], v19 offset:40
	s_cmp_neq_f32 s20, 0
	s_cselect_b32 s22, -1, 0
	s_cmp_neq_f32 s21, 0
	s_cselect_b32 s23, -1, 0
	s_delay_alu instid0(SALU_CYCLE_1) | instskip(NEXT) | instid1(SALU_CYCLE_1)
	s_or_b32 s22, s22, s23
	s_nor_b32 s23, s22, s0
	s_and_b32 s22, s22, exec_lo
	s_cselect_b32 s20, s20, 1.0
	s_cselect_b32 s21, s21, 0
	s_delay_alu instid0(SALU_CYCLE_1)
	v_dual_mov_b32 v4, s20 :: v_dual_mov_b32 v6, s21
	s_and_saveexec_b32 s20, s23
	s_cbranch_execz .LBB47_76
; %bb.73:                               ;   in Loop: Header=BB47_20 Depth=1
	v_mbcnt_lo_u32_b32 v4, exec_lo, 0
	s_mov_b32 s21, exec_lo
	s_delay_alu instid0(VALU_DEP_1)
	v_cmpx_eq_u32_e32 0, v4
	s_cbranch_execz .LBB47_75
; %bb.74:                               ;   in Loop: Header=BB47_20 Depth=1
	v_mov_b32_e32 v4, s19
	global_atomic_min_i32 v26, v4, s[10:11] scope:SCOPE_DEV
.LBB47_75:                              ;   in Loop: Header=BB47_20 Depth=1
	s_wait_xcnt 0x0
	s_or_b32 exec_lo, exec_lo, s21
	v_dual_mov_b32 v6, 0 :: v_dual_mov_b32 v4, 1.0
.LBB47_76:                              ;   in Loop: Header=BB47_20 Depth=1
	s_or_b32 exec_lo, exec_lo, s20
	ds_load_b64 v[8:9], v20 offset:40
	s_mov_b32 s20, 0
.LBB47_77:                              ;   Parent Loop BB47_20 Depth=1
                                        ; =>  This Inner Loop Header: Depth=2
	s_delay_alu instid0(SALU_CYCLE_1)
	v_dual_add_nc_u32 v5, s20, v19 :: v_dual_mov_b32 v7, s20
	s_add_co_i32 s20, s20, 8
	ds_load_b64 v[28:29], v5
	ds_load_b64 v[30:31], v7 offset:360
	s_cmp_lg_u32 s20, 40
	s_wait_dscnt 0x0
	v_pk_fma_f32 v[8:9], v[30:31], v[28:29], v[8:9] op_sel_hi:[1,0,1]
	s_delay_alu instid0(VALU_DEP_1)
	v_pk_fma_f32 v[8:9], v[30:31], v[28:29], v[8:9] op_sel:[1,1,0] op_sel_hi:[0,1,1] neg_hi:[0,1,0]
	s_cbranch_scc1 .LBB47_77
; %bb.78:                               ;   in Loop: Header=BB47_20 Depth=1
	v_mul_f32_e32 v5, v6, v6
	s_delay_alu instid0(VALU_DEP_2) | instskip(NEXT) | instid1(VALU_DEP_2)
	v_pk_add_f32 v[2:3], v[2:3], v[8:9] neg_lo:[0,1] neg_hi:[0,1]
	v_fmac_f32_e32 v5, v4, v4
	s_delay_alu instid0(VALU_DEP_1) | instskip(SKIP_1) | instid1(VALU_DEP_2)
	v_div_scale_f32 v7, null, v5, v5, 1.0
	v_div_scale_f32 v29, vcc_lo, 1.0, v5, 1.0
	v_rcp_f32_e32 v27, v7
	v_nop
	s_delay_alu instid0(TRANS32_DEP_1) | instskip(NEXT) | instid1(VALU_DEP_1)
	v_fma_f32 v28, -v7, v27, 1.0
	v_fmac_f32_e32 v27, v28, v27
	s_delay_alu instid0(VALU_DEP_1) | instskip(NEXT) | instid1(VALU_DEP_1)
	v_mul_f32_e32 v28, v29, v27
	v_fma_f32 v30, -v7, v28, v29
	s_delay_alu instid0(VALU_DEP_1) | instskip(NEXT) | instid1(VALU_DEP_1)
	v_fmac_f32_e32 v28, v30, v27
	v_fma_f32 v8, -v7, v28, v29
	v_pk_mul_f32 v[6:7], v[6:7], v[2:3] op_sel:[0,1] op_sel_hi:[0,0] neg_hi:[0,1]
	s_delay_alu instid0(VALU_DEP_2) | instskip(NEXT) | instid1(VALU_DEP_2)
	v_div_fmas_f32 v8, v8, v27, v28
	v_pk_fma_f32 v[2:3], v[2:3], v[4:5], v[6:7] op_sel_hi:[1,0,1]
	s_delay_alu instid0(VALU_DEP_2) | instskip(NEXT) | instid1(VALU_DEP_1)
	v_div_fixup_f32 v4, v8, v5, 1.0
	v_pk_mul_f32 v[2:3], v[4:5], v[2:3] op_sel_hi:[0,1]
	ds_store_b64 v19, v[2:3] offset:40
	s_wait_storecnt_dscnt 0x0
	ds_load_b64 v[4:5], v24 offset:40
	ds_load_b64 v[6:7], v12
	s_wait_dscnt 0x0
	v_pk_fma_f32 v[6:7], v[2:3], v[4:5], v[6:7] op_sel_hi:[1,0,1]
	s_delay_alu instid0(VALU_DEP_1) | instskip(NEXT) | instid1(VALU_DEP_1)
	v_pk_fma_f32 v[2:3], v[2:3], v[4:5], v[6:7] op_sel:[0,1,1] op_sel_hi:[1,1,0] neg_lo:[0,1,0]
	v_dual_mov_b32 v4, v3 :: v_dual_mov_b32 v5, v2
	ds_store_b64 v12, v[4:5]
	s_wait_dscnt 0x0
	ds_load_b64 v[2:3], v26 offset:480
	s_wait_dscnt 0x0
	v_readfirstlane_b32 s20, v2
	v_readfirstlane_b32 s21, v3
	ds_load_b64 v[2:3], v19 offset:48
	s_cmp_neq_f32 s20, 0
	s_cselect_b32 s22, -1, 0
	s_cmp_neq_f32 s21, 0
	s_cselect_b32 s23, -1, 0
	s_delay_alu instid0(SALU_CYCLE_1) | instskip(NEXT) | instid1(SALU_CYCLE_1)
	s_or_b32 s22, s22, s23
	s_nor_b32 s23, s22, s0
	s_and_b32 s22, s22, exec_lo
	s_cselect_b32 s20, s20, 1.0
	s_cselect_b32 s21, s21, 0
	s_delay_alu instid0(SALU_CYCLE_1)
	v_dual_mov_b32 v4, s20 :: v_dual_mov_b32 v6, s21
	s_and_saveexec_b32 s20, s23
	s_cbranch_execz .LBB47_82
; %bb.79:                               ;   in Loop: Header=BB47_20 Depth=1
	v_mbcnt_lo_u32_b32 v4, exec_lo, 0
	s_mov_b32 s21, exec_lo
	s_delay_alu instid0(VALU_DEP_1)
	v_cmpx_eq_u32_e32 0, v4
	s_cbranch_execz .LBB47_81
; %bb.80:                               ;   in Loop: Header=BB47_20 Depth=1
	v_mov_b32_e32 v4, s19
	global_atomic_min_i32 v26, v4, s[10:11] scope:SCOPE_DEV
.LBB47_81:                              ;   in Loop: Header=BB47_20 Depth=1
	s_wait_xcnt 0x0
	s_or_b32 exec_lo, exec_lo, s21
	v_dual_mov_b32 v6, 0 :: v_dual_mov_b32 v4, 1.0
.LBB47_82:                              ;   in Loop: Header=BB47_20 Depth=1
	s_or_b32 exec_lo, exec_lo, s20
	ds_load_b64 v[8:9], v20 offset:48
	s_mov_b32 s20, 0
.LBB47_83:                              ;   Parent Loop BB47_20 Depth=1
                                        ; =>  This Inner Loop Header: Depth=2
	s_delay_alu instid0(SALU_CYCLE_1)
	v_dual_add_nc_u32 v5, s20, v19 :: v_dual_mov_b32 v7, s20
	s_add_co_i32 s20, s20, 8
	ds_load_b64 v[28:29], v5
	ds_load_b64 v[30:31], v7 offset:432
	s_cmp_lg_u32 s20, 48
	s_wait_dscnt 0x0
	v_pk_fma_f32 v[8:9], v[30:31], v[28:29], v[8:9] op_sel_hi:[1,0,1]
	s_delay_alu instid0(VALU_DEP_1)
	v_pk_fma_f32 v[8:9], v[30:31], v[28:29], v[8:9] op_sel:[1,1,0] op_sel_hi:[0,1,1] neg_hi:[0,1,0]
	s_cbranch_scc1 .LBB47_83
; %bb.84:                               ;   in Loop: Header=BB47_20 Depth=1
	v_mul_f32_e32 v5, v6, v6
	s_delay_alu instid0(VALU_DEP_2) | instskip(NEXT) | instid1(VALU_DEP_2)
	v_pk_add_f32 v[2:3], v[2:3], v[8:9] neg_lo:[0,1] neg_hi:[0,1]
	v_fmac_f32_e32 v5, v4, v4
	s_delay_alu instid0(VALU_DEP_1) | instskip(SKIP_1) | instid1(VALU_DEP_2)
	v_div_scale_f32 v7, null, v5, v5, 1.0
	v_div_scale_f32 v29, vcc_lo, 1.0, v5, 1.0
	v_rcp_f32_e32 v27, v7
	v_nop
	s_delay_alu instid0(TRANS32_DEP_1) | instskip(NEXT) | instid1(VALU_DEP_1)
	v_fma_f32 v28, -v7, v27, 1.0
	v_fmac_f32_e32 v27, v28, v27
	s_delay_alu instid0(VALU_DEP_1) | instskip(NEXT) | instid1(VALU_DEP_1)
	v_mul_f32_e32 v28, v29, v27
	v_fma_f32 v30, -v7, v28, v29
	s_delay_alu instid0(VALU_DEP_1) | instskip(NEXT) | instid1(VALU_DEP_1)
	v_fmac_f32_e32 v28, v30, v27
	v_fma_f32 v8, -v7, v28, v29
	v_pk_mul_f32 v[6:7], v[6:7], v[2:3] op_sel:[0,1] op_sel_hi:[0,0] neg_hi:[0,1]
	s_delay_alu instid0(VALU_DEP_2) | instskip(NEXT) | instid1(VALU_DEP_2)
	v_div_fmas_f32 v8, v8, v27, v28
	v_pk_fma_f32 v[2:3], v[2:3], v[4:5], v[6:7] op_sel_hi:[1,0,1]
	s_delay_alu instid0(VALU_DEP_2) | instskip(NEXT) | instid1(VALU_DEP_1)
	v_div_fixup_f32 v4, v8, v5, 1.0
	v_pk_mul_f32 v[2:3], v[4:5], v[2:3] op_sel_hi:[0,1]
	ds_store_b64 v19, v[2:3] offset:48
	s_wait_storecnt_dscnt 0x0
	ds_load_b64 v[4:5], v24 offset:48
	ds_load_b64 v[6:7], v12
	s_wait_dscnt 0x0
	v_pk_fma_f32 v[6:7], v[2:3], v[4:5], v[6:7] op_sel_hi:[1,0,1]
	s_delay_alu instid0(VALU_DEP_1) | instskip(NEXT) | instid1(VALU_DEP_1)
	v_pk_fma_f32 v[2:3], v[2:3], v[4:5], v[6:7] op_sel:[0,1,1] op_sel_hi:[1,1,0] neg_lo:[0,1,0]
	v_dual_mov_b32 v4, v3 :: v_dual_mov_b32 v5, v2
	ds_store_b64 v12, v[4:5]
	s_wait_dscnt 0x0
	ds_load_b64 v[2:3], v26 offset:560
	s_wait_dscnt 0x0
	v_readfirstlane_b32 s20, v2
	v_readfirstlane_b32 s21, v3
	ds_load_b64 v[2:3], v19 offset:56
	s_cmp_neq_f32 s20, 0
	s_cselect_b32 s22, -1, 0
	s_cmp_neq_f32 s21, 0
	s_cselect_b32 s23, -1, 0
	s_delay_alu instid0(SALU_CYCLE_1) | instskip(NEXT) | instid1(SALU_CYCLE_1)
	s_or_b32 s22, s22, s23
	s_nor_b32 s23, s22, s0
	s_and_b32 s22, s22, exec_lo
	s_cselect_b32 s20, s20, 1.0
	s_cselect_b32 s21, s21, 0
	s_delay_alu instid0(SALU_CYCLE_1)
	v_dual_mov_b32 v4, s20 :: v_dual_mov_b32 v6, s21
	s_and_saveexec_b32 s20, s23
	s_cbranch_execz .LBB47_88
; %bb.85:                               ;   in Loop: Header=BB47_20 Depth=1
	v_mbcnt_lo_u32_b32 v4, exec_lo, 0
	s_mov_b32 s21, exec_lo
	s_delay_alu instid0(VALU_DEP_1)
	v_cmpx_eq_u32_e32 0, v4
	s_cbranch_execz .LBB47_87
; %bb.86:                               ;   in Loop: Header=BB47_20 Depth=1
	v_mov_b32_e32 v4, s19
	global_atomic_min_i32 v26, v4, s[10:11] scope:SCOPE_DEV
.LBB47_87:                              ;   in Loop: Header=BB47_20 Depth=1
	s_wait_xcnt 0x0
	s_or_b32 exec_lo, exec_lo, s21
	v_dual_mov_b32 v6, 0 :: v_dual_mov_b32 v4, 1.0
.LBB47_88:                              ;   in Loop: Header=BB47_20 Depth=1
	s_or_b32 exec_lo, exec_lo, s20
	ds_load_b64 v[8:9], v20 offset:56
	s_mov_b32 s19, 0
.LBB47_89:                              ;   Parent Loop BB47_20 Depth=1
                                        ; =>  This Inner Loop Header: Depth=2
	s_delay_alu instid0(SALU_CYCLE_1)
	v_dual_add_nc_u32 v5, s19, v19 :: v_dual_mov_b32 v7, s19
	s_add_co_i32 s19, s19, 8
	ds_load_b64 v[28:29], v5
	ds_load_b64 v[30:31], v7 offset:504
	s_cmp_lg_u32 s19, 56
	s_wait_dscnt 0x0
	v_pk_fma_f32 v[8:9], v[30:31], v[28:29], v[8:9] op_sel_hi:[1,0,1]
	s_delay_alu instid0(VALU_DEP_1)
	v_pk_fma_f32 v[8:9], v[30:31], v[28:29], v[8:9] op_sel:[1,1,0] op_sel_hi:[0,1,1] neg_hi:[0,1,0]
	s_cbranch_scc1 .LBB47_89
; %bb.90:                               ;   in Loop: Header=BB47_20 Depth=1
	v_mul_f32_e32 v5, v6, v6
	s_delay_alu instid0(VALU_DEP_2) | instskip(SKIP_1) | instid1(SALU_CYCLE_1)
	v_pk_add_f32 v[2:3], v[2:3], v[8:9] neg_lo:[0,1] neg_hi:[0,1]
	s_add_co_i32 s18, s18, 1
	s_cmp_ge_i32 s18, s26
	s_delay_alu instid0(VALU_DEP_2) | instskip(SKIP_1) | instid1(VALU_DEP_1)
	v_fmac_f32_e32 v5, v4, v4
	s_cselect_b32 s24, -1, 0
	v_div_scale_f32 v7, null, v5, v5, 1.0
	v_div_scale_f32 v29, vcc_lo, 1.0, v5, 1.0
	s_delay_alu instid0(VALU_DEP_2) | instskip(SKIP_1) | instid1(TRANS32_DEP_1)
	v_rcp_f32_e32 v27, v7
	v_nop
	v_fma_f32 v28, -v7, v27, 1.0
	s_delay_alu instid0(VALU_DEP_1) | instskip(NEXT) | instid1(VALU_DEP_1)
	v_fmac_f32_e32 v27, v28, v27
	v_mul_f32_e32 v28, v29, v27
	s_delay_alu instid0(VALU_DEP_1) | instskip(NEXT) | instid1(VALU_DEP_1)
	v_fma_f32 v30, -v7, v28, v29
	v_fmac_f32_e32 v28, v30, v27
	s_delay_alu instid0(VALU_DEP_1) | instskip(SKIP_1) | instid1(VALU_DEP_2)
	v_fma_f32 v8, -v7, v28, v29
	v_pk_mul_f32 v[6:7], v[6:7], v[2:3] op_sel:[0,1] op_sel_hi:[0,0] neg_hi:[0,1]
	v_div_fmas_f32 v8, v8, v27, v28
	s_delay_alu instid0(VALU_DEP_2) | instskip(NEXT) | instid1(VALU_DEP_2)
	v_pk_fma_f32 v[2:3], v[2:3], v[4:5], v[6:7] op_sel_hi:[1,0,1]
	v_div_fixup_f32 v4, v8, v5, 1.0
	s_delay_alu instid0(VALU_DEP_1)
	v_pk_mul_f32 v[2:3], v[4:5], v[2:3] op_sel_hi:[0,1]
	ds_store_b64 v19, v[2:3] offset:56
	s_wait_storecnt_dscnt 0x0
	ds_load_b64 v[4:5], v24 offset:56
	ds_load_b64 v[6:7], v12
	s_wait_dscnt 0x0
	v_pk_fma_f32 v[6:7], v[2:3], v[4:5], v[6:7] op_sel_hi:[1,0,1]
	s_delay_alu instid0(VALU_DEP_1) | instskip(NEXT) | instid1(VALU_DEP_1)
	v_pk_fma_f32 v[2:3], v[2:3], v[4:5], v[6:7] op_sel:[0,1,1] op_sel_hi:[1,1,0] neg_lo:[0,1,0]
	v_dual_mov_b32 v4, v3 :: v_dual_mov_b32 v5, v2
	ds_store_b64 v12, v[4:5]
	s_wait_dscnt 0x0
	ds_load_b64 v[2:3], v21
	s_wait_dscnt 0x0
	global_store_b64 v[0:1], v[2:3], off
	global_wb scope:SCOPE_DEV
	s_wait_storecnt 0x0
	global_inv scope:SCOPE_DEV
	s_branch .LBB47_19
.LBB47_91:
	s_wait_kmcnt 0x0
	s_cmp_eq_u32 s1, 0
	s_movk_i32 s0, 0x48
	s_cselect_b32 vcc_lo, -1, 0
	v_mad_u32_u24 v5, v11, s0, 0x480
	v_cndmask_b32_e32 v0, v17, v15, vcc_lo
	v_cmp_ne_u32_e64 s1, 0, v11
	s_mov_b32 s0, exec_lo
	v_lshl_add_u32 v3, v10, 3, v5
	v_lshl_add_u32 v0, s26, 6, v0
	global_load_b64 v[6:7], v0, s[16:17] scale_offset
	v_ashrrev_i32_e32 v1, 31, v0
	s_wait_loadcnt 0x0
	ds_store_b64 v3, v[6:7]
	s_wait_dscnt 0x0
	v_cmpx_eq_u32_e32 0, v11
	s_cbranch_execz .LBB47_99
; %bb.92:
	v_mov_b32_e32 v2, 0
	ds_load_2addr_b64 v[6:9], v2 offset0:144 offset1:216
	s_wait_dscnt 0x0
	v_readfirstlane_b32 s4, v8
	v_readfirstlane_b32 s5, v6
	;; [unrolled: 1-line block ×3, first 2 shown]
	s_sub_f32 s4, s5, s4
	v_readfirstlane_b32 s5, v9
	s_delay_alu instid0(SALU_CYCLE_2) | instskip(SKIP_3) | instid1(SALU_CYCLE_2)
	s_xor_b32 s13, s4, 0x80000000
	s_cmp_lt_f32 s4, 0
	s_sub_f32 s12, s12, s5
	s_cselect_b32 s4, s13, s4
	s_xor_b32 s5, s12, 0x80000000
	s_cmp_lt_f32 s12, 0
	s_cselect_b32 s5, s5, s12
	s_delay_alu instid0(SALU_CYCLE_1)
	s_cmp_ngt_f32 s4, s5
	s_cbranch_scc0 .LBB47_95
; %bb.93:
	s_cmp_eq_f32 s12, 0
	s_mov_b32 s12, 0
	s_mov_b32 s13, 0
	s_cbranch_scc1 .LBB47_96
; %bb.94:
	v_div_scale_f32 v2, null, s5, s5, s4
	v_div_scale_f32 v7, vcc_lo, s4, s5, s4
	s_delay_alu instid0(VALU_DEP_2)
	v_rcp_f32_e32 v4, v2
	v_nop
	v_xor_b32_e32 v2, 0x80000000, v2
	s_delay_alu instid0(TRANS32_DEP_1) | instid1(VALU_DEP_1)
	v_fma_f32 v6, v2, v4, 1.0
	s_delay_alu instid0(VALU_DEP_1) | instskip(NEXT) | instid1(VALU_DEP_1)
	v_fmac_f32_e32 v4, v6, v4
	v_mul_f32_e32 v6, v7, v4
	s_delay_alu instid0(VALU_DEP_1) | instskip(NEXT) | instid1(VALU_DEP_1)
	v_fma_f32 v8, v2, v6, v7
	v_fmac_f32_e32 v6, v8, v4
	s_delay_alu instid0(VALU_DEP_1) | instskip(NEXT) | instid1(VALU_DEP_1)
	v_fmac_f32_e32 v7, v2, v6
	v_div_fmas_f32 v2, v7, v4, v6
	s_delay_alu instid0(VALU_DEP_1) | instskip(NEXT) | instid1(VALU_DEP_1)
	v_div_fixup_f32 v2, v2, s5, s4
	v_readfirstlane_b32 s13, v2
	s_fmaak_f32 s13, s13, s13, 0x3f800000
	s_delay_alu instid0(SALU_CYCLE_3) | instskip(SKIP_1) | instid1(SALU_CYCLE_2)
	s_mul_f32 s14, s13, 0x4f800000
	s_cmp_lt_f32 s13, 0xf800000
	s_cselect_b32 s14, s14, s13
	s_delay_alu instid0(SALU_CYCLE_1) | instskip(SKIP_1) | instid1(TRANS32_DEP_1)
	v_s_sqrt_f32 s15, s14
	s_mov_b32 s19, s14
	s_add_co_i32 s18, s15, -1
	s_delay_alu instid0(SALU_CYCLE_1) | instskip(NEXT) | instid1(SALU_CYCLE_1)
	s_xor_b32 s20, s18, 0x80000000
	s_fmac_f32 s19, s20, s15
	s_mov_b32 s20, s14
	s_delay_alu instid0(SALU_CYCLE_2) | instskip(SKIP_2) | instid1(SALU_CYCLE_1)
	s_cmp_le_f32 s19, 0
	s_cselect_b32 s18, s18, s15
	s_add_co_i32 s19, s15, 1
	s_xor_b32 s21, s19, 0x80000000
	s_delay_alu instid0(SALU_CYCLE_1) | instskip(NEXT) | instid1(SALU_CYCLE_3)
	s_fmac_f32 s20, s21, s15
	s_cmp_gt_f32 s20, 0
	s_cselect_b32 s15, s19, s18
	s_cmp_lt_f32 s13, 0xf800000
	s_mul_f32 s13, s15, 0x37800000
	v_cmp_class_f32_e64 s18, s14, 0x260
	s_delay_alu instid0(SALU_CYCLE_2) | instskip(SKIP_2) | instid1(SALU_CYCLE_1)
	s_cselect_b32 s13, s13, s15
	s_and_b32 s15, s18, exec_lo
	s_cselect_b32 s13, s14, s13
	s_mul_f32 s13, s5, s13
	s_branch .LBB47_96
.LBB47_95:
	s_mov_b32 s12, -1
                                        ; implicit-def: $sgpr13
.LBB47_96:
	s_delay_alu instid0(SALU_CYCLE_1)
	s_and_not1_b32 vcc_lo, exec_lo, s12
	s_cbranch_vccnz .LBB47_98
; %bb.97:
	v_div_scale_f32 v2, null, s4, s4, s5
	v_div_scale_f32 v7, vcc_lo, s5, s4, s5
	s_delay_alu instid0(VALU_DEP_2)
	v_rcp_f32_e32 v4, v2
	v_nop
	v_xor_b32_e32 v2, 0x80000000, v2
	s_delay_alu instid0(TRANS32_DEP_1) | instid1(VALU_DEP_1)
	v_fma_f32 v6, v2, v4, 1.0
	s_delay_alu instid0(VALU_DEP_1) | instskip(NEXT) | instid1(VALU_DEP_1)
	v_fmac_f32_e32 v4, v6, v4
	v_mul_f32_e32 v6, v7, v4
	s_delay_alu instid0(VALU_DEP_1) | instskip(NEXT) | instid1(VALU_DEP_1)
	v_fma_f32 v8, v2, v6, v7
	v_fmac_f32_e32 v6, v8, v4
	s_delay_alu instid0(VALU_DEP_1) | instskip(NEXT) | instid1(VALU_DEP_1)
	v_fmac_f32_e32 v7, v2, v6
	v_div_fmas_f32 v2, v7, v4, v6
	s_delay_alu instid0(VALU_DEP_1) | instskip(NEXT) | instid1(VALU_DEP_1)
	v_div_fixup_f32 v2, v2, s4, s5
	v_readfirstlane_b32 s5, v2
	s_fmaak_f32 s5, s5, s5, 0x3f800000
	s_delay_alu instid0(SALU_CYCLE_3) | instskip(SKIP_1) | instid1(SALU_CYCLE_2)
	s_mul_f32 s12, s5, 0x4f800000
	s_cmp_lt_f32 s5, 0xf800000
	s_cselect_b32 s12, s12, s5
	s_delay_alu instid0(SALU_CYCLE_1) | instskip(SKIP_1) | instid1(TRANS32_DEP_1)
	v_s_sqrt_f32 s13, s12
	s_mov_b32 s15, s12
	s_add_co_i32 s14, s13, -1
	s_delay_alu instid0(SALU_CYCLE_1) | instskip(NEXT) | instid1(SALU_CYCLE_1)
	s_xor_b32 s18, s14, 0x80000000
	s_fmac_f32 s15, s18, s13
	s_mov_b32 s18, s12
	s_delay_alu instid0(SALU_CYCLE_2) | instskip(SKIP_2) | instid1(SALU_CYCLE_1)
	s_cmp_le_f32 s15, 0
	s_cselect_b32 s14, s14, s13
	s_add_co_i32 s15, s13, 1
	s_xor_b32 s19, s15, 0x80000000
	s_delay_alu instid0(SALU_CYCLE_1) | instskip(NEXT) | instid1(SALU_CYCLE_3)
	s_fmac_f32 s18, s19, s13
	s_cmp_gt_f32 s18, 0
	s_cselect_b32 s13, s15, s14
	s_cmp_lt_f32 s5, 0xf800000
	s_mul_f32 s5, s13, 0x37800000
	v_cmp_class_f32_e64 s14, s12, 0x260
	s_delay_alu instid0(SALU_CYCLE_2) | instskip(SKIP_2) | instid1(SALU_CYCLE_1)
	s_cselect_b32 s5, s5, s13
	s_and_b32 s13, s14, exec_lo
	s_cselect_b32 s5, s12, s5
	s_mul_f32 s13, s4, s5
.LBB47_98:
	s_delay_alu instid0(SALU_CYCLE_3) | instskip(SKIP_2) | instid1(SALU_CYCLE_1)
	s_mul_f32 s4, s13, 0x4f800000
	s_cmp_lt_f32 s13, 0xf800000
	v_mov_b32_e32 v7, 0
	s_cselect_b32 s4, s4, s13
	s_delay_alu instid0(SALU_CYCLE_1) | instskip(SKIP_1) | instid1(TRANS32_DEP_1)
	v_s_sqrt_f32 s5, s4
	s_mov_b32 s14, s4
	s_add_co_i32 s12, s5, -1
	s_delay_alu instid0(SALU_CYCLE_1) | instskip(NEXT) | instid1(SALU_CYCLE_1)
	s_xor_b32 s15, s12, 0x80000000
	s_fmac_f32 s14, s15, s5
	s_mov_b32 s15, s4
	s_delay_alu instid0(SALU_CYCLE_2) | instskip(SKIP_2) | instid1(SALU_CYCLE_1)
	s_cmp_le_f32 s14, 0
	s_cselect_b32 s12, s12, s5
	s_add_co_i32 s14, s5, 1
	s_xor_b32 s18, s14, 0x80000000
	s_delay_alu instid0(SALU_CYCLE_1) | instskip(SKIP_1) | instid1(SALU_CYCLE_2)
	s_fmac_f32 s15, s18, s5
	v_cmp_class_f32_e64 s5, s4, 0x260
	s_cmp_gt_f32 s15, 0
	s_cselect_b32 s12, s14, s12
	s_cmp_lt_f32 s13, 0xf800000
	s_mul_f32 s13, s12, 0x37800000
	s_delay_alu instid0(SALU_CYCLE_3) | instskip(SKIP_2) | instid1(SALU_CYCLE_1)
	s_cselect_b32 s12, s13, s12
	s_and_b32 s5, s5, exec_lo
	s_cselect_b32 s4, s4, s12
	v_mov_b32_e32 v6, s4
	ds_store_b64 v7, v[6:7] offset:1152
.LBB47_99:
	s_or_b32 exec_lo, exec_lo, s0
	v_mov_b32_e32 v2, 0
	s_wait_dscnt 0x0
	s_add_co_i32 s4, s8, s9
	v_cmp_ne_u32_e64 s0, 0, v14
	v_lshl_add_u64 v[0:1], v[0:1], 3, s[16:17]
	ds_load_b64 v[6:7], v2 offset:1152
	s_wait_dscnt 0x0
	v_readfirstlane_b32 s5, v6
	v_readfirstlane_b32 s12, v7
	s_cmp_neq_f32 s5, 0
	s_cselect_b32 s13, -1, 0
	s_cmp_neq_f32 s12, 0
	s_cselect_b32 s14, -1, 0
	s_delay_alu instid0(SALU_CYCLE_1) | instskip(NEXT) | instid1(SALU_CYCLE_1)
	s_or_b32 s13, s13, s14
	s_nor_b32 s14, s13, s0
	s_and_b32 s13, s13, exec_lo
	s_cselect_b32 s5, s5, 1.0
	s_cselect_b32 s12, s12, 0
	s_delay_alu instid0(SALU_CYCLE_1)
	v_dual_mov_b32 v2, s5 :: v_dual_mov_b32 v4, s12
	s_and_saveexec_b32 s5, s14
	s_cbranch_execz .LBB47_103
; %bb.100:
	v_mbcnt_lo_u32_b32 v2, exec_lo, 0
	s_mov_b32 s12, exec_lo
	s_delay_alu instid0(VALU_DEP_1)
	v_cmpx_eq_u32_e32 0, v2
	s_cbranch_execz .LBB47_102
; %bb.101:
	v_dual_mov_b32 v2, 0 :: v_dual_mov_b32 v4, s4
	global_atomic_min_i32 v2, v4, s[10:11] scope:SCOPE_DEV
.LBB47_102:
	s_wait_xcnt 0x0
	s_or_b32 exec_lo, exec_lo, s12
	v_dual_mov_b32 v4, 0 :: v_dual_mov_b32 v2, 1.0
.LBB47_103:
	s_or_b32 exec_lo, exec_lo, s5
	s_movk_i32 s5, 0x48
	s_delay_alu instid0(SALU_CYCLE_1)
	v_mad_u32_u24 v6, v10, s5, 0x480
	s_and_saveexec_b32 s5, s1
	s_cbranch_execz .LBB47_105
; %bb.104:
	v_mul_f32_e32 v7, v4, v4
	ds_load_b64 v[8:9], v5
	ds_load_b64 v[16:17], v13
	v_fmac_f32_e32 v7, v2, v2
	s_delay_alu instid0(VALU_DEP_1) | instskip(SKIP_1) | instid1(VALU_DEP_2)
	v_div_scale_f32 v15, null, v7, v7, 1.0
	v_div_scale_f32 v20, vcc_lo, 1.0, v7, 1.0
	v_rcp_f32_e32 v18, v15
	s_wait_dscnt 0x0
	v_pk_add_f32 v[8:9], v[8:9], v[16:17] op_sel:[1,1] op_sel_hi:[0,0] neg_lo:[0,1] neg_hi:[0,1]
	s_delay_alu instid0(TRANS32_DEP_1) | instskip(NEXT) | instid1(VALU_DEP_2)
	v_fma_f32 v19, -v15, v18, 1.0
	v_pk_mul_f32 v[16:17], v[4:5], v[8:9] op_sel:[0,1] op_sel_hi:[0,0] neg_lo:[0,1]
	s_delay_alu instid0(VALU_DEP_2) | instskip(NEXT) | instid1(VALU_DEP_2)
	v_fmac_f32_e32 v18, v19, v18
	v_pk_fma_f32 v[8:9], v[8:9], v[2:3], v[16:17] op_sel_hi:[1,0,1]
	s_delay_alu instid0(VALU_DEP_2) | instskip(NEXT) | instid1(VALU_DEP_1)
	v_mul_f32_e32 v19, v20, v18
	v_fma_f32 v21, -v15, v19, v20
	s_delay_alu instid0(VALU_DEP_1) | instskip(NEXT) | instid1(VALU_DEP_1)
	v_fmac_f32_e32 v19, v21, v18
	v_fma_f32 v15, -v15, v19, v20
	s_delay_alu instid0(VALU_DEP_1) | instskip(NEXT) | instid1(VALU_DEP_1)
	v_div_fmas_f32 v4, v15, v18, v19
	v_div_fixup_f32 v2, v4, v7, 1.0
	s_delay_alu instid0(VALU_DEP_1) | instskip(NEXT) | instid1(VALU_DEP_1)
	v_pk_mul_f32 v[8:9], v[2:3], v[8:9] op_sel_hi:[0,1]
	v_dual_mov_b32 v16, v9 :: v_dual_mov_b32 v17, v8
	ds_store_b64 v5, v[16:17]
	s_wait_storecnt_dscnt 0x0
	ds_load_b64 v[16:17], v6
	ds_load_b64 v[18:19], v12
	s_wait_dscnt 0x0
	v_pk_fma_f32 v[18:19], v[8:9], v[16:17], v[18:19] op_sel:[1,0,0] op_sel_hi:[0,0,1]
	s_delay_alu instid0(VALU_DEP_1)
	v_pk_fma_f32 v[8:9], v[8:9], v[16:17], v[18:19] op_sel:[0,1,0] neg_hi:[0,1,0]
	ds_store_b64 v12, v[8:9]
.LBB47_105:
	s_or_b32 exec_lo, exec_lo, s5
	s_delay_alu instid0(SALU_CYCLE_1)
	s_mov_b32 s1, exec_lo
	s_wait_storecnt_dscnt 0x0
	v_cmpx_eq_u32_e32 1, v11
	s_cbranch_execz .LBB47_113
; %bb.106:
	v_mov_b32_e32 v2, 0
	ds_load_2addr_b64 v[16:19], v2 offset0:154 offset1:226
	s_wait_dscnt 0x0
	v_readfirstlane_b32 s5, v18
	v_readfirstlane_b32 s12, v16
	;; [unrolled: 1-line block ×3, first 2 shown]
	s_sub_f32 s5, s12, s5
	v_readfirstlane_b32 s12, v19
	s_delay_alu instid0(SALU_CYCLE_2) | instskip(SKIP_4) | instid1(SALU_CYCLE_1)
	s_xor_b32 s15, s5, 0x80000000
	s_cmp_lt_f32 s5, 0
	s_sub_f32 s14, s13, s12
	s_mov_b32 s13, 0
	s_cselect_b32 s5, s15, s5
	s_xor_b32 s12, s14, 0x80000000
	s_cmp_lt_f32 s14, 0
	s_cselect_b32 s12, s12, s14
	s_delay_alu instid0(SALU_CYCLE_1)
	s_cmp_gt_f32 s5, s12
	s_cbranch_scc1 .LBB47_110
; %bb.107:
	s_cmp_eq_f32 s14, 0
	s_cbranch_scc1 .LBB47_109
; %bb.108:
	v_div_scale_f32 v2, null, s12, s12, s5
	v_div_scale_f32 v8, vcc_lo, s5, s12, s5
	s_delay_alu instid0(VALU_DEP_2)
	v_rcp_f32_e32 v4, v2
	v_nop
	v_xor_b32_e32 v2, 0x80000000, v2
	s_delay_alu instid0(TRANS32_DEP_1) | instid1(VALU_DEP_1)
	v_fma_f32 v7, v2, v4, 1.0
	s_delay_alu instid0(VALU_DEP_1) | instskip(NEXT) | instid1(VALU_DEP_1)
	v_fmac_f32_e32 v4, v7, v4
	v_mul_f32_e32 v7, v8, v4
	s_delay_alu instid0(VALU_DEP_1) | instskip(NEXT) | instid1(VALU_DEP_1)
	v_fma_f32 v9, v2, v7, v8
	v_fmac_f32_e32 v7, v9, v4
	s_delay_alu instid0(VALU_DEP_1) | instskip(NEXT) | instid1(VALU_DEP_1)
	v_fmac_f32_e32 v8, v2, v7
	v_div_fmas_f32 v2, v8, v4, v7
	s_delay_alu instid0(VALU_DEP_1) | instskip(NEXT) | instid1(VALU_DEP_1)
	v_div_fixup_f32 v2, v2, s12, s5
	v_readfirstlane_b32 s13, v2
	s_fmaak_f32 s13, s13, s13, 0x3f800000
	s_delay_alu instid0(SALU_CYCLE_3) | instskip(SKIP_1) | instid1(SALU_CYCLE_2)
	s_mul_f32 s14, s13, 0x4f800000
	s_cmp_lt_f32 s13, 0xf800000
	s_cselect_b32 s14, s14, s13
	s_delay_alu instid0(SALU_CYCLE_1) | instskip(SKIP_1) | instid1(TRANS32_DEP_1)
	v_s_sqrt_f32 s15, s14
	s_mov_b32 s17, s14
	s_add_co_i32 s16, s15, -1
	s_delay_alu instid0(SALU_CYCLE_1) | instskip(NEXT) | instid1(SALU_CYCLE_1)
	s_xor_b32 s18, s16, 0x80000000
	s_fmac_f32 s17, s18, s15
	s_mov_b32 s18, s14
	s_delay_alu instid0(SALU_CYCLE_2) | instskip(SKIP_2) | instid1(SALU_CYCLE_1)
	s_cmp_le_f32 s17, 0
	s_cselect_b32 s16, s16, s15
	s_add_co_i32 s17, s15, 1
	s_xor_b32 s19, s17, 0x80000000
	s_delay_alu instid0(SALU_CYCLE_1) | instskip(NEXT) | instid1(SALU_CYCLE_3)
	s_fmac_f32 s18, s19, s15
	s_cmp_gt_f32 s18, 0
	s_cselect_b32 s15, s17, s16
	s_cmp_lt_f32 s13, 0xf800000
	s_mul_f32 s13, s15, 0x37800000
	v_cmp_class_f32_e64 s16, s14, 0x260
	s_delay_alu instid0(SALU_CYCLE_2) | instskip(SKIP_2) | instid1(SALU_CYCLE_1)
	s_cselect_b32 s13, s13, s15
	s_and_b32 s15, s16, exec_lo
	s_cselect_b32 s13, s14, s13
	s_mul_f32 s13, s12, s13
.LBB47_109:
	s_cbranch_execz .LBB47_111
	s_branch .LBB47_112
.LBB47_110:
                                        ; implicit-def: $sgpr13
.LBB47_111:
	v_div_scale_f32 v2, null, s5, s5, s12
	v_div_scale_f32 v8, vcc_lo, s12, s5, s12
	s_delay_alu instid0(VALU_DEP_2)
	v_rcp_f32_e32 v4, v2
	v_nop
	v_xor_b32_e32 v2, 0x80000000, v2
	s_delay_alu instid0(TRANS32_DEP_1) | instid1(VALU_DEP_1)
	v_fma_f32 v7, v2, v4, 1.0
	s_delay_alu instid0(VALU_DEP_1) | instskip(NEXT) | instid1(VALU_DEP_1)
	v_fmac_f32_e32 v4, v7, v4
	v_mul_f32_e32 v7, v8, v4
	s_delay_alu instid0(VALU_DEP_1) | instskip(NEXT) | instid1(VALU_DEP_1)
	v_fma_f32 v9, v2, v7, v8
	v_fmac_f32_e32 v7, v9, v4
	s_delay_alu instid0(VALU_DEP_1) | instskip(NEXT) | instid1(VALU_DEP_1)
	v_fmac_f32_e32 v8, v2, v7
	v_div_fmas_f32 v2, v8, v4, v7
	s_delay_alu instid0(VALU_DEP_1) | instskip(NEXT) | instid1(VALU_DEP_1)
	v_div_fixup_f32 v2, v2, s5, s12
	v_readfirstlane_b32 s12, v2
	s_fmaak_f32 s12, s12, s12, 0x3f800000
	s_delay_alu instid0(SALU_CYCLE_3) | instskip(SKIP_1) | instid1(SALU_CYCLE_2)
	s_mul_f32 s13, s12, 0x4f800000
	s_cmp_lt_f32 s12, 0xf800000
	s_cselect_b32 s13, s13, s12
	s_delay_alu instid0(SALU_CYCLE_1) | instskip(SKIP_1) | instid1(TRANS32_DEP_1)
	v_s_sqrt_f32 s14, s13
	s_mov_b32 s16, s13
	s_add_co_i32 s15, s14, -1
	s_delay_alu instid0(SALU_CYCLE_1) | instskip(NEXT) | instid1(SALU_CYCLE_1)
	s_xor_b32 s17, s15, 0x80000000
	s_fmac_f32 s16, s17, s14
	s_mov_b32 s17, s13
	s_delay_alu instid0(SALU_CYCLE_2) | instskip(SKIP_2) | instid1(SALU_CYCLE_1)
	s_cmp_le_f32 s16, 0
	s_cselect_b32 s15, s15, s14
	s_add_co_i32 s16, s14, 1
	s_xor_b32 s18, s16, 0x80000000
	s_delay_alu instid0(SALU_CYCLE_1) | instskip(NEXT) | instid1(SALU_CYCLE_3)
	s_fmac_f32 s17, s18, s14
	s_cmp_gt_f32 s17, 0
	s_cselect_b32 s14, s16, s15
	s_cmp_lt_f32 s12, 0xf800000
	s_mul_f32 s12, s14, 0x37800000
	v_cmp_class_f32_e64 s15, s13, 0x260
	s_delay_alu instid0(SALU_CYCLE_2) | instskip(SKIP_2) | instid1(SALU_CYCLE_1)
	s_cselect_b32 s12, s12, s14
	s_and_b32 s14, s15, exec_lo
	s_cselect_b32 s12, s13, s12
	s_mul_f32 s13, s5, s12
.LBB47_112:
	s_delay_alu instid0(SALU_CYCLE_3) | instskip(SKIP_2) | instid1(SALU_CYCLE_1)
	s_mul_f32 s5, s13, 0x4f800000
	s_cmp_lt_f32 s13, 0xf800000
	v_mov_b32_e32 v9, 0
	s_cselect_b32 s5, s5, s13
	s_delay_alu instid0(SALU_CYCLE_1) | instskip(SKIP_1) | instid1(TRANS32_DEP_1)
	v_s_sqrt_f32 s12, s5
	s_mov_b32 s15, s5
	s_add_co_i32 s14, s12, -1
	s_delay_alu instid0(SALU_CYCLE_1) | instskip(NEXT) | instid1(SALU_CYCLE_1)
	s_xor_b32 s16, s14, 0x80000000
	s_fmac_f32 s15, s16, s12
	s_mov_b32 s16, s5
	s_delay_alu instid0(SALU_CYCLE_2) | instskip(SKIP_2) | instid1(SALU_CYCLE_1)
	s_cmp_le_f32 s15, 0
	s_cselect_b32 s14, s14, s12
	s_add_co_i32 s15, s12, 1
	s_xor_b32 s17, s15, 0x80000000
	s_delay_alu instid0(SALU_CYCLE_1) | instskip(SKIP_1) | instid1(SALU_CYCLE_2)
	s_fmac_f32 s16, s17, s12
	v_cmp_class_f32_e64 s12, s5, 0x260
	s_cmp_gt_f32 s16, 0
	s_cselect_b32 s14, s15, s14
	s_cmp_lt_f32 s13, 0xf800000
	s_mul_f32 s13, s14, 0x37800000
	s_delay_alu instid0(SALU_CYCLE_3) | instskip(SKIP_2) | instid1(SALU_CYCLE_1)
	s_cselect_b32 s13, s13, s14
	s_and_b32 s12, s12, exec_lo
	s_cselect_b32 s5, s5, s13
	v_mov_b32_e32 v8, s5
	ds_store_b64 v9, v[8:9] offset:1232
.LBB47_113:
	s_or_b32 exec_lo, exec_lo, s1
	v_mov_b32_e32 v2, 0
	s_wait_dscnt 0x0
	ds_load_b64 v[8:9], v2 offset:1232
	s_wait_dscnt 0x0
	v_readfirstlane_b32 s1, v8
	v_readfirstlane_b32 s5, v9
	s_cmp_neq_f32 s1, 0
	s_cselect_b32 s12, -1, 0
	s_cmp_neq_f32 s5, 0
	s_cselect_b32 s13, -1, 0
	s_delay_alu instid0(SALU_CYCLE_1) | instskip(NEXT) | instid1(SALU_CYCLE_1)
	s_or_b32 s12, s12, s13
	s_nor_b32 s13, s12, s0
	s_and_b32 s12, s12, exec_lo
	s_cselect_b32 s1, s1, 1.0
	s_cselect_b32 s5, s5, 0
	s_delay_alu instid0(SALU_CYCLE_1)
	v_dual_mov_b32 v2, s1 :: v_dual_mov_b32 v4, s5
	s_and_saveexec_b32 s1, s13
	s_cbranch_execz .LBB47_117
; %bb.114:
	v_mbcnt_lo_u32_b32 v2, exec_lo, 0
	s_mov_b32 s5, exec_lo
	s_delay_alu instid0(VALU_DEP_1)
	v_cmpx_eq_u32_e32 0, v2
	s_cbranch_execz .LBB47_116
; %bb.115:
	v_dual_mov_b32 v2, 0 :: v_dual_mov_b32 v4, s4
	global_atomic_min_i32 v2, v4, s[10:11] scope:SCOPE_DEV
.LBB47_116:
	s_wait_xcnt 0x0
	s_or_b32 exec_lo, exec_lo, s5
	v_dual_mov_b32 v4, 0 :: v_dual_mov_b32 v2, 1.0
.LBB47_117:
	s_or_b32 exec_lo, exec_lo, s1
	s_delay_alu instid0(SALU_CYCLE_1)
	s_mov_b32 s1, exec_lo
	v_cmpx_lt_u32_e32 1, v11
	s_cbranch_execz .LBB47_119
; %bb.118:
	v_mul_f32_e32 v7, v4, v4
	ds_load_b64 v[8:9], v5 offset:8
	ds_load_b64 v[16:17], v13 offset:8
	v_fmac_f32_e32 v7, v2, v2
	s_delay_alu instid0(VALU_DEP_1) | instskip(SKIP_1) | instid1(VALU_DEP_2)
	v_div_scale_f32 v15, null, v7, v7, 1.0
	v_div_scale_f32 v20, vcc_lo, 1.0, v7, 1.0
	v_rcp_f32_e32 v18, v15
	s_wait_dscnt 0x0
	v_pk_add_f32 v[8:9], v[8:9], v[16:17] op_sel:[1,1] op_sel_hi:[0,0] neg_lo:[0,1] neg_hi:[0,1]
	s_delay_alu instid0(TRANS32_DEP_1) | instskip(NEXT) | instid1(VALU_DEP_2)
	v_fma_f32 v19, -v15, v18, 1.0
	v_pk_mul_f32 v[16:17], v[4:5], v[8:9] op_sel:[0,1] op_sel_hi:[0,0] neg_lo:[0,1]
	s_delay_alu instid0(VALU_DEP_2) | instskip(NEXT) | instid1(VALU_DEP_2)
	v_fmac_f32_e32 v18, v19, v18
	v_pk_fma_f32 v[8:9], v[8:9], v[2:3], v[16:17] op_sel_hi:[1,0,1]
	s_delay_alu instid0(VALU_DEP_2) | instskip(NEXT) | instid1(VALU_DEP_1)
	v_mul_f32_e32 v19, v20, v18
	v_fma_f32 v21, -v15, v19, v20
	s_delay_alu instid0(VALU_DEP_1) | instskip(NEXT) | instid1(VALU_DEP_1)
	v_fmac_f32_e32 v19, v21, v18
	v_fma_f32 v15, -v15, v19, v20
	s_delay_alu instid0(VALU_DEP_1) | instskip(NEXT) | instid1(VALU_DEP_1)
	v_div_fmas_f32 v4, v15, v18, v19
	v_div_fixup_f32 v2, v4, v7, 1.0
	s_delay_alu instid0(VALU_DEP_1) | instskip(NEXT) | instid1(VALU_DEP_1)
	v_pk_mul_f32 v[8:9], v[2:3], v[8:9] op_sel_hi:[0,1]
	v_dual_mov_b32 v16, v9 :: v_dual_mov_b32 v17, v8
	ds_store_b64 v5, v[16:17] offset:8
	s_wait_storecnt_dscnt 0x0
	ds_load_b64 v[16:17], v6 offset:8
	ds_load_b64 v[18:19], v12
	s_wait_dscnt 0x0
	v_pk_fma_f32 v[18:19], v[8:9], v[16:17], v[18:19] op_sel:[1,0,0] op_sel_hi:[0,0,1]
	s_delay_alu instid0(VALU_DEP_1)
	v_pk_fma_f32 v[8:9], v[8:9], v[16:17], v[18:19] op_sel:[0,1,0] neg_hi:[0,1,0]
	ds_store_b64 v12, v[8:9]
.LBB47_119:
	s_or_b32 exec_lo, exec_lo, s1
	s_delay_alu instid0(SALU_CYCLE_1)
	s_mov_b32 s1, exec_lo
	s_wait_storecnt_dscnt 0x0
	v_cmpx_eq_u32_e32 2, v11
	s_cbranch_execz .LBB47_127
; %bb.120:
	v_mov_b32_e32 v2, 0
	ds_load_2addr_b64 v[16:19], v2 offset0:164 offset1:236
	s_wait_dscnt 0x0
	v_readfirstlane_b32 s5, v18
	v_readfirstlane_b32 s12, v16
	;; [unrolled: 1-line block ×3, first 2 shown]
	s_sub_f32 s5, s12, s5
	v_readfirstlane_b32 s12, v19
	s_delay_alu instid0(SALU_CYCLE_2) | instskip(SKIP_4) | instid1(SALU_CYCLE_1)
	s_xor_b32 s15, s5, 0x80000000
	s_cmp_lt_f32 s5, 0
	s_sub_f32 s14, s13, s12
	s_mov_b32 s13, 0
	s_cselect_b32 s5, s15, s5
	s_xor_b32 s12, s14, 0x80000000
	s_cmp_lt_f32 s14, 0
	s_cselect_b32 s12, s12, s14
	s_delay_alu instid0(SALU_CYCLE_1)
	s_cmp_gt_f32 s5, s12
	s_cbranch_scc1 .LBB47_124
; %bb.121:
	s_cmp_eq_f32 s14, 0
	s_cbranch_scc1 .LBB47_123
; %bb.122:
	v_div_scale_f32 v2, null, s12, s12, s5
	v_div_scale_f32 v8, vcc_lo, s5, s12, s5
	s_delay_alu instid0(VALU_DEP_2)
	v_rcp_f32_e32 v4, v2
	v_nop
	v_xor_b32_e32 v2, 0x80000000, v2
	s_delay_alu instid0(TRANS32_DEP_1) | instid1(VALU_DEP_1)
	v_fma_f32 v7, v2, v4, 1.0
	s_delay_alu instid0(VALU_DEP_1) | instskip(NEXT) | instid1(VALU_DEP_1)
	v_fmac_f32_e32 v4, v7, v4
	v_mul_f32_e32 v7, v8, v4
	s_delay_alu instid0(VALU_DEP_1) | instskip(NEXT) | instid1(VALU_DEP_1)
	v_fma_f32 v9, v2, v7, v8
	v_fmac_f32_e32 v7, v9, v4
	s_delay_alu instid0(VALU_DEP_1) | instskip(NEXT) | instid1(VALU_DEP_1)
	v_fmac_f32_e32 v8, v2, v7
	v_div_fmas_f32 v2, v8, v4, v7
	s_delay_alu instid0(VALU_DEP_1) | instskip(NEXT) | instid1(VALU_DEP_1)
	v_div_fixup_f32 v2, v2, s12, s5
	v_readfirstlane_b32 s13, v2
	s_fmaak_f32 s13, s13, s13, 0x3f800000
	s_delay_alu instid0(SALU_CYCLE_3) | instskip(SKIP_1) | instid1(SALU_CYCLE_2)
	s_mul_f32 s14, s13, 0x4f800000
	s_cmp_lt_f32 s13, 0xf800000
	s_cselect_b32 s14, s14, s13
	s_delay_alu instid0(SALU_CYCLE_1) | instskip(SKIP_1) | instid1(TRANS32_DEP_1)
	v_s_sqrt_f32 s15, s14
	s_mov_b32 s17, s14
	s_add_co_i32 s16, s15, -1
	s_delay_alu instid0(SALU_CYCLE_1) | instskip(NEXT) | instid1(SALU_CYCLE_1)
	s_xor_b32 s18, s16, 0x80000000
	s_fmac_f32 s17, s18, s15
	s_mov_b32 s18, s14
	s_delay_alu instid0(SALU_CYCLE_2) | instskip(SKIP_2) | instid1(SALU_CYCLE_1)
	s_cmp_le_f32 s17, 0
	s_cselect_b32 s16, s16, s15
	s_add_co_i32 s17, s15, 1
	s_xor_b32 s19, s17, 0x80000000
	s_delay_alu instid0(SALU_CYCLE_1) | instskip(NEXT) | instid1(SALU_CYCLE_3)
	s_fmac_f32 s18, s19, s15
	s_cmp_gt_f32 s18, 0
	s_cselect_b32 s15, s17, s16
	s_cmp_lt_f32 s13, 0xf800000
	s_mul_f32 s13, s15, 0x37800000
	v_cmp_class_f32_e64 s16, s14, 0x260
	s_delay_alu instid0(SALU_CYCLE_2) | instskip(SKIP_2) | instid1(SALU_CYCLE_1)
	s_cselect_b32 s13, s13, s15
	s_and_b32 s15, s16, exec_lo
	s_cselect_b32 s13, s14, s13
	s_mul_f32 s13, s12, s13
.LBB47_123:
	s_cbranch_execz .LBB47_125
	s_branch .LBB47_126
.LBB47_124:
                                        ; implicit-def: $sgpr13
.LBB47_125:
	v_div_scale_f32 v2, null, s5, s5, s12
	v_div_scale_f32 v8, vcc_lo, s12, s5, s12
	s_delay_alu instid0(VALU_DEP_2)
	v_rcp_f32_e32 v4, v2
	v_nop
	v_xor_b32_e32 v2, 0x80000000, v2
	s_delay_alu instid0(TRANS32_DEP_1) | instid1(VALU_DEP_1)
	v_fma_f32 v7, v2, v4, 1.0
	s_delay_alu instid0(VALU_DEP_1) | instskip(NEXT) | instid1(VALU_DEP_1)
	v_fmac_f32_e32 v4, v7, v4
	v_mul_f32_e32 v7, v8, v4
	s_delay_alu instid0(VALU_DEP_1) | instskip(NEXT) | instid1(VALU_DEP_1)
	v_fma_f32 v9, v2, v7, v8
	v_fmac_f32_e32 v7, v9, v4
	s_delay_alu instid0(VALU_DEP_1) | instskip(NEXT) | instid1(VALU_DEP_1)
	v_fmac_f32_e32 v8, v2, v7
	v_div_fmas_f32 v2, v8, v4, v7
	s_delay_alu instid0(VALU_DEP_1) | instskip(NEXT) | instid1(VALU_DEP_1)
	v_div_fixup_f32 v2, v2, s5, s12
	v_readfirstlane_b32 s12, v2
	s_fmaak_f32 s12, s12, s12, 0x3f800000
	s_delay_alu instid0(SALU_CYCLE_3) | instskip(SKIP_1) | instid1(SALU_CYCLE_2)
	s_mul_f32 s13, s12, 0x4f800000
	s_cmp_lt_f32 s12, 0xf800000
	s_cselect_b32 s13, s13, s12
	s_delay_alu instid0(SALU_CYCLE_1) | instskip(SKIP_1) | instid1(TRANS32_DEP_1)
	v_s_sqrt_f32 s14, s13
	s_mov_b32 s16, s13
	s_add_co_i32 s15, s14, -1
	s_delay_alu instid0(SALU_CYCLE_1) | instskip(NEXT) | instid1(SALU_CYCLE_1)
	s_xor_b32 s17, s15, 0x80000000
	s_fmac_f32 s16, s17, s14
	s_mov_b32 s17, s13
	s_delay_alu instid0(SALU_CYCLE_2) | instskip(SKIP_2) | instid1(SALU_CYCLE_1)
	s_cmp_le_f32 s16, 0
	s_cselect_b32 s15, s15, s14
	s_add_co_i32 s16, s14, 1
	s_xor_b32 s18, s16, 0x80000000
	s_delay_alu instid0(SALU_CYCLE_1) | instskip(NEXT) | instid1(SALU_CYCLE_3)
	s_fmac_f32 s17, s18, s14
	s_cmp_gt_f32 s17, 0
	s_cselect_b32 s14, s16, s15
	s_cmp_lt_f32 s12, 0xf800000
	s_mul_f32 s12, s14, 0x37800000
	v_cmp_class_f32_e64 s15, s13, 0x260
	s_delay_alu instid0(SALU_CYCLE_2) | instskip(SKIP_2) | instid1(SALU_CYCLE_1)
	s_cselect_b32 s12, s12, s14
	s_and_b32 s14, s15, exec_lo
	s_cselect_b32 s12, s13, s12
	s_mul_f32 s13, s5, s12
.LBB47_126:
	s_delay_alu instid0(SALU_CYCLE_3) | instskip(SKIP_2) | instid1(SALU_CYCLE_1)
	s_mul_f32 s5, s13, 0x4f800000
	s_cmp_lt_f32 s13, 0xf800000
	v_mov_b32_e32 v9, 0
	s_cselect_b32 s5, s5, s13
	s_delay_alu instid0(SALU_CYCLE_1) | instskip(SKIP_1) | instid1(TRANS32_DEP_1)
	v_s_sqrt_f32 s12, s5
	s_mov_b32 s15, s5
	s_add_co_i32 s14, s12, -1
	s_delay_alu instid0(SALU_CYCLE_1) | instskip(NEXT) | instid1(SALU_CYCLE_1)
	s_xor_b32 s16, s14, 0x80000000
	s_fmac_f32 s15, s16, s12
	s_mov_b32 s16, s5
	s_delay_alu instid0(SALU_CYCLE_2) | instskip(SKIP_2) | instid1(SALU_CYCLE_1)
	s_cmp_le_f32 s15, 0
	s_cselect_b32 s14, s14, s12
	s_add_co_i32 s15, s12, 1
	s_xor_b32 s17, s15, 0x80000000
	s_delay_alu instid0(SALU_CYCLE_1) | instskip(SKIP_1) | instid1(SALU_CYCLE_2)
	s_fmac_f32 s16, s17, s12
	v_cmp_class_f32_e64 s12, s5, 0x260
	s_cmp_gt_f32 s16, 0
	s_cselect_b32 s14, s15, s14
	s_cmp_lt_f32 s13, 0xf800000
	s_mul_f32 s13, s14, 0x37800000
	s_delay_alu instid0(SALU_CYCLE_3) | instskip(SKIP_2) | instid1(SALU_CYCLE_1)
	s_cselect_b32 s13, s13, s14
	s_and_b32 s12, s12, exec_lo
	s_cselect_b32 s5, s5, s13
	v_mov_b32_e32 v8, s5
	ds_store_b64 v9, v[8:9] offset:1312
.LBB47_127:
	s_or_b32 exec_lo, exec_lo, s1
	v_mov_b32_e32 v2, 0
	s_wait_dscnt 0x0
	ds_load_b64 v[8:9], v2 offset:1312
	s_wait_dscnt 0x0
	v_readfirstlane_b32 s1, v8
	v_readfirstlane_b32 s5, v9
	s_cmp_neq_f32 s1, 0
	s_cselect_b32 s12, -1, 0
	s_cmp_neq_f32 s5, 0
	s_cselect_b32 s13, -1, 0
	s_delay_alu instid0(SALU_CYCLE_1) | instskip(NEXT) | instid1(SALU_CYCLE_1)
	s_or_b32 s12, s12, s13
	s_nor_b32 s13, s12, s0
	s_and_b32 s12, s12, exec_lo
	s_cselect_b32 s1, s1, 1.0
	s_cselect_b32 s5, s5, 0
	s_delay_alu instid0(SALU_CYCLE_1)
	v_dual_mov_b32 v2, s1 :: v_dual_mov_b32 v4, s5
	s_and_saveexec_b32 s1, s13
	s_cbranch_execz .LBB47_131
; %bb.128:
	v_mbcnt_lo_u32_b32 v2, exec_lo, 0
	s_mov_b32 s5, exec_lo
	s_delay_alu instid0(VALU_DEP_1)
	v_cmpx_eq_u32_e32 0, v2
	s_cbranch_execz .LBB47_130
; %bb.129:
	v_dual_mov_b32 v2, 0 :: v_dual_mov_b32 v4, s4
	global_atomic_min_i32 v2, v4, s[10:11] scope:SCOPE_DEV
.LBB47_130:
	s_wait_xcnt 0x0
	s_or_b32 exec_lo, exec_lo, s5
	v_dual_mov_b32 v4, 0 :: v_dual_mov_b32 v2, 1.0
.LBB47_131:
	s_or_b32 exec_lo, exec_lo, s1
	s_delay_alu instid0(SALU_CYCLE_1)
	s_mov_b32 s1, exec_lo
	v_cmpx_lt_u32_e32 2, v11
	s_cbranch_execz .LBB47_133
; %bb.132:
	v_mul_f32_e32 v7, v4, v4
	ds_load_b64 v[8:9], v5 offset:16
	ds_load_b64 v[16:17], v13 offset:16
	v_fmac_f32_e32 v7, v2, v2
	s_delay_alu instid0(VALU_DEP_1) | instskip(SKIP_1) | instid1(VALU_DEP_2)
	v_div_scale_f32 v15, null, v7, v7, 1.0
	v_div_scale_f32 v20, vcc_lo, 1.0, v7, 1.0
	v_rcp_f32_e32 v18, v15
	s_wait_dscnt 0x0
	v_pk_add_f32 v[8:9], v[8:9], v[16:17] op_sel:[1,1] op_sel_hi:[0,0] neg_lo:[0,1] neg_hi:[0,1]
	s_delay_alu instid0(TRANS32_DEP_1) | instskip(NEXT) | instid1(VALU_DEP_2)
	v_fma_f32 v19, -v15, v18, 1.0
	v_pk_mul_f32 v[16:17], v[4:5], v[8:9] op_sel:[0,1] op_sel_hi:[0,0] neg_lo:[0,1]
	s_delay_alu instid0(VALU_DEP_2) | instskip(NEXT) | instid1(VALU_DEP_2)
	v_fmac_f32_e32 v18, v19, v18
	v_pk_fma_f32 v[8:9], v[8:9], v[2:3], v[16:17] op_sel_hi:[1,0,1]
	s_delay_alu instid0(VALU_DEP_2) | instskip(NEXT) | instid1(VALU_DEP_1)
	v_mul_f32_e32 v19, v20, v18
	v_fma_f32 v21, -v15, v19, v20
	s_delay_alu instid0(VALU_DEP_1) | instskip(NEXT) | instid1(VALU_DEP_1)
	v_fmac_f32_e32 v19, v21, v18
	v_fma_f32 v15, -v15, v19, v20
	s_delay_alu instid0(VALU_DEP_1) | instskip(NEXT) | instid1(VALU_DEP_1)
	v_div_fmas_f32 v4, v15, v18, v19
	v_div_fixup_f32 v2, v4, v7, 1.0
	s_delay_alu instid0(VALU_DEP_1) | instskip(NEXT) | instid1(VALU_DEP_1)
	v_pk_mul_f32 v[8:9], v[2:3], v[8:9] op_sel_hi:[0,1]
	v_dual_mov_b32 v16, v9 :: v_dual_mov_b32 v17, v8
	ds_store_b64 v5, v[16:17] offset:16
	s_wait_storecnt_dscnt 0x0
	ds_load_b64 v[16:17], v6 offset:16
	ds_load_b64 v[18:19], v12
	s_wait_dscnt 0x0
	v_pk_fma_f32 v[18:19], v[8:9], v[16:17], v[18:19] op_sel:[1,0,0] op_sel_hi:[0,0,1]
	s_delay_alu instid0(VALU_DEP_1)
	v_pk_fma_f32 v[8:9], v[8:9], v[16:17], v[18:19] op_sel:[0,1,0] neg_hi:[0,1,0]
	ds_store_b64 v12, v[8:9]
.LBB47_133:
	s_or_b32 exec_lo, exec_lo, s1
	s_delay_alu instid0(SALU_CYCLE_1)
	s_mov_b32 s1, exec_lo
	s_wait_storecnt_dscnt 0x0
	v_cmpx_eq_u32_e32 3, v11
	s_cbranch_execz .LBB47_141
; %bb.134:
	v_mov_b32_e32 v2, 0
	ds_load_2addr_b64 v[16:19], v2 offset0:174 offset1:246
	s_wait_dscnt 0x0
	v_readfirstlane_b32 s5, v18
	v_readfirstlane_b32 s12, v16
	;; [unrolled: 1-line block ×3, first 2 shown]
	s_sub_f32 s5, s12, s5
	v_readfirstlane_b32 s12, v19
	s_delay_alu instid0(SALU_CYCLE_2) | instskip(SKIP_4) | instid1(SALU_CYCLE_1)
	s_xor_b32 s15, s5, 0x80000000
	s_cmp_lt_f32 s5, 0
	s_sub_f32 s14, s13, s12
	s_mov_b32 s13, 0
	s_cselect_b32 s5, s15, s5
	s_xor_b32 s12, s14, 0x80000000
	s_cmp_lt_f32 s14, 0
	s_cselect_b32 s12, s12, s14
	s_delay_alu instid0(SALU_CYCLE_1)
	s_cmp_gt_f32 s5, s12
	s_cbranch_scc1 .LBB47_138
; %bb.135:
	s_cmp_eq_f32 s14, 0
	s_cbranch_scc1 .LBB47_137
; %bb.136:
	v_div_scale_f32 v2, null, s12, s12, s5
	v_div_scale_f32 v8, vcc_lo, s5, s12, s5
	s_delay_alu instid0(VALU_DEP_2)
	v_rcp_f32_e32 v4, v2
	v_nop
	v_xor_b32_e32 v2, 0x80000000, v2
	s_delay_alu instid0(TRANS32_DEP_1) | instid1(VALU_DEP_1)
	v_fma_f32 v7, v2, v4, 1.0
	s_delay_alu instid0(VALU_DEP_1) | instskip(NEXT) | instid1(VALU_DEP_1)
	v_fmac_f32_e32 v4, v7, v4
	v_mul_f32_e32 v7, v8, v4
	s_delay_alu instid0(VALU_DEP_1) | instskip(NEXT) | instid1(VALU_DEP_1)
	v_fma_f32 v9, v2, v7, v8
	v_fmac_f32_e32 v7, v9, v4
	s_delay_alu instid0(VALU_DEP_1) | instskip(NEXT) | instid1(VALU_DEP_1)
	v_fmac_f32_e32 v8, v2, v7
	v_div_fmas_f32 v2, v8, v4, v7
	s_delay_alu instid0(VALU_DEP_1) | instskip(NEXT) | instid1(VALU_DEP_1)
	v_div_fixup_f32 v2, v2, s12, s5
	v_readfirstlane_b32 s13, v2
	s_fmaak_f32 s13, s13, s13, 0x3f800000
	s_delay_alu instid0(SALU_CYCLE_3) | instskip(SKIP_1) | instid1(SALU_CYCLE_2)
	s_mul_f32 s14, s13, 0x4f800000
	s_cmp_lt_f32 s13, 0xf800000
	s_cselect_b32 s14, s14, s13
	s_delay_alu instid0(SALU_CYCLE_1) | instskip(SKIP_1) | instid1(TRANS32_DEP_1)
	v_s_sqrt_f32 s15, s14
	s_mov_b32 s17, s14
	s_add_co_i32 s16, s15, -1
	s_delay_alu instid0(SALU_CYCLE_1) | instskip(NEXT) | instid1(SALU_CYCLE_1)
	s_xor_b32 s18, s16, 0x80000000
	s_fmac_f32 s17, s18, s15
	s_mov_b32 s18, s14
	s_delay_alu instid0(SALU_CYCLE_2) | instskip(SKIP_2) | instid1(SALU_CYCLE_1)
	s_cmp_le_f32 s17, 0
	s_cselect_b32 s16, s16, s15
	s_add_co_i32 s17, s15, 1
	s_xor_b32 s19, s17, 0x80000000
	s_delay_alu instid0(SALU_CYCLE_1) | instskip(NEXT) | instid1(SALU_CYCLE_3)
	s_fmac_f32 s18, s19, s15
	s_cmp_gt_f32 s18, 0
	s_cselect_b32 s15, s17, s16
	s_cmp_lt_f32 s13, 0xf800000
	s_mul_f32 s13, s15, 0x37800000
	v_cmp_class_f32_e64 s16, s14, 0x260
	s_delay_alu instid0(SALU_CYCLE_2) | instskip(SKIP_2) | instid1(SALU_CYCLE_1)
	s_cselect_b32 s13, s13, s15
	s_and_b32 s15, s16, exec_lo
	s_cselect_b32 s13, s14, s13
	s_mul_f32 s13, s12, s13
.LBB47_137:
	s_cbranch_execz .LBB47_139
	s_branch .LBB47_140
.LBB47_138:
                                        ; implicit-def: $sgpr13
.LBB47_139:
	v_div_scale_f32 v2, null, s5, s5, s12
	v_div_scale_f32 v8, vcc_lo, s12, s5, s12
	s_delay_alu instid0(VALU_DEP_2)
	v_rcp_f32_e32 v4, v2
	v_nop
	v_xor_b32_e32 v2, 0x80000000, v2
	s_delay_alu instid0(TRANS32_DEP_1) | instid1(VALU_DEP_1)
	v_fma_f32 v7, v2, v4, 1.0
	s_delay_alu instid0(VALU_DEP_1) | instskip(NEXT) | instid1(VALU_DEP_1)
	v_fmac_f32_e32 v4, v7, v4
	v_mul_f32_e32 v7, v8, v4
	s_delay_alu instid0(VALU_DEP_1) | instskip(NEXT) | instid1(VALU_DEP_1)
	v_fma_f32 v9, v2, v7, v8
	v_fmac_f32_e32 v7, v9, v4
	s_delay_alu instid0(VALU_DEP_1) | instskip(NEXT) | instid1(VALU_DEP_1)
	v_fmac_f32_e32 v8, v2, v7
	v_div_fmas_f32 v2, v8, v4, v7
	s_delay_alu instid0(VALU_DEP_1) | instskip(NEXT) | instid1(VALU_DEP_1)
	v_div_fixup_f32 v2, v2, s5, s12
	v_readfirstlane_b32 s12, v2
	s_fmaak_f32 s12, s12, s12, 0x3f800000
	s_delay_alu instid0(SALU_CYCLE_3) | instskip(SKIP_1) | instid1(SALU_CYCLE_2)
	s_mul_f32 s13, s12, 0x4f800000
	s_cmp_lt_f32 s12, 0xf800000
	s_cselect_b32 s13, s13, s12
	s_delay_alu instid0(SALU_CYCLE_1) | instskip(SKIP_1) | instid1(TRANS32_DEP_1)
	v_s_sqrt_f32 s14, s13
	s_mov_b32 s16, s13
	s_add_co_i32 s15, s14, -1
	s_delay_alu instid0(SALU_CYCLE_1) | instskip(NEXT) | instid1(SALU_CYCLE_1)
	s_xor_b32 s17, s15, 0x80000000
	s_fmac_f32 s16, s17, s14
	s_mov_b32 s17, s13
	s_delay_alu instid0(SALU_CYCLE_2) | instskip(SKIP_2) | instid1(SALU_CYCLE_1)
	s_cmp_le_f32 s16, 0
	s_cselect_b32 s15, s15, s14
	s_add_co_i32 s16, s14, 1
	s_xor_b32 s18, s16, 0x80000000
	s_delay_alu instid0(SALU_CYCLE_1) | instskip(NEXT) | instid1(SALU_CYCLE_3)
	s_fmac_f32 s17, s18, s14
	s_cmp_gt_f32 s17, 0
	s_cselect_b32 s14, s16, s15
	s_cmp_lt_f32 s12, 0xf800000
	s_mul_f32 s12, s14, 0x37800000
	v_cmp_class_f32_e64 s15, s13, 0x260
	s_delay_alu instid0(SALU_CYCLE_2) | instskip(SKIP_2) | instid1(SALU_CYCLE_1)
	s_cselect_b32 s12, s12, s14
	s_and_b32 s14, s15, exec_lo
	s_cselect_b32 s12, s13, s12
	s_mul_f32 s13, s5, s12
.LBB47_140:
	s_delay_alu instid0(SALU_CYCLE_3) | instskip(SKIP_2) | instid1(SALU_CYCLE_1)
	s_mul_f32 s5, s13, 0x4f800000
	s_cmp_lt_f32 s13, 0xf800000
	v_mov_b32_e32 v9, 0
	s_cselect_b32 s5, s5, s13
	s_delay_alu instid0(SALU_CYCLE_1) | instskip(SKIP_1) | instid1(TRANS32_DEP_1)
	v_s_sqrt_f32 s12, s5
	s_mov_b32 s15, s5
	s_add_co_i32 s14, s12, -1
	s_delay_alu instid0(SALU_CYCLE_1) | instskip(NEXT) | instid1(SALU_CYCLE_1)
	s_xor_b32 s16, s14, 0x80000000
	s_fmac_f32 s15, s16, s12
	s_mov_b32 s16, s5
	s_delay_alu instid0(SALU_CYCLE_2) | instskip(SKIP_2) | instid1(SALU_CYCLE_1)
	s_cmp_le_f32 s15, 0
	s_cselect_b32 s14, s14, s12
	s_add_co_i32 s15, s12, 1
	s_xor_b32 s17, s15, 0x80000000
	s_delay_alu instid0(SALU_CYCLE_1) | instskip(SKIP_1) | instid1(SALU_CYCLE_2)
	s_fmac_f32 s16, s17, s12
	v_cmp_class_f32_e64 s12, s5, 0x260
	s_cmp_gt_f32 s16, 0
	s_cselect_b32 s14, s15, s14
	s_cmp_lt_f32 s13, 0xf800000
	s_mul_f32 s13, s14, 0x37800000
	s_delay_alu instid0(SALU_CYCLE_3) | instskip(SKIP_2) | instid1(SALU_CYCLE_1)
	s_cselect_b32 s13, s13, s14
	s_and_b32 s12, s12, exec_lo
	s_cselect_b32 s5, s5, s13
	v_mov_b32_e32 v8, s5
	ds_store_b64 v9, v[8:9] offset:1392
.LBB47_141:
	s_or_b32 exec_lo, exec_lo, s1
	v_mov_b32_e32 v2, 0
	s_wait_dscnt 0x0
	ds_load_b64 v[8:9], v2 offset:1392
	s_wait_dscnt 0x0
	v_readfirstlane_b32 s1, v8
	v_readfirstlane_b32 s5, v9
	s_cmp_neq_f32 s1, 0
	s_cselect_b32 s12, -1, 0
	s_cmp_neq_f32 s5, 0
	s_cselect_b32 s13, -1, 0
	s_delay_alu instid0(SALU_CYCLE_1) | instskip(NEXT) | instid1(SALU_CYCLE_1)
	s_or_b32 s12, s12, s13
	s_nor_b32 s13, s12, s0
	s_and_b32 s12, s12, exec_lo
	s_cselect_b32 s1, s1, 1.0
	s_cselect_b32 s5, s5, 0
	s_delay_alu instid0(SALU_CYCLE_1)
	v_dual_mov_b32 v2, s1 :: v_dual_mov_b32 v4, s5
	s_and_saveexec_b32 s1, s13
	s_cbranch_execz .LBB47_145
; %bb.142:
	v_mbcnt_lo_u32_b32 v2, exec_lo, 0
	s_mov_b32 s5, exec_lo
	s_delay_alu instid0(VALU_DEP_1)
	v_cmpx_eq_u32_e32 0, v2
	s_cbranch_execz .LBB47_144
; %bb.143:
	v_dual_mov_b32 v2, 0 :: v_dual_mov_b32 v4, s4
	global_atomic_min_i32 v2, v4, s[10:11] scope:SCOPE_DEV
.LBB47_144:
	s_wait_xcnt 0x0
	s_or_b32 exec_lo, exec_lo, s5
	v_dual_mov_b32 v4, 0 :: v_dual_mov_b32 v2, 1.0
.LBB47_145:
	s_or_b32 exec_lo, exec_lo, s1
	s_delay_alu instid0(SALU_CYCLE_1)
	s_mov_b32 s1, exec_lo
	v_cmpx_lt_u32_e32 3, v11
	s_cbranch_execz .LBB47_147
; %bb.146:
	v_mul_f32_e32 v7, v4, v4
	ds_load_b64 v[8:9], v5 offset:24
	ds_load_b64 v[16:17], v13 offset:24
	v_fmac_f32_e32 v7, v2, v2
	s_delay_alu instid0(VALU_DEP_1) | instskip(SKIP_1) | instid1(VALU_DEP_2)
	v_div_scale_f32 v15, null, v7, v7, 1.0
	v_div_scale_f32 v20, vcc_lo, 1.0, v7, 1.0
	v_rcp_f32_e32 v18, v15
	s_wait_dscnt 0x0
	v_pk_add_f32 v[8:9], v[8:9], v[16:17] op_sel:[1,1] op_sel_hi:[0,0] neg_lo:[0,1] neg_hi:[0,1]
	s_delay_alu instid0(TRANS32_DEP_1) | instskip(NEXT) | instid1(VALU_DEP_2)
	v_fma_f32 v19, -v15, v18, 1.0
	v_pk_mul_f32 v[16:17], v[4:5], v[8:9] op_sel:[0,1] op_sel_hi:[0,0] neg_lo:[0,1]
	s_delay_alu instid0(VALU_DEP_2) | instskip(NEXT) | instid1(VALU_DEP_2)
	v_fmac_f32_e32 v18, v19, v18
	v_pk_fma_f32 v[8:9], v[8:9], v[2:3], v[16:17] op_sel_hi:[1,0,1]
	s_delay_alu instid0(VALU_DEP_2) | instskip(NEXT) | instid1(VALU_DEP_1)
	v_mul_f32_e32 v19, v20, v18
	v_fma_f32 v21, -v15, v19, v20
	s_delay_alu instid0(VALU_DEP_1) | instskip(NEXT) | instid1(VALU_DEP_1)
	v_fmac_f32_e32 v19, v21, v18
	v_fma_f32 v15, -v15, v19, v20
	s_delay_alu instid0(VALU_DEP_1) | instskip(NEXT) | instid1(VALU_DEP_1)
	v_div_fmas_f32 v4, v15, v18, v19
	v_div_fixup_f32 v2, v4, v7, 1.0
	s_delay_alu instid0(VALU_DEP_1) | instskip(NEXT) | instid1(VALU_DEP_1)
	v_pk_mul_f32 v[8:9], v[2:3], v[8:9] op_sel_hi:[0,1]
	v_dual_mov_b32 v16, v9 :: v_dual_mov_b32 v17, v8
	ds_store_b64 v5, v[16:17] offset:24
	s_wait_storecnt_dscnt 0x0
	ds_load_b64 v[16:17], v6 offset:24
	ds_load_b64 v[18:19], v12
	s_wait_dscnt 0x0
	v_pk_fma_f32 v[18:19], v[8:9], v[16:17], v[18:19] op_sel:[1,0,0] op_sel_hi:[0,0,1]
	s_delay_alu instid0(VALU_DEP_1)
	v_pk_fma_f32 v[8:9], v[8:9], v[16:17], v[18:19] op_sel:[0,1,0] neg_hi:[0,1,0]
	ds_store_b64 v12, v[8:9]
.LBB47_147:
	s_or_b32 exec_lo, exec_lo, s1
	s_delay_alu instid0(SALU_CYCLE_1)
	s_mov_b32 s1, exec_lo
	s_wait_storecnt_dscnt 0x0
	v_cmpx_eq_u32_e32 4, v11
	s_cbranch_execz .LBB47_155
; %bb.148:
	v_add_nc_u32_e64 v2, 0x400, 0
	ds_load_2addr_b64 v[16:19], v2 offset0:56 offset1:128
	s_wait_dscnt 0x0
	v_readfirstlane_b32 s5, v18
	v_readfirstlane_b32 s12, v16
	;; [unrolled: 1-line block ×3, first 2 shown]
	s_sub_f32 s5, s12, s5
	v_readfirstlane_b32 s12, v19
	s_delay_alu instid0(SALU_CYCLE_2) | instskip(SKIP_4) | instid1(SALU_CYCLE_1)
	s_xor_b32 s15, s5, 0x80000000
	s_cmp_lt_f32 s5, 0
	s_sub_f32 s14, s13, s12
	s_mov_b32 s13, 0
	s_cselect_b32 s5, s15, s5
	s_xor_b32 s12, s14, 0x80000000
	s_cmp_lt_f32 s14, 0
	s_cselect_b32 s12, s12, s14
	s_delay_alu instid0(SALU_CYCLE_1)
	s_cmp_gt_f32 s5, s12
	s_cbranch_scc1 .LBB47_152
; %bb.149:
	s_cmp_eq_f32 s14, 0
	s_cbranch_scc1 .LBB47_151
; %bb.150:
	v_div_scale_f32 v2, null, s12, s12, s5
	v_div_scale_f32 v8, vcc_lo, s5, s12, s5
	s_delay_alu instid0(VALU_DEP_2)
	v_rcp_f32_e32 v4, v2
	v_nop
	v_xor_b32_e32 v2, 0x80000000, v2
	s_delay_alu instid0(TRANS32_DEP_1) | instid1(VALU_DEP_1)
	v_fma_f32 v7, v2, v4, 1.0
	s_delay_alu instid0(VALU_DEP_1) | instskip(NEXT) | instid1(VALU_DEP_1)
	v_fmac_f32_e32 v4, v7, v4
	v_mul_f32_e32 v7, v8, v4
	s_delay_alu instid0(VALU_DEP_1) | instskip(NEXT) | instid1(VALU_DEP_1)
	v_fma_f32 v9, v2, v7, v8
	v_fmac_f32_e32 v7, v9, v4
	s_delay_alu instid0(VALU_DEP_1) | instskip(NEXT) | instid1(VALU_DEP_1)
	v_fmac_f32_e32 v8, v2, v7
	v_div_fmas_f32 v2, v8, v4, v7
	s_delay_alu instid0(VALU_DEP_1) | instskip(NEXT) | instid1(VALU_DEP_1)
	v_div_fixup_f32 v2, v2, s12, s5
	v_readfirstlane_b32 s13, v2
	s_fmaak_f32 s13, s13, s13, 0x3f800000
	s_delay_alu instid0(SALU_CYCLE_3) | instskip(SKIP_1) | instid1(SALU_CYCLE_2)
	s_mul_f32 s14, s13, 0x4f800000
	s_cmp_lt_f32 s13, 0xf800000
	s_cselect_b32 s14, s14, s13
	s_delay_alu instid0(SALU_CYCLE_1) | instskip(SKIP_1) | instid1(TRANS32_DEP_1)
	v_s_sqrt_f32 s15, s14
	s_mov_b32 s17, s14
	s_add_co_i32 s16, s15, -1
	s_delay_alu instid0(SALU_CYCLE_1) | instskip(NEXT) | instid1(SALU_CYCLE_1)
	s_xor_b32 s18, s16, 0x80000000
	s_fmac_f32 s17, s18, s15
	s_mov_b32 s18, s14
	s_delay_alu instid0(SALU_CYCLE_2) | instskip(SKIP_2) | instid1(SALU_CYCLE_1)
	s_cmp_le_f32 s17, 0
	s_cselect_b32 s16, s16, s15
	s_add_co_i32 s17, s15, 1
	s_xor_b32 s19, s17, 0x80000000
	s_delay_alu instid0(SALU_CYCLE_1) | instskip(NEXT) | instid1(SALU_CYCLE_3)
	s_fmac_f32 s18, s19, s15
	s_cmp_gt_f32 s18, 0
	s_cselect_b32 s15, s17, s16
	s_cmp_lt_f32 s13, 0xf800000
	s_mul_f32 s13, s15, 0x37800000
	v_cmp_class_f32_e64 s16, s14, 0x260
	s_delay_alu instid0(SALU_CYCLE_2) | instskip(SKIP_2) | instid1(SALU_CYCLE_1)
	s_cselect_b32 s13, s13, s15
	s_and_b32 s15, s16, exec_lo
	s_cselect_b32 s13, s14, s13
	s_mul_f32 s13, s12, s13
.LBB47_151:
	s_cbranch_execz .LBB47_153
	s_branch .LBB47_154
.LBB47_152:
                                        ; implicit-def: $sgpr13
.LBB47_153:
	v_div_scale_f32 v2, null, s5, s5, s12
	v_div_scale_f32 v8, vcc_lo, s12, s5, s12
	s_delay_alu instid0(VALU_DEP_2)
	v_rcp_f32_e32 v4, v2
	v_nop
	v_xor_b32_e32 v2, 0x80000000, v2
	s_delay_alu instid0(TRANS32_DEP_1) | instid1(VALU_DEP_1)
	v_fma_f32 v7, v2, v4, 1.0
	s_delay_alu instid0(VALU_DEP_1) | instskip(NEXT) | instid1(VALU_DEP_1)
	v_fmac_f32_e32 v4, v7, v4
	v_mul_f32_e32 v7, v8, v4
	s_delay_alu instid0(VALU_DEP_1) | instskip(NEXT) | instid1(VALU_DEP_1)
	v_fma_f32 v9, v2, v7, v8
	v_fmac_f32_e32 v7, v9, v4
	s_delay_alu instid0(VALU_DEP_1) | instskip(NEXT) | instid1(VALU_DEP_1)
	v_fmac_f32_e32 v8, v2, v7
	v_div_fmas_f32 v2, v8, v4, v7
	s_delay_alu instid0(VALU_DEP_1) | instskip(NEXT) | instid1(VALU_DEP_1)
	v_div_fixup_f32 v2, v2, s5, s12
	v_readfirstlane_b32 s12, v2
	s_fmaak_f32 s12, s12, s12, 0x3f800000
	s_delay_alu instid0(SALU_CYCLE_3) | instskip(SKIP_1) | instid1(SALU_CYCLE_2)
	s_mul_f32 s13, s12, 0x4f800000
	s_cmp_lt_f32 s12, 0xf800000
	s_cselect_b32 s13, s13, s12
	s_delay_alu instid0(SALU_CYCLE_1) | instskip(SKIP_1) | instid1(TRANS32_DEP_1)
	v_s_sqrt_f32 s14, s13
	s_mov_b32 s16, s13
	s_add_co_i32 s15, s14, -1
	s_delay_alu instid0(SALU_CYCLE_1) | instskip(NEXT) | instid1(SALU_CYCLE_1)
	s_xor_b32 s17, s15, 0x80000000
	s_fmac_f32 s16, s17, s14
	s_mov_b32 s17, s13
	s_delay_alu instid0(SALU_CYCLE_2) | instskip(SKIP_2) | instid1(SALU_CYCLE_1)
	s_cmp_le_f32 s16, 0
	s_cselect_b32 s15, s15, s14
	s_add_co_i32 s16, s14, 1
	s_xor_b32 s18, s16, 0x80000000
	s_delay_alu instid0(SALU_CYCLE_1) | instskip(NEXT) | instid1(SALU_CYCLE_3)
	s_fmac_f32 s17, s18, s14
	s_cmp_gt_f32 s17, 0
	s_cselect_b32 s14, s16, s15
	s_cmp_lt_f32 s12, 0xf800000
	s_mul_f32 s12, s14, 0x37800000
	v_cmp_class_f32_e64 s15, s13, 0x260
	s_delay_alu instid0(SALU_CYCLE_2) | instskip(SKIP_2) | instid1(SALU_CYCLE_1)
	s_cselect_b32 s12, s12, s14
	s_and_b32 s14, s15, exec_lo
	s_cselect_b32 s12, s13, s12
	s_mul_f32 s13, s5, s12
.LBB47_154:
	s_delay_alu instid0(SALU_CYCLE_3) | instskip(SKIP_2) | instid1(SALU_CYCLE_1)
	s_mul_f32 s5, s13, 0x4f800000
	s_cmp_lt_f32 s13, 0xf800000
	v_mov_b32_e32 v9, 0
	s_cselect_b32 s5, s5, s13
	s_delay_alu instid0(SALU_CYCLE_1) | instskip(SKIP_1) | instid1(TRANS32_DEP_1)
	v_s_sqrt_f32 s12, s5
	s_mov_b32 s15, s5
	s_add_co_i32 s14, s12, -1
	s_delay_alu instid0(SALU_CYCLE_1) | instskip(NEXT) | instid1(SALU_CYCLE_1)
	s_xor_b32 s16, s14, 0x80000000
	s_fmac_f32 s15, s16, s12
	s_mov_b32 s16, s5
	s_delay_alu instid0(SALU_CYCLE_2) | instskip(SKIP_2) | instid1(SALU_CYCLE_1)
	s_cmp_le_f32 s15, 0
	s_cselect_b32 s14, s14, s12
	s_add_co_i32 s15, s12, 1
	s_xor_b32 s17, s15, 0x80000000
	s_delay_alu instid0(SALU_CYCLE_1) | instskip(SKIP_1) | instid1(SALU_CYCLE_2)
	s_fmac_f32 s16, s17, s12
	v_cmp_class_f32_e64 s12, s5, 0x260
	s_cmp_gt_f32 s16, 0
	s_cselect_b32 s14, s15, s14
	s_cmp_lt_f32 s13, 0xf800000
	s_mul_f32 s13, s14, 0x37800000
	s_delay_alu instid0(SALU_CYCLE_3) | instskip(SKIP_2) | instid1(SALU_CYCLE_1)
	s_cselect_b32 s13, s13, s14
	s_and_b32 s12, s12, exec_lo
	s_cselect_b32 s5, s5, s13
	v_mov_b32_e32 v8, s5
	ds_store_b64 v9, v[8:9] offset:1472
.LBB47_155:
	s_or_b32 exec_lo, exec_lo, s1
	v_mov_b32_e32 v2, 0
	s_wait_dscnt 0x0
	ds_load_b64 v[8:9], v2 offset:1472
	s_wait_dscnt 0x0
	v_readfirstlane_b32 s1, v8
	v_readfirstlane_b32 s5, v9
	s_cmp_neq_f32 s1, 0
	s_cselect_b32 s12, -1, 0
	s_cmp_neq_f32 s5, 0
	s_cselect_b32 s13, -1, 0
	s_delay_alu instid0(SALU_CYCLE_1) | instskip(NEXT) | instid1(SALU_CYCLE_1)
	s_or_b32 s12, s12, s13
	s_nor_b32 s13, s12, s0
	s_and_b32 s12, s12, exec_lo
	s_cselect_b32 s1, s1, 1.0
	s_cselect_b32 s5, s5, 0
	s_delay_alu instid0(SALU_CYCLE_1)
	v_dual_mov_b32 v2, s1 :: v_dual_mov_b32 v4, s5
	s_and_saveexec_b32 s1, s13
	s_cbranch_execz .LBB47_159
; %bb.156:
	v_mbcnt_lo_u32_b32 v2, exec_lo, 0
	s_mov_b32 s5, exec_lo
	s_delay_alu instid0(VALU_DEP_1)
	v_cmpx_eq_u32_e32 0, v2
	s_cbranch_execz .LBB47_158
; %bb.157:
	v_dual_mov_b32 v2, 0 :: v_dual_mov_b32 v4, s4
	global_atomic_min_i32 v2, v4, s[10:11] scope:SCOPE_DEV
.LBB47_158:
	s_wait_xcnt 0x0
	s_or_b32 exec_lo, exec_lo, s5
	v_dual_mov_b32 v4, 0 :: v_dual_mov_b32 v2, 1.0
.LBB47_159:
	s_or_b32 exec_lo, exec_lo, s1
	s_delay_alu instid0(SALU_CYCLE_1)
	s_mov_b32 s1, exec_lo
	v_cmpx_lt_u32_e32 4, v11
	s_cbranch_execz .LBB47_161
; %bb.160:
	v_mul_f32_e32 v7, v4, v4
	ds_load_b64 v[8:9], v5 offset:32
	ds_load_b64 v[16:17], v13 offset:32
	v_fmac_f32_e32 v7, v2, v2
	s_delay_alu instid0(VALU_DEP_1) | instskip(SKIP_1) | instid1(VALU_DEP_2)
	v_div_scale_f32 v15, null, v7, v7, 1.0
	v_div_scale_f32 v20, vcc_lo, 1.0, v7, 1.0
	v_rcp_f32_e32 v18, v15
	s_wait_dscnt 0x0
	v_pk_add_f32 v[8:9], v[8:9], v[16:17] op_sel:[1,1] op_sel_hi:[0,0] neg_lo:[0,1] neg_hi:[0,1]
	s_delay_alu instid0(TRANS32_DEP_1) | instskip(NEXT) | instid1(VALU_DEP_2)
	v_fma_f32 v19, -v15, v18, 1.0
	v_pk_mul_f32 v[16:17], v[4:5], v[8:9] op_sel:[0,1] op_sel_hi:[0,0] neg_lo:[0,1]
	s_delay_alu instid0(VALU_DEP_2) | instskip(NEXT) | instid1(VALU_DEP_2)
	v_fmac_f32_e32 v18, v19, v18
	v_pk_fma_f32 v[8:9], v[8:9], v[2:3], v[16:17] op_sel_hi:[1,0,1]
	s_delay_alu instid0(VALU_DEP_2) | instskip(NEXT) | instid1(VALU_DEP_1)
	v_mul_f32_e32 v19, v20, v18
	v_fma_f32 v21, -v15, v19, v20
	s_delay_alu instid0(VALU_DEP_1) | instskip(NEXT) | instid1(VALU_DEP_1)
	v_fmac_f32_e32 v19, v21, v18
	v_fma_f32 v15, -v15, v19, v20
	s_delay_alu instid0(VALU_DEP_1) | instskip(NEXT) | instid1(VALU_DEP_1)
	v_div_fmas_f32 v4, v15, v18, v19
	v_div_fixup_f32 v2, v4, v7, 1.0
	s_delay_alu instid0(VALU_DEP_1) | instskip(NEXT) | instid1(VALU_DEP_1)
	v_pk_mul_f32 v[8:9], v[2:3], v[8:9] op_sel_hi:[0,1]
	v_dual_mov_b32 v16, v9 :: v_dual_mov_b32 v17, v8
	ds_store_b64 v5, v[16:17] offset:32
	s_wait_storecnt_dscnt 0x0
	ds_load_b64 v[16:17], v6 offset:32
	ds_load_b64 v[18:19], v12
	s_wait_dscnt 0x0
	v_pk_fma_f32 v[18:19], v[8:9], v[16:17], v[18:19] op_sel:[1,0,0] op_sel_hi:[0,0,1]
	s_delay_alu instid0(VALU_DEP_1)
	v_pk_fma_f32 v[8:9], v[8:9], v[16:17], v[18:19] op_sel:[0,1,0] neg_hi:[0,1,0]
	ds_store_b64 v12, v[8:9]
.LBB47_161:
	s_or_b32 exec_lo, exec_lo, s1
	s_delay_alu instid0(SALU_CYCLE_1)
	s_mov_b32 s1, exec_lo
	s_wait_storecnt_dscnt 0x0
	v_cmpx_eq_u32_e32 5, v11
	s_cbranch_execz .LBB47_169
; %bb.162:
	v_add_nc_u32_e64 v2, 0x400, 0
	ds_load_2addr_b64 v[16:19], v2 offset0:66 offset1:138
	s_wait_dscnt 0x0
	v_readfirstlane_b32 s5, v18
	v_readfirstlane_b32 s12, v16
	;; [unrolled: 1-line block ×3, first 2 shown]
	s_sub_f32 s5, s12, s5
	v_readfirstlane_b32 s12, v19
	s_delay_alu instid0(SALU_CYCLE_2) | instskip(SKIP_4) | instid1(SALU_CYCLE_1)
	s_xor_b32 s15, s5, 0x80000000
	s_cmp_lt_f32 s5, 0
	s_sub_f32 s14, s13, s12
	s_mov_b32 s13, 0
	s_cselect_b32 s5, s15, s5
	s_xor_b32 s12, s14, 0x80000000
	s_cmp_lt_f32 s14, 0
	s_cselect_b32 s12, s12, s14
	s_delay_alu instid0(SALU_CYCLE_1)
	s_cmp_gt_f32 s5, s12
	s_cbranch_scc1 .LBB47_166
; %bb.163:
	s_cmp_eq_f32 s14, 0
	s_cbranch_scc1 .LBB47_165
; %bb.164:
	v_div_scale_f32 v2, null, s12, s12, s5
	v_div_scale_f32 v8, vcc_lo, s5, s12, s5
	s_delay_alu instid0(VALU_DEP_2)
	v_rcp_f32_e32 v4, v2
	v_nop
	v_xor_b32_e32 v2, 0x80000000, v2
	s_delay_alu instid0(TRANS32_DEP_1) | instid1(VALU_DEP_1)
	v_fma_f32 v7, v2, v4, 1.0
	s_delay_alu instid0(VALU_DEP_1) | instskip(NEXT) | instid1(VALU_DEP_1)
	v_fmac_f32_e32 v4, v7, v4
	v_mul_f32_e32 v7, v8, v4
	s_delay_alu instid0(VALU_DEP_1) | instskip(NEXT) | instid1(VALU_DEP_1)
	v_fma_f32 v9, v2, v7, v8
	v_fmac_f32_e32 v7, v9, v4
	s_delay_alu instid0(VALU_DEP_1) | instskip(NEXT) | instid1(VALU_DEP_1)
	v_fmac_f32_e32 v8, v2, v7
	v_div_fmas_f32 v2, v8, v4, v7
	s_delay_alu instid0(VALU_DEP_1) | instskip(NEXT) | instid1(VALU_DEP_1)
	v_div_fixup_f32 v2, v2, s12, s5
	v_readfirstlane_b32 s13, v2
	s_fmaak_f32 s13, s13, s13, 0x3f800000
	s_delay_alu instid0(SALU_CYCLE_3) | instskip(SKIP_1) | instid1(SALU_CYCLE_2)
	s_mul_f32 s14, s13, 0x4f800000
	s_cmp_lt_f32 s13, 0xf800000
	s_cselect_b32 s14, s14, s13
	s_delay_alu instid0(SALU_CYCLE_1) | instskip(SKIP_1) | instid1(TRANS32_DEP_1)
	v_s_sqrt_f32 s15, s14
	s_mov_b32 s17, s14
	s_add_co_i32 s16, s15, -1
	s_delay_alu instid0(SALU_CYCLE_1) | instskip(NEXT) | instid1(SALU_CYCLE_1)
	s_xor_b32 s18, s16, 0x80000000
	s_fmac_f32 s17, s18, s15
	s_mov_b32 s18, s14
	s_delay_alu instid0(SALU_CYCLE_2) | instskip(SKIP_2) | instid1(SALU_CYCLE_1)
	s_cmp_le_f32 s17, 0
	s_cselect_b32 s16, s16, s15
	s_add_co_i32 s17, s15, 1
	s_xor_b32 s19, s17, 0x80000000
	s_delay_alu instid0(SALU_CYCLE_1) | instskip(NEXT) | instid1(SALU_CYCLE_3)
	s_fmac_f32 s18, s19, s15
	s_cmp_gt_f32 s18, 0
	s_cselect_b32 s15, s17, s16
	s_cmp_lt_f32 s13, 0xf800000
	s_mul_f32 s13, s15, 0x37800000
	v_cmp_class_f32_e64 s16, s14, 0x260
	s_delay_alu instid0(SALU_CYCLE_2) | instskip(SKIP_2) | instid1(SALU_CYCLE_1)
	s_cselect_b32 s13, s13, s15
	s_and_b32 s15, s16, exec_lo
	s_cselect_b32 s13, s14, s13
	s_mul_f32 s13, s12, s13
.LBB47_165:
	s_cbranch_execz .LBB47_167
	s_branch .LBB47_168
.LBB47_166:
                                        ; implicit-def: $sgpr13
.LBB47_167:
	v_div_scale_f32 v2, null, s5, s5, s12
	v_div_scale_f32 v8, vcc_lo, s12, s5, s12
	s_delay_alu instid0(VALU_DEP_2)
	v_rcp_f32_e32 v4, v2
	v_nop
	v_xor_b32_e32 v2, 0x80000000, v2
	s_delay_alu instid0(TRANS32_DEP_1) | instid1(VALU_DEP_1)
	v_fma_f32 v7, v2, v4, 1.0
	s_delay_alu instid0(VALU_DEP_1) | instskip(NEXT) | instid1(VALU_DEP_1)
	v_fmac_f32_e32 v4, v7, v4
	v_mul_f32_e32 v7, v8, v4
	s_delay_alu instid0(VALU_DEP_1) | instskip(NEXT) | instid1(VALU_DEP_1)
	v_fma_f32 v9, v2, v7, v8
	v_fmac_f32_e32 v7, v9, v4
	s_delay_alu instid0(VALU_DEP_1) | instskip(NEXT) | instid1(VALU_DEP_1)
	v_fmac_f32_e32 v8, v2, v7
	v_div_fmas_f32 v2, v8, v4, v7
	s_delay_alu instid0(VALU_DEP_1) | instskip(NEXT) | instid1(VALU_DEP_1)
	v_div_fixup_f32 v2, v2, s5, s12
	v_readfirstlane_b32 s12, v2
	s_fmaak_f32 s12, s12, s12, 0x3f800000
	s_delay_alu instid0(SALU_CYCLE_3) | instskip(SKIP_1) | instid1(SALU_CYCLE_2)
	s_mul_f32 s13, s12, 0x4f800000
	s_cmp_lt_f32 s12, 0xf800000
	s_cselect_b32 s13, s13, s12
	s_delay_alu instid0(SALU_CYCLE_1) | instskip(SKIP_1) | instid1(TRANS32_DEP_1)
	v_s_sqrt_f32 s14, s13
	s_mov_b32 s16, s13
	s_add_co_i32 s15, s14, -1
	s_delay_alu instid0(SALU_CYCLE_1) | instskip(NEXT) | instid1(SALU_CYCLE_1)
	s_xor_b32 s17, s15, 0x80000000
	s_fmac_f32 s16, s17, s14
	s_mov_b32 s17, s13
	s_delay_alu instid0(SALU_CYCLE_2) | instskip(SKIP_2) | instid1(SALU_CYCLE_1)
	s_cmp_le_f32 s16, 0
	s_cselect_b32 s15, s15, s14
	s_add_co_i32 s16, s14, 1
	s_xor_b32 s18, s16, 0x80000000
	s_delay_alu instid0(SALU_CYCLE_1) | instskip(NEXT) | instid1(SALU_CYCLE_3)
	s_fmac_f32 s17, s18, s14
	s_cmp_gt_f32 s17, 0
	s_cselect_b32 s14, s16, s15
	s_cmp_lt_f32 s12, 0xf800000
	s_mul_f32 s12, s14, 0x37800000
	v_cmp_class_f32_e64 s15, s13, 0x260
	s_delay_alu instid0(SALU_CYCLE_2) | instskip(SKIP_2) | instid1(SALU_CYCLE_1)
	s_cselect_b32 s12, s12, s14
	s_and_b32 s14, s15, exec_lo
	s_cselect_b32 s12, s13, s12
	s_mul_f32 s13, s5, s12
.LBB47_168:
	s_delay_alu instid0(SALU_CYCLE_3) | instskip(SKIP_2) | instid1(SALU_CYCLE_1)
	s_mul_f32 s5, s13, 0x4f800000
	s_cmp_lt_f32 s13, 0xf800000
	v_mov_b32_e32 v9, 0
	s_cselect_b32 s5, s5, s13
	s_delay_alu instid0(SALU_CYCLE_1) | instskip(SKIP_1) | instid1(TRANS32_DEP_1)
	v_s_sqrt_f32 s12, s5
	s_mov_b32 s15, s5
	s_add_co_i32 s14, s12, -1
	s_delay_alu instid0(SALU_CYCLE_1) | instskip(NEXT) | instid1(SALU_CYCLE_1)
	s_xor_b32 s16, s14, 0x80000000
	s_fmac_f32 s15, s16, s12
	s_mov_b32 s16, s5
	s_delay_alu instid0(SALU_CYCLE_2) | instskip(SKIP_2) | instid1(SALU_CYCLE_1)
	s_cmp_le_f32 s15, 0
	s_cselect_b32 s14, s14, s12
	s_add_co_i32 s15, s12, 1
	s_xor_b32 s17, s15, 0x80000000
	s_delay_alu instid0(SALU_CYCLE_1) | instskip(SKIP_1) | instid1(SALU_CYCLE_2)
	s_fmac_f32 s16, s17, s12
	v_cmp_class_f32_e64 s12, s5, 0x260
	s_cmp_gt_f32 s16, 0
	s_cselect_b32 s14, s15, s14
	s_cmp_lt_f32 s13, 0xf800000
	s_mul_f32 s13, s14, 0x37800000
	s_delay_alu instid0(SALU_CYCLE_3) | instskip(SKIP_2) | instid1(SALU_CYCLE_1)
	s_cselect_b32 s13, s13, s14
	s_and_b32 s12, s12, exec_lo
	s_cselect_b32 s5, s5, s13
	v_mov_b32_e32 v8, s5
	ds_store_b64 v9, v[8:9] offset:1552
.LBB47_169:
	s_or_b32 exec_lo, exec_lo, s1
	v_mov_b32_e32 v2, 0
	s_wait_dscnt 0x0
	ds_load_b64 v[8:9], v2 offset:1552
	s_wait_dscnt 0x0
	v_readfirstlane_b32 s1, v8
	v_readfirstlane_b32 s5, v9
	s_cmp_neq_f32 s1, 0
	s_cselect_b32 s12, -1, 0
	s_cmp_neq_f32 s5, 0
	s_cselect_b32 s13, -1, 0
	s_delay_alu instid0(SALU_CYCLE_1) | instskip(NEXT) | instid1(SALU_CYCLE_1)
	s_or_b32 s12, s12, s13
	s_nor_b32 s13, s12, s0
	s_and_b32 s12, s12, exec_lo
	s_cselect_b32 s1, s1, 1.0
	s_cselect_b32 s5, s5, 0
	s_delay_alu instid0(SALU_CYCLE_1)
	v_dual_mov_b32 v2, s1 :: v_dual_mov_b32 v4, s5
	s_and_saveexec_b32 s1, s13
	s_cbranch_execz .LBB47_173
; %bb.170:
	v_mbcnt_lo_u32_b32 v2, exec_lo, 0
	s_mov_b32 s5, exec_lo
	s_delay_alu instid0(VALU_DEP_1)
	v_cmpx_eq_u32_e32 0, v2
	s_cbranch_execz .LBB47_172
; %bb.171:
	v_dual_mov_b32 v2, 0 :: v_dual_mov_b32 v4, s4
	global_atomic_min_i32 v2, v4, s[10:11] scope:SCOPE_DEV
.LBB47_172:
	s_wait_xcnt 0x0
	s_or_b32 exec_lo, exec_lo, s5
	v_dual_mov_b32 v4, 0 :: v_dual_mov_b32 v2, 1.0
.LBB47_173:
	s_or_b32 exec_lo, exec_lo, s1
	s_delay_alu instid0(SALU_CYCLE_1)
	s_mov_b32 s1, exec_lo
	v_cmpx_lt_u32_e32 5, v11
	s_cbranch_execz .LBB47_175
; %bb.174:
	v_mul_f32_e32 v7, v4, v4
	ds_load_b64 v[8:9], v5 offset:40
	ds_load_b64 v[16:17], v13 offset:40
	v_fmac_f32_e32 v7, v2, v2
	s_delay_alu instid0(VALU_DEP_1) | instskip(SKIP_1) | instid1(VALU_DEP_2)
	v_div_scale_f32 v15, null, v7, v7, 1.0
	v_div_scale_f32 v20, vcc_lo, 1.0, v7, 1.0
	v_rcp_f32_e32 v18, v15
	s_wait_dscnt 0x0
	v_pk_add_f32 v[8:9], v[8:9], v[16:17] op_sel:[1,1] op_sel_hi:[0,0] neg_lo:[0,1] neg_hi:[0,1]
	s_delay_alu instid0(TRANS32_DEP_1) | instskip(NEXT) | instid1(VALU_DEP_2)
	v_fma_f32 v19, -v15, v18, 1.0
	v_pk_mul_f32 v[16:17], v[4:5], v[8:9] op_sel:[0,1] op_sel_hi:[0,0] neg_lo:[0,1]
	s_delay_alu instid0(VALU_DEP_2) | instskip(NEXT) | instid1(VALU_DEP_2)
	v_fmac_f32_e32 v18, v19, v18
	v_pk_fma_f32 v[8:9], v[8:9], v[2:3], v[16:17] op_sel_hi:[1,0,1]
	s_delay_alu instid0(VALU_DEP_2) | instskip(NEXT) | instid1(VALU_DEP_1)
	v_mul_f32_e32 v19, v20, v18
	v_fma_f32 v21, -v15, v19, v20
	s_delay_alu instid0(VALU_DEP_1) | instskip(NEXT) | instid1(VALU_DEP_1)
	v_fmac_f32_e32 v19, v21, v18
	v_fma_f32 v15, -v15, v19, v20
	s_delay_alu instid0(VALU_DEP_1) | instskip(NEXT) | instid1(VALU_DEP_1)
	v_div_fmas_f32 v4, v15, v18, v19
	v_div_fixup_f32 v2, v4, v7, 1.0
	s_delay_alu instid0(VALU_DEP_1) | instskip(NEXT) | instid1(VALU_DEP_1)
	v_pk_mul_f32 v[8:9], v[2:3], v[8:9] op_sel_hi:[0,1]
	v_dual_mov_b32 v16, v9 :: v_dual_mov_b32 v17, v8
	ds_store_b64 v5, v[16:17] offset:40
	s_wait_storecnt_dscnt 0x0
	ds_load_b64 v[16:17], v6 offset:40
	ds_load_b64 v[18:19], v12
	s_wait_dscnt 0x0
	v_pk_fma_f32 v[18:19], v[8:9], v[16:17], v[18:19] op_sel:[1,0,0] op_sel_hi:[0,0,1]
	s_delay_alu instid0(VALU_DEP_1)
	v_pk_fma_f32 v[8:9], v[8:9], v[16:17], v[18:19] op_sel:[0,1,0] neg_hi:[0,1,0]
	ds_store_b64 v12, v[8:9]
.LBB47_175:
	s_or_b32 exec_lo, exec_lo, s1
	s_delay_alu instid0(SALU_CYCLE_1)
	s_mov_b32 s1, exec_lo
	s_wait_storecnt_dscnt 0x0
	v_cmpx_eq_u32_e32 6, v11
	s_cbranch_execz .LBB47_183
; %bb.176:
	v_add_nc_u32_e64 v2, 0x400, 0
	ds_load_2addr_b64 v[16:19], v2 offset0:76 offset1:148
	s_wait_dscnt 0x0
	v_readfirstlane_b32 s5, v18
	v_readfirstlane_b32 s12, v16
	;; [unrolled: 1-line block ×3, first 2 shown]
	s_sub_f32 s5, s12, s5
	v_readfirstlane_b32 s12, v19
	s_delay_alu instid0(SALU_CYCLE_2) | instskip(SKIP_4) | instid1(SALU_CYCLE_1)
	s_xor_b32 s15, s5, 0x80000000
	s_cmp_lt_f32 s5, 0
	s_sub_f32 s14, s13, s12
	s_mov_b32 s13, 0
	s_cselect_b32 s5, s15, s5
	s_xor_b32 s12, s14, 0x80000000
	s_cmp_lt_f32 s14, 0
	s_cselect_b32 s12, s12, s14
	s_delay_alu instid0(SALU_CYCLE_1)
	s_cmp_gt_f32 s5, s12
	s_cbranch_scc1 .LBB47_180
; %bb.177:
	s_cmp_eq_f32 s14, 0
	s_cbranch_scc1 .LBB47_179
; %bb.178:
	v_div_scale_f32 v2, null, s12, s12, s5
	v_div_scale_f32 v8, vcc_lo, s5, s12, s5
	s_delay_alu instid0(VALU_DEP_2)
	v_rcp_f32_e32 v4, v2
	v_nop
	v_xor_b32_e32 v2, 0x80000000, v2
	s_delay_alu instid0(TRANS32_DEP_1) | instid1(VALU_DEP_1)
	v_fma_f32 v7, v2, v4, 1.0
	s_delay_alu instid0(VALU_DEP_1) | instskip(NEXT) | instid1(VALU_DEP_1)
	v_fmac_f32_e32 v4, v7, v4
	v_mul_f32_e32 v7, v8, v4
	s_delay_alu instid0(VALU_DEP_1) | instskip(NEXT) | instid1(VALU_DEP_1)
	v_fma_f32 v9, v2, v7, v8
	v_fmac_f32_e32 v7, v9, v4
	s_delay_alu instid0(VALU_DEP_1) | instskip(NEXT) | instid1(VALU_DEP_1)
	v_fmac_f32_e32 v8, v2, v7
	v_div_fmas_f32 v2, v8, v4, v7
	s_delay_alu instid0(VALU_DEP_1) | instskip(NEXT) | instid1(VALU_DEP_1)
	v_div_fixup_f32 v2, v2, s12, s5
	v_readfirstlane_b32 s13, v2
	s_fmaak_f32 s13, s13, s13, 0x3f800000
	s_delay_alu instid0(SALU_CYCLE_3) | instskip(SKIP_1) | instid1(SALU_CYCLE_2)
	s_mul_f32 s14, s13, 0x4f800000
	s_cmp_lt_f32 s13, 0xf800000
	s_cselect_b32 s14, s14, s13
	s_delay_alu instid0(SALU_CYCLE_1) | instskip(SKIP_1) | instid1(TRANS32_DEP_1)
	v_s_sqrt_f32 s15, s14
	s_mov_b32 s17, s14
	s_add_co_i32 s16, s15, -1
	s_delay_alu instid0(SALU_CYCLE_1) | instskip(NEXT) | instid1(SALU_CYCLE_1)
	s_xor_b32 s18, s16, 0x80000000
	s_fmac_f32 s17, s18, s15
	s_mov_b32 s18, s14
	s_delay_alu instid0(SALU_CYCLE_2) | instskip(SKIP_2) | instid1(SALU_CYCLE_1)
	s_cmp_le_f32 s17, 0
	s_cselect_b32 s16, s16, s15
	s_add_co_i32 s17, s15, 1
	s_xor_b32 s19, s17, 0x80000000
	s_delay_alu instid0(SALU_CYCLE_1) | instskip(NEXT) | instid1(SALU_CYCLE_3)
	s_fmac_f32 s18, s19, s15
	s_cmp_gt_f32 s18, 0
	s_cselect_b32 s15, s17, s16
	s_cmp_lt_f32 s13, 0xf800000
	s_mul_f32 s13, s15, 0x37800000
	v_cmp_class_f32_e64 s16, s14, 0x260
	s_delay_alu instid0(SALU_CYCLE_2) | instskip(SKIP_2) | instid1(SALU_CYCLE_1)
	s_cselect_b32 s13, s13, s15
	s_and_b32 s15, s16, exec_lo
	s_cselect_b32 s13, s14, s13
	s_mul_f32 s13, s12, s13
.LBB47_179:
	s_cbranch_execz .LBB47_181
	s_branch .LBB47_182
.LBB47_180:
                                        ; implicit-def: $sgpr13
.LBB47_181:
	v_div_scale_f32 v2, null, s5, s5, s12
	v_div_scale_f32 v8, vcc_lo, s12, s5, s12
	s_delay_alu instid0(VALU_DEP_2)
	v_rcp_f32_e32 v4, v2
	v_nop
	v_xor_b32_e32 v2, 0x80000000, v2
	s_delay_alu instid0(TRANS32_DEP_1) | instid1(VALU_DEP_1)
	v_fma_f32 v7, v2, v4, 1.0
	s_delay_alu instid0(VALU_DEP_1) | instskip(NEXT) | instid1(VALU_DEP_1)
	v_fmac_f32_e32 v4, v7, v4
	v_mul_f32_e32 v7, v8, v4
	s_delay_alu instid0(VALU_DEP_1) | instskip(NEXT) | instid1(VALU_DEP_1)
	v_fma_f32 v9, v2, v7, v8
	v_fmac_f32_e32 v7, v9, v4
	s_delay_alu instid0(VALU_DEP_1) | instskip(NEXT) | instid1(VALU_DEP_1)
	v_fmac_f32_e32 v8, v2, v7
	v_div_fmas_f32 v2, v8, v4, v7
	s_delay_alu instid0(VALU_DEP_1) | instskip(NEXT) | instid1(VALU_DEP_1)
	v_div_fixup_f32 v2, v2, s5, s12
	v_readfirstlane_b32 s12, v2
	s_fmaak_f32 s12, s12, s12, 0x3f800000
	s_delay_alu instid0(SALU_CYCLE_3) | instskip(SKIP_1) | instid1(SALU_CYCLE_2)
	s_mul_f32 s13, s12, 0x4f800000
	s_cmp_lt_f32 s12, 0xf800000
	s_cselect_b32 s13, s13, s12
	s_delay_alu instid0(SALU_CYCLE_1) | instskip(SKIP_1) | instid1(TRANS32_DEP_1)
	v_s_sqrt_f32 s14, s13
	s_mov_b32 s16, s13
	s_add_co_i32 s15, s14, -1
	s_delay_alu instid0(SALU_CYCLE_1) | instskip(NEXT) | instid1(SALU_CYCLE_1)
	s_xor_b32 s17, s15, 0x80000000
	s_fmac_f32 s16, s17, s14
	s_mov_b32 s17, s13
	s_delay_alu instid0(SALU_CYCLE_2) | instskip(SKIP_2) | instid1(SALU_CYCLE_1)
	s_cmp_le_f32 s16, 0
	s_cselect_b32 s15, s15, s14
	s_add_co_i32 s16, s14, 1
	s_xor_b32 s18, s16, 0x80000000
	s_delay_alu instid0(SALU_CYCLE_1) | instskip(NEXT) | instid1(SALU_CYCLE_3)
	s_fmac_f32 s17, s18, s14
	s_cmp_gt_f32 s17, 0
	s_cselect_b32 s14, s16, s15
	s_cmp_lt_f32 s12, 0xf800000
	s_mul_f32 s12, s14, 0x37800000
	v_cmp_class_f32_e64 s15, s13, 0x260
	s_delay_alu instid0(SALU_CYCLE_2) | instskip(SKIP_2) | instid1(SALU_CYCLE_1)
	s_cselect_b32 s12, s12, s14
	s_and_b32 s14, s15, exec_lo
	s_cselect_b32 s12, s13, s12
	s_mul_f32 s13, s5, s12
.LBB47_182:
	s_delay_alu instid0(SALU_CYCLE_3) | instskip(SKIP_2) | instid1(SALU_CYCLE_1)
	s_mul_f32 s5, s13, 0x4f800000
	s_cmp_lt_f32 s13, 0xf800000
	v_mov_b32_e32 v9, 0
	s_cselect_b32 s5, s5, s13
	s_delay_alu instid0(SALU_CYCLE_1) | instskip(SKIP_1) | instid1(TRANS32_DEP_1)
	v_s_sqrt_f32 s12, s5
	s_mov_b32 s15, s5
	s_add_co_i32 s14, s12, -1
	s_delay_alu instid0(SALU_CYCLE_1) | instskip(NEXT) | instid1(SALU_CYCLE_1)
	s_xor_b32 s16, s14, 0x80000000
	s_fmac_f32 s15, s16, s12
	s_mov_b32 s16, s5
	s_delay_alu instid0(SALU_CYCLE_2) | instskip(SKIP_2) | instid1(SALU_CYCLE_1)
	s_cmp_le_f32 s15, 0
	s_cselect_b32 s14, s14, s12
	s_add_co_i32 s15, s12, 1
	s_xor_b32 s17, s15, 0x80000000
	s_delay_alu instid0(SALU_CYCLE_1) | instskip(SKIP_1) | instid1(SALU_CYCLE_2)
	s_fmac_f32 s16, s17, s12
	v_cmp_class_f32_e64 s12, s5, 0x260
	s_cmp_gt_f32 s16, 0
	s_cselect_b32 s14, s15, s14
	s_cmp_lt_f32 s13, 0xf800000
	s_mul_f32 s13, s14, 0x37800000
	s_delay_alu instid0(SALU_CYCLE_3) | instskip(SKIP_2) | instid1(SALU_CYCLE_1)
	s_cselect_b32 s13, s13, s14
	s_and_b32 s12, s12, exec_lo
	s_cselect_b32 s5, s5, s13
	v_mov_b32_e32 v8, s5
	ds_store_b64 v9, v[8:9] offset:1632
.LBB47_183:
	s_or_b32 exec_lo, exec_lo, s1
	v_mov_b32_e32 v2, 0
	s_wait_dscnt 0x0
	ds_load_b64 v[8:9], v2 offset:1632
	s_wait_dscnt 0x0
	v_readfirstlane_b32 s1, v8
	v_readfirstlane_b32 s5, v9
	s_cmp_neq_f32 s1, 0
	s_cselect_b32 s12, -1, 0
	s_cmp_neq_f32 s5, 0
	s_cselect_b32 s13, -1, 0
	s_delay_alu instid0(SALU_CYCLE_1) | instskip(NEXT) | instid1(SALU_CYCLE_1)
	s_or_b32 s12, s12, s13
	s_nor_b32 s13, s12, s0
	s_and_b32 s12, s12, exec_lo
	s_cselect_b32 s1, s1, 1.0
	s_cselect_b32 s5, s5, 0
	s_delay_alu instid0(SALU_CYCLE_1)
	v_dual_mov_b32 v2, s1 :: v_dual_mov_b32 v4, s5
	s_and_saveexec_b32 s1, s13
	s_cbranch_execz .LBB47_187
; %bb.184:
	v_mbcnt_lo_u32_b32 v2, exec_lo, 0
	s_mov_b32 s5, exec_lo
	s_delay_alu instid0(VALU_DEP_1)
	v_cmpx_eq_u32_e32 0, v2
	s_cbranch_execz .LBB47_186
; %bb.185:
	v_dual_mov_b32 v2, 0 :: v_dual_mov_b32 v4, s4
	global_atomic_min_i32 v2, v4, s[10:11] scope:SCOPE_DEV
.LBB47_186:
	s_wait_xcnt 0x0
	s_or_b32 exec_lo, exec_lo, s5
	v_dual_mov_b32 v4, 0 :: v_dual_mov_b32 v2, 1.0
.LBB47_187:
	s_or_b32 exec_lo, exec_lo, s1
	s_delay_alu instid0(SALU_CYCLE_1)
	s_mov_b32 s1, exec_lo
	v_cmpx_lt_u32_e32 6, v11
	s_cbranch_execz .LBB47_189
; %bb.188:
	v_mul_f32_e32 v7, v4, v4
	ds_load_b64 v[8:9], v5 offset:48
	ds_load_b64 v[16:17], v13 offset:48
	v_fmac_f32_e32 v7, v2, v2
	s_delay_alu instid0(VALU_DEP_1) | instskip(SKIP_1) | instid1(VALU_DEP_2)
	v_div_scale_f32 v15, null, v7, v7, 1.0
	v_div_scale_f32 v20, vcc_lo, 1.0, v7, 1.0
	v_rcp_f32_e32 v18, v15
	s_wait_dscnt 0x0
	v_pk_add_f32 v[8:9], v[8:9], v[16:17] op_sel:[1,1] op_sel_hi:[0,0] neg_lo:[0,1] neg_hi:[0,1]
	s_delay_alu instid0(TRANS32_DEP_1) | instskip(NEXT) | instid1(VALU_DEP_2)
	v_fma_f32 v19, -v15, v18, 1.0
	v_pk_mul_f32 v[16:17], v[4:5], v[8:9] op_sel:[0,1] op_sel_hi:[0,0] neg_lo:[0,1]
	s_delay_alu instid0(VALU_DEP_2) | instskip(NEXT) | instid1(VALU_DEP_2)
	v_fmac_f32_e32 v18, v19, v18
	v_pk_fma_f32 v[8:9], v[8:9], v[2:3], v[16:17] op_sel_hi:[1,0,1]
	s_delay_alu instid0(VALU_DEP_2) | instskip(NEXT) | instid1(VALU_DEP_1)
	v_mul_f32_e32 v19, v20, v18
	v_fma_f32 v21, -v15, v19, v20
	s_delay_alu instid0(VALU_DEP_1) | instskip(NEXT) | instid1(VALU_DEP_1)
	v_fmac_f32_e32 v19, v21, v18
	v_fma_f32 v15, -v15, v19, v20
	s_delay_alu instid0(VALU_DEP_1) | instskip(NEXT) | instid1(VALU_DEP_1)
	v_div_fmas_f32 v4, v15, v18, v19
	v_div_fixup_f32 v2, v4, v7, 1.0
	s_delay_alu instid0(VALU_DEP_1) | instskip(NEXT) | instid1(VALU_DEP_1)
	v_pk_mul_f32 v[8:9], v[2:3], v[8:9] op_sel_hi:[0,1]
	v_dual_mov_b32 v16, v9 :: v_dual_mov_b32 v17, v8
	ds_store_b64 v5, v[16:17] offset:48
	s_wait_storecnt_dscnt 0x0
	ds_load_b64 v[16:17], v6 offset:48
	ds_load_b64 v[18:19], v12
	s_wait_dscnt 0x0
	v_pk_fma_f32 v[18:19], v[8:9], v[16:17], v[18:19] op_sel:[1,0,0] op_sel_hi:[0,0,1]
	s_delay_alu instid0(VALU_DEP_1)
	v_pk_fma_f32 v[8:9], v[8:9], v[16:17], v[18:19] op_sel:[0,1,0] neg_hi:[0,1,0]
	ds_store_b64 v12, v[8:9]
.LBB47_189:
	s_or_b32 exec_lo, exec_lo, s1
	s_delay_alu instid0(SALU_CYCLE_1)
	s_mov_b32 s1, exec_lo
	s_wait_storecnt_dscnt 0x0
	v_cmpx_eq_u32_e32 7, v11
	s_cbranch_execz .LBB47_197
; %bb.190:
	v_add_nc_u32_e64 v2, 0x400, 0
	ds_load_2addr_b64 v[16:19], v2 offset0:86 offset1:158
	s_wait_dscnt 0x0
	v_readfirstlane_b32 s5, v18
	v_readfirstlane_b32 s12, v16
	;; [unrolled: 1-line block ×3, first 2 shown]
	s_sub_f32 s5, s12, s5
	v_readfirstlane_b32 s12, v19
	s_delay_alu instid0(SALU_CYCLE_2) | instskip(SKIP_4) | instid1(SALU_CYCLE_1)
	s_xor_b32 s15, s5, 0x80000000
	s_cmp_lt_f32 s5, 0
	s_sub_f32 s14, s13, s12
	s_mov_b32 s13, 0
	s_cselect_b32 s5, s15, s5
	s_xor_b32 s12, s14, 0x80000000
	s_cmp_lt_f32 s14, 0
	s_cselect_b32 s12, s12, s14
	s_delay_alu instid0(SALU_CYCLE_1)
	s_cmp_gt_f32 s5, s12
	s_cbranch_scc1 .LBB47_194
; %bb.191:
	s_cmp_eq_f32 s14, 0
	s_cbranch_scc1 .LBB47_193
; %bb.192:
	v_div_scale_f32 v2, null, s12, s12, s5
	v_div_scale_f32 v8, vcc_lo, s5, s12, s5
	s_delay_alu instid0(VALU_DEP_2)
	v_rcp_f32_e32 v4, v2
	v_nop
	v_xor_b32_e32 v2, 0x80000000, v2
	s_delay_alu instid0(TRANS32_DEP_1) | instid1(VALU_DEP_1)
	v_fma_f32 v7, v2, v4, 1.0
	s_delay_alu instid0(VALU_DEP_1) | instskip(NEXT) | instid1(VALU_DEP_1)
	v_fmac_f32_e32 v4, v7, v4
	v_mul_f32_e32 v7, v8, v4
	s_delay_alu instid0(VALU_DEP_1) | instskip(NEXT) | instid1(VALU_DEP_1)
	v_fma_f32 v9, v2, v7, v8
	v_fmac_f32_e32 v7, v9, v4
	s_delay_alu instid0(VALU_DEP_1) | instskip(NEXT) | instid1(VALU_DEP_1)
	v_fmac_f32_e32 v8, v2, v7
	v_div_fmas_f32 v2, v8, v4, v7
	s_delay_alu instid0(VALU_DEP_1) | instskip(NEXT) | instid1(VALU_DEP_1)
	v_div_fixup_f32 v2, v2, s12, s5
	v_readfirstlane_b32 s13, v2
	s_fmaak_f32 s13, s13, s13, 0x3f800000
	s_delay_alu instid0(SALU_CYCLE_3) | instskip(SKIP_1) | instid1(SALU_CYCLE_2)
	s_mul_f32 s14, s13, 0x4f800000
	s_cmp_lt_f32 s13, 0xf800000
	s_cselect_b32 s14, s14, s13
	s_delay_alu instid0(SALU_CYCLE_1) | instskip(SKIP_1) | instid1(TRANS32_DEP_1)
	v_s_sqrt_f32 s15, s14
	s_mov_b32 s17, s14
	s_add_co_i32 s16, s15, -1
	s_delay_alu instid0(SALU_CYCLE_1) | instskip(NEXT) | instid1(SALU_CYCLE_1)
	s_xor_b32 s18, s16, 0x80000000
	s_fmac_f32 s17, s18, s15
	s_mov_b32 s18, s14
	s_delay_alu instid0(SALU_CYCLE_2) | instskip(SKIP_2) | instid1(SALU_CYCLE_1)
	s_cmp_le_f32 s17, 0
	s_cselect_b32 s16, s16, s15
	s_add_co_i32 s17, s15, 1
	s_xor_b32 s19, s17, 0x80000000
	s_delay_alu instid0(SALU_CYCLE_1) | instskip(NEXT) | instid1(SALU_CYCLE_3)
	s_fmac_f32 s18, s19, s15
	s_cmp_gt_f32 s18, 0
	s_cselect_b32 s15, s17, s16
	s_cmp_lt_f32 s13, 0xf800000
	s_mul_f32 s13, s15, 0x37800000
	v_cmp_class_f32_e64 s16, s14, 0x260
	s_delay_alu instid0(SALU_CYCLE_2) | instskip(SKIP_2) | instid1(SALU_CYCLE_1)
	s_cselect_b32 s13, s13, s15
	s_and_b32 s15, s16, exec_lo
	s_cselect_b32 s13, s14, s13
	s_mul_f32 s13, s12, s13
.LBB47_193:
	s_cbranch_execz .LBB47_195
	s_branch .LBB47_196
.LBB47_194:
                                        ; implicit-def: $sgpr13
.LBB47_195:
	v_div_scale_f32 v2, null, s5, s5, s12
	v_div_scale_f32 v8, vcc_lo, s12, s5, s12
	s_delay_alu instid0(VALU_DEP_2)
	v_rcp_f32_e32 v4, v2
	v_nop
	v_xor_b32_e32 v2, 0x80000000, v2
	s_delay_alu instid0(TRANS32_DEP_1) | instid1(VALU_DEP_1)
	v_fma_f32 v7, v2, v4, 1.0
	s_delay_alu instid0(VALU_DEP_1) | instskip(NEXT) | instid1(VALU_DEP_1)
	v_fmac_f32_e32 v4, v7, v4
	v_mul_f32_e32 v7, v8, v4
	s_delay_alu instid0(VALU_DEP_1) | instskip(NEXT) | instid1(VALU_DEP_1)
	v_fma_f32 v9, v2, v7, v8
	v_fmac_f32_e32 v7, v9, v4
	s_delay_alu instid0(VALU_DEP_1) | instskip(NEXT) | instid1(VALU_DEP_1)
	v_fmac_f32_e32 v8, v2, v7
	v_div_fmas_f32 v2, v8, v4, v7
	s_delay_alu instid0(VALU_DEP_1) | instskip(NEXT) | instid1(VALU_DEP_1)
	v_div_fixup_f32 v2, v2, s5, s12
	v_readfirstlane_b32 s12, v2
	s_fmaak_f32 s12, s12, s12, 0x3f800000
	s_delay_alu instid0(SALU_CYCLE_3) | instskip(SKIP_1) | instid1(SALU_CYCLE_2)
	s_mul_f32 s13, s12, 0x4f800000
	s_cmp_lt_f32 s12, 0xf800000
	s_cselect_b32 s13, s13, s12
	s_delay_alu instid0(SALU_CYCLE_1) | instskip(SKIP_1) | instid1(TRANS32_DEP_1)
	v_s_sqrt_f32 s14, s13
	s_mov_b32 s16, s13
	s_add_co_i32 s15, s14, -1
	s_delay_alu instid0(SALU_CYCLE_1) | instskip(NEXT) | instid1(SALU_CYCLE_1)
	s_xor_b32 s17, s15, 0x80000000
	s_fmac_f32 s16, s17, s14
	s_mov_b32 s17, s13
	s_delay_alu instid0(SALU_CYCLE_2) | instskip(SKIP_2) | instid1(SALU_CYCLE_1)
	s_cmp_le_f32 s16, 0
	s_cselect_b32 s15, s15, s14
	s_add_co_i32 s16, s14, 1
	s_xor_b32 s18, s16, 0x80000000
	s_delay_alu instid0(SALU_CYCLE_1) | instskip(NEXT) | instid1(SALU_CYCLE_3)
	s_fmac_f32 s17, s18, s14
	s_cmp_gt_f32 s17, 0
	s_cselect_b32 s14, s16, s15
	s_cmp_lt_f32 s12, 0xf800000
	s_mul_f32 s12, s14, 0x37800000
	v_cmp_class_f32_e64 s15, s13, 0x260
	s_delay_alu instid0(SALU_CYCLE_2) | instskip(SKIP_2) | instid1(SALU_CYCLE_1)
	s_cselect_b32 s12, s12, s14
	s_and_b32 s14, s15, exec_lo
	s_cselect_b32 s12, s13, s12
	s_mul_f32 s13, s5, s12
.LBB47_196:
	s_delay_alu instid0(SALU_CYCLE_3) | instskip(SKIP_2) | instid1(SALU_CYCLE_1)
	s_mul_f32 s5, s13, 0x4f800000
	s_cmp_lt_f32 s13, 0xf800000
	v_mov_b32_e32 v9, 0
	s_cselect_b32 s5, s5, s13
	s_delay_alu instid0(SALU_CYCLE_1) | instskip(SKIP_1) | instid1(TRANS32_DEP_1)
	v_s_sqrt_f32 s12, s5
	s_mov_b32 s15, s5
	s_add_co_i32 s14, s12, -1
	s_delay_alu instid0(SALU_CYCLE_1) | instskip(NEXT) | instid1(SALU_CYCLE_1)
	s_xor_b32 s16, s14, 0x80000000
	s_fmac_f32 s15, s16, s12
	s_mov_b32 s16, s5
	s_delay_alu instid0(SALU_CYCLE_2) | instskip(SKIP_2) | instid1(SALU_CYCLE_1)
	s_cmp_le_f32 s15, 0
	s_cselect_b32 s14, s14, s12
	s_add_co_i32 s15, s12, 1
	s_xor_b32 s17, s15, 0x80000000
	s_delay_alu instid0(SALU_CYCLE_1) | instskip(SKIP_1) | instid1(SALU_CYCLE_2)
	s_fmac_f32 s16, s17, s12
	v_cmp_class_f32_e64 s12, s5, 0x260
	s_cmp_gt_f32 s16, 0
	s_cselect_b32 s14, s15, s14
	s_cmp_lt_f32 s13, 0xf800000
	s_mul_f32 s13, s14, 0x37800000
	s_delay_alu instid0(SALU_CYCLE_3) | instskip(SKIP_2) | instid1(SALU_CYCLE_1)
	s_cselect_b32 s13, s13, s14
	s_and_b32 s12, s12, exec_lo
	s_cselect_b32 s5, s5, s13
	v_mov_b32_e32 v8, s5
	ds_store_b64 v9, v[8:9] offset:1712
.LBB47_197:
	s_or_b32 exec_lo, exec_lo, s1
	v_mov_b32_e32 v2, 0
	s_wait_dscnt 0x0
	ds_load_b64 v[8:9], v2 offset:1712
	s_wait_dscnt 0x0
	v_readfirstlane_b32 s1, v8
	v_readfirstlane_b32 s5, v9
	s_cmp_neq_f32 s1, 0
	s_cselect_b32 s12, -1, 0
	s_cmp_neq_f32 s5, 0
	s_cselect_b32 s13, -1, 0
	s_delay_alu instid0(SALU_CYCLE_1) | instskip(NEXT) | instid1(SALU_CYCLE_1)
	s_or_b32 s12, s12, s13
	s_nor_b32 s13, s12, s0
	s_and_b32 s0, s12, exec_lo
	s_cselect_b32 s0, s1, 1.0
	s_cselect_b32 s1, s5, 0
	s_delay_alu instid0(SALU_CYCLE_1)
	v_dual_mov_b32 v2, s0 :: v_dual_mov_b32 v4, s1
	s_and_saveexec_b32 s0, s13
	s_cbranch_execz .LBB47_201
; %bb.198:
	v_mbcnt_lo_u32_b32 v2, exec_lo, 0
	s_mov_b32 s1, exec_lo
	s_delay_alu instid0(VALU_DEP_1)
	v_cmpx_eq_u32_e32 0, v2
	s_cbranch_execz .LBB47_200
; %bb.199:
	v_dual_mov_b32 v2, 0 :: v_dual_mov_b32 v4, s4
	global_atomic_min_i32 v2, v4, s[10:11] scope:SCOPE_DEV
.LBB47_200:
	s_wait_xcnt 0x0
	s_or_b32 exec_lo, exec_lo, s1
	v_dual_mov_b32 v4, 0 :: v_dual_mov_b32 v2, 1.0
.LBB47_201:
	s_or_b32 exec_lo, exec_lo, s0
	s_delay_alu instid0(SALU_CYCLE_1)
	s_mov_b32 s0, exec_lo
	v_cmpx_lt_u32_e32 7, v11
	s_cbranch_execz .LBB47_203
; %bb.202:
	v_mul_f32_e32 v7, v4, v4
	ds_load_b64 v[8:9], v5 offset:56
	ds_load_b64 v[16:17], v13 offset:56
	v_fmac_f32_e32 v7, v2, v2
	s_delay_alu instid0(VALU_DEP_1) | instskip(SKIP_1) | instid1(VALU_DEP_2)
	v_div_scale_f32 v15, null, v7, v7, 1.0
	v_div_scale_f32 v13, vcc_lo, 1.0, v7, 1.0
	v_rcp_f32_e32 v18, v15
	s_wait_dscnt 0x0
	v_pk_add_f32 v[8:9], v[8:9], v[16:17] op_sel:[1,1] op_sel_hi:[0,0] neg_lo:[0,1] neg_hi:[0,1]
	s_delay_alu instid0(TRANS32_DEP_1) | instskip(NEXT) | instid1(VALU_DEP_2)
	v_fma_f32 v19, -v15, v18, 1.0
	v_pk_mul_f32 v[16:17], v[4:5], v[8:9] op_sel:[0,1] op_sel_hi:[0,0] neg_lo:[0,1]
	s_delay_alu instid0(VALU_DEP_2) | instskip(NEXT) | instid1(VALU_DEP_2)
	v_fmac_f32_e32 v18, v19, v18
	v_pk_fma_f32 v[8:9], v[8:9], v[2:3], v[16:17] op_sel_hi:[1,0,1]
	s_delay_alu instid0(VALU_DEP_2) | instskip(NEXT) | instid1(VALU_DEP_1)
	v_mul_f32_e32 v19, v13, v18
	v_fma_f32 v20, -v15, v19, v13
	s_delay_alu instid0(VALU_DEP_1) | instskip(NEXT) | instid1(VALU_DEP_1)
	v_fmac_f32_e32 v19, v20, v18
	v_fma_f32 v13, -v15, v19, v13
	s_delay_alu instid0(VALU_DEP_1) | instskip(NEXT) | instid1(VALU_DEP_1)
	v_div_fmas_f32 v4, v13, v18, v19
	v_div_fixup_f32 v2, v4, v7, 1.0
	s_delay_alu instid0(VALU_DEP_1) | instskip(NEXT) | instid1(VALU_DEP_1)
	v_pk_mul_f32 v[8:9], v[2:3], v[8:9] op_sel_hi:[0,1]
	v_dual_mov_b32 v16, v9 :: v_dual_mov_b32 v17, v8
	ds_store_b64 v5, v[16:17] offset:56
	s_wait_storecnt_dscnt 0x0
	ds_load_b64 v[4:5], v6 offset:56
	ds_load_b64 v[6:7], v12
	s_wait_dscnt 0x0
	v_pk_fma_f32 v[6:7], v[8:9], v[4:5], v[6:7] op_sel:[1,0,0] op_sel_hi:[0,0,1]
	s_delay_alu instid0(VALU_DEP_1)
	v_pk_fma_f32 v[4:5], v[8:9], v[4:5], v[6:7] op_sel:[0,1,0] neg_hi:[0,1,0]
	ds_store_b64 v12, v[4:5]
.LBB47_203:
	s_or_b32 exec_lo, exec_lo, s0
	s_wait_storecnt_dscnt 0x0
	ds_load_b64 v[2:3], v3
	s_mov_b32 s0, 0
	s_mov_b32 s1, exec_lo
	s_wait_dscnt 0x0
	global_store_b64 v[0:1], v[2:3], off
	s_wait_xcnt 0x0
	v_cmpx_eq_u32_e32 0, v14
	s_cbranch_execz .LBB47_205
; %bb.204:
	v_dual_mov_b32 v0, 0 :: v_dual_mov_b32 v1, 1
	s_add_nc_u64 s[4:5], s[6:7], s[2:3]
	global_wb scope:SCOPE_DEV
	s_wait_storecnt 0x0
	global_store_b32 v0, v1, s[4:5] scope:SCOPE_DEV
.LBB47_205:
	s_wait_xcnt 0x0
	s_or_b32 exec_lo, exec_lo, s1
	s_delay_alu instid0(SALU_CYCLE_1)
	s_and_b32 vcc_lo, exec_lo, s0
	s_cbranch_vccz .LBB47_16
.LBB47_206:
	v_or_b32_e32 v0, v10, v11
	s_mov_b32 s0, exec_lo
	s_delay_alu instid0(VALU_DEP_1)
	v_cmpx_eq_u32_e32 0, v0
	s_cbranch_execz .LBB47_16
; %bb.207:
	v_mbcnt_lo_u32_b32 v0, exec_lo, 0
	s_mov_b32 s0, exec_lo
	s_delay_alu instid0(VALU_DEP_1)
	v_cmpx_eq_u32_e32 0, v0
	s_cbranch_execz .LBB47_209
; %bb.208:
	s_add_co_i32 s1, s8, s9
	s_delay_alu instid0(SALU_CYCLE_1)
	v_dual_mov_b32 v0, 0 :: v_dual_mov_b32 v1, s1
	global_atomic_min_i32 v0, v1, s[10:11] scope:SCOPE_DEV
.LBB47_209:
	s_wait_xcnt 0x0
	s_or_b32 exec_lo, exec_lo, s0
	v_dual_mov_b32 v0, 0 :: v_dual_mov_b32 v1, 1
	s_add_nc_u64 s[0:1], s[6:7], s[2:3]
	global_wb scope:SCOPE_DEV
	s_wait_storecnt 0x0
	global_store_b32 v0, v1, s[0:1] scope:SCOPE_DEV
	s_endpgm
	.section	.rodata,"a",@progbits
	.p2align	6, 0x0
	.amdhsa_kernel _ZN9rocsparseL26bsric0_2_8_unrolled_kernelILi64ELi32ELi8E21rocsparse_complex_numIfEEEv20rocsparse_direction_iiPKiS5_PT2_S5_PiS5_S8_21rocsparse_index_base_
		.amdhsa_group_segment_fixed_size 2688
		.amdhsa_private_segment_fixed_size 0
		.amdhsa_kernarg_size 76
		.amdhsa_user_sgpr_count 2
		.amdhsa_user_sgpr_dispatch_ptr 0
		.amdhsa_user_sgpr_queue_ptr 0
		.amdhsa_user_sgpr_kernarg_segment_ptr 1
		.amdhsa_user_sgpr_dispatch_id 0
		.amdhsa_user_sgpr_kernarg_preload_length 0
		.amdhsa_user_sgpr_kernarg_preload_offset 0
		.amdhsa_user_sgpr_private_segment_size 0
		.amdhsa_wavefront_size32 1
		.amdhsa_uses_dynamic_stack 0
		.amdhsa_enable_private_segment 0
		.amdhsa_system_sgpr_workgroup_id_x 1
		.amdhsa_system_sgpr_workgroup_id_y 0
		.amdhsa_system_sgpr_workgroup_id_z 0
		.amdhsa_system_sgpr_workgroup_info 0
		.amdhsa_system_vgpr_workitem_id 1
		.amdhsa_next_free_vgpr 58
		.amdhsa_next_free_sgpr 37
		.amdhsa_named_barrier_count 0
		.amdhsa_reserve_vcc 1
		.amdhsa_float_round_mode_32 0
		.amdhsa_float_round_mode_16_64 0
		.amdhsa_float_denorm_mode_32 3
		.amdhsa_float_denorm_mode_16_64 3
		.amdhsa_fp16_overflow 0
		.amdhsa_memory_ordered 1
		.amdhsa_forward_progress 1
		.amdhsa_inst_pref_size 135
		.amdhsa_round_robin_scheduling 0
		.amdhsa_exception_fp_ieee_invalid_op 0
		.amdhsa_exception_fp_denorm_src 0
		.amdhsa_exception_fp_ieee_div_zero 0
		.amdhsa_exception_fp_ieee_overflow 0
		.amdhsa_exception_fp_ieee_underflow 0
		.amdhsa_exception_fp_ieee_inexact 0
		.amdhsa_exception_int_div_zero 0
	.end_amdhsa_kernel
	.section	.text._ZN9rocsparseL26bsric0_2_8_unrolled_kernelILi64ELi32ELi8E21rocsparse_complex_numIfEEEv20rocsparse_direction_iiPKiS5_PT2_S5_PiS5_S8_21rocsparse_index_base_,"axG",@progbits,_ZN9rocsparseL26bsric0_2_8_unrolled_kernelILi64ELi32ELi8E21rocsparse_complex_numIfEEEv20rocsparse_direction_iiPKiS5_PT2_S5_PiS5_S8_21rocsparse_index_base_,comdat
.Lfunc_end47:
	.size	_ZN9rocsparseL26bsric0_2_8_unrolled_kernelILi64ELi32ELi8E21rocsparse_complex_numIfEEEv20rocsparse_direction_iiPKiS5_PT2_S5_PiS5_S8_21rocsparse_index_base_, .Lfunc_end47-_ZN9rocsparseL26bsric0_2_8_unrolled_kernelILi64ELi32ELi8E21rocsparse_complex_numIfEEEv20rocsparse_direction_iiPKiS5_PT2_S5_PiS5_S8_21rocsparse_index_base_
                                        ; -- End function
	.set _ZN9rocsparseL26bsric0_2_8_unrolled_kernelILi64ELi32ELi8E21rocsparse_complex_numIfEEEv20rocsparse_direction_iiPKiS5_PT2_S5_PiS5_S8_21rocsparse_index_base_.num_vgpr, 58
	.set _ZN9rocsparseL26bsric0_2_8_unrolled_kernelILi64ELi32ELi8E21rocsparse_complex_numIfEEEv20rocsparse_direction_iiPKiS5_PT2_S5_PiS5_S8_21rocsparse_index_base_.num_agpr, 0
	.set _ZN9rocsparseL26bsric0_2_8_unrolled_kernelILi64ELi32ELi8E21rocsparse_complex_numIfEEEv20rocsparse_direction_iiPKiS5_PT2_S5_PiS5_S8_21rocsparse_index_base_.numbered_sgpr, 37
	.set _ZN9rocsparseL26bsric0_2_8_unrolled_kernelILi64ELi32ELi8E21rocsparse_complex_numIfEEEv20rocsparse_direction_iiPKiS5_PT2_S5_PiS5_S8_21rocsparse_index_base_.num_named_barrier, 0
	.set _ZN9rocsparseL26bsric0_2_8_unrolled_kernelILi64ELi32ELi8E21rocsparse_complex_numIfEEEv20rocsparse_direction_iiPKiS5_PT2_S5_PiS5_S8_21rocsparse_index_base_.private_seg_size, 0
	.set _ZN9rocsparseL26bsric0_2_8_unrolled_kernelILi64ELi32ELi8E21rocsparse_complex_numIfEEEv20rocsparse_direction_iiPKiS5_PT2_S5_PiS5_S8_21rocsparse_index_base_.uses_vcc, 1
	.set _ZN9rocsparseL26bsric0_2_8_unrolled_kernelILi64ELi32ELi8E21rocsparse_complex_numIfEEEv20rocsparse_direction_iiPKiS5_PT2_S5_PiS5_S8_21rocsparse_index_base_.uses_flat_scratch, 0
	.set _ZN9rocsparseL26bsric0_2_8_unrolled_kernelILi64ELi32ELi8E21rocsparse_complex_numIfEEEv20rocsparse_direction_iiPKiS5_PT2_S5_PiS5_S8_21rocsparse_index_base_.has_dyn_sized_stack, 0
	.set _ZN9rocsparseL26bsric0_2_8_unrolled_kernelILi64ELi32ELi8E21rocsparse_complex_numIfEEEv20rocsparse_direction_iiPKiS5_PT2_S5_PiS5_S8_21rocsparse_index_base_.has_recursion, 0
	.set _ZN9rocsparseL26bsric0_2_8_unrolled_kernelILi64ELi32ELi8E21rocsparse_complex_numIfEEEv20rocsparse_direction_iiPKiS5_PT2_S5_PiS5_S8_21rocsparse_index_base_.has_indirect_call, 0
	.section	.AMDGPU.csdata,"",@progbits
; Kernel info:
; codeLenInByte = 17192
; TotalNumSgprs: 39
; NumVgprs: 58
; ScratchSize: 0
; MemoryBound: 0
; FloatMode: 240
; IeeeMode: 1
; LDSByteSize: 2688 bytes/workgroup (compile time only)
; SGPRBlocks: 0
; VGPRBlocks: 3
; NumSGPRsForWavesPerEU: 39
; NumVGPRsForWavesPerEU: 58
; NamedBarCnt: 0
; Occupancy: 16
; WaveLimiterHint : 1
; COMPUTE_PGM_RSRC2:SCRATCH_EN: 0
; COMPUTE_PGM_RSRC2:USER_SGPR: 2
; COMPUTE_PGM_RSRC2:TRAP_HANDLER: 0
; COMPUTE_PGM_RSRC2:TGID_X_EN: 1
; COMPUTE_PGM_RSRC2:TGID_Y_EN: 0
; COMPUTE_PGM_RSRC2:TGID_Z_EN: 0
; COMPUTE_PGM_RSRC2:TIDIG_COMP_CNT: 1
	.section	.text._ZN9rocsparseL18bsric0_9_16_kernelILi64ELi32ELi16E21rocsparse_complex_numIfEEEv20rocsparse_direction_iiPKiS5_PT2_S5_PiS5_S8_21rocsparse_index_base_,"axG",@progbits,_ZN9rocsparseL18bsric0_9_16_kernelILi64ELi32ELi16E21rocsparse_complex_numIfEEEv20rocsparse_direction_iiPKiS5_PT2_S5_PiS5_S8_21rocsparse_index_base_,comdat
	.globl	_ZN9rocsparseL18bsric0_9_16_kernelILi64ELi32ELi16E21rocsparse_complex_numIfEEEv20rocsparse_direction_iiPKiS5_PT2_S5_PiS5_S8_21rocsparse_index_base_ ; -- Begin function _ZN9rocsparseL18bsric0_9_16_kernelILi64ELi32ELi16E21rocsparse_complex_numIfEEEv20rocsparse_direction_iiPKiS5_PT2_S5_PiS5_S8_21rocsparse_index_base_
	.p2align	8
	.type	_ZN9rocsparseL18bsric0_9_16_kernelILi64ELi32ELi16E21rocsparse_complex_numIfEEEv20rocsparse_direction_iiPKiS5_PT2_S5_PiS5_S8_21rocsparse_index_base_,@function
_ZN9rocsparseL18bsric0_9_16_kernelILi64ELi32ELi16E21rocsparse_complex_numIfEEEv20rocsparse_direction_iiPKiS5_PT2_S5_PiS5_S8_21rocsparse_index_base_: ; @_ZN9rocsparseL18bsric0_9_16_kernelILi64ELi32ELi16E21rocsparse_complex_numIfEEEv20rocsparse_direction_iiPKiS5_PT2_S5_PiS5_S8_21rocsparse_index_base_
; %bb.0:
	s_load_b256 s[8:15], s[0:1], 0x28
	s_bfe_u32 s2, ttmp6, 0x4000c
	s_and_b32 s3, ttmp6, 15
	s_add_co_i32 s2, s2, 1
	s_getreg_b32 s4, hwreg(HW_REG_IB_STS2, 6, 4)
	s_mul_i32 s2, ttmp9, s2
	v_and_b32_e32 v10, 0x3ff, v0
	s_add_co_i32 s3, s3, s2
	s_cmp_eq_u32 s4, 0
	v_bfe_u32 v11, v0, 10, 10
	s_cselect_b32 s2, ttmp9, s3
	s_wait_kmcnt 0x0
	s_load_b32 s12, s[12:13], s2 offset:0x0 scale_offset
	s_wait_kmcnt 0x0
	s_ashr_i32 s13, s12, 31
	s_delay_alu instid0(SALU_CYCLE_1) | instskip(NEXT) | instid1(SALU_CYCLE_1)
	s_lshl_b64 s[6:7], s[12:13], 2
	s_add_nc_u64 s[2:3], s[8:9], s[6:7]
	s_load_b32 s13, s[2:3], 0x0
	s_load_b32 s5, s[0:1], 0x48
	s_wait_kmcnt 0x0
	s_cmp_lg_u32 s13, -1
	s_cbranch_scc0 .LBB48_148
; %bb.1:
	s_clause 0x1
	s_load_b128 s[16:19], s[0:1], 0x10
	s_load_b64 s[20:21], s[0:1], 0x20
	v_lshlrev_b32_e32 v0, 2, v11
	s_wait_kmcnt 0x0
	s_add_nc_u64 s[2:3], s[16:17], s[6:7]
	s_load_b32 s2, s[2:3], 0x0
	s_wait_kmcnt 0x0
	s_sub_co_i32 s33, s2, s5
	s_mov_b32 s2, exec_lo
	v_add3_u32 v0, v0, v10, s33
	s_delay_alu instid0(VALU_DEP_1)
	v_cmpx_ge_i32_e64 s13, v0
	s_cbranch_execz .LBB48_4
; %bb.2:
	v_dual_lshlrev_b32 v1, 4, v11 :: v_dual_lshlrev_b32 v2, 2, v10
	s_mov_b32 s3, 0
	s_delay_alu instid0(VALU_DEP_1)
	v_add3_u32 v1, v1, v2, 0x2300
.LBB48_3:                               ; =>This Inner Loop Header: Depth=1
	global_load_b32 v2, v0, s[18:19] scale_offset
	s_wait_xcnt 0x0
	v_add_nc_u32_e32 v0, 64, v0
	s_delay_alu instid0(VALU_DEP_1)
	v_cmp_lt_i32_e32 vcc_lo, s13, v0
	s_or_b32 s3, vcc_lo, s3
	s_wait_loadcnt 0x0
	v_subrev_nc_u32_e32 v2, s5, v2
	ds_store_b32 v1, v2
	v_add_nc_u32_e32 v1, 0x100, v1
	s_and_not1_b32 exec_lo, exec_lo, s3
	s_cbranch_execnz .LBB48_3
.LBB48_4:
	s_or_b32 exec_lo, exec_lo, s2
	v_mul_u32_u24_e32 v12, 0x88, v11
	v_lshlrev_b32_e32 v13, 3, v10
	s_mov_b32 s2, exec_lo
	v_cmpx_gt_u32_e32 16, v10
	s_cbranch_execz .LBB48_7
; %bb.5:
	v_dual_lshlrev_b32 v3, 3, v10 :: v_dual_add_nc_u32 v2, -4, v10
	v_mov_b64_e32 v[0:1], 0
	s_mov_b32 s3, 0
	s_delay_alu instid0(VALU_DEP_2)
	v_add3_u32 v3, v12, v3, 0x1980
.LBB48_6:                               ; =>This Inner Loop Header: Depth=1
	s_delay_alu instid0(VALU_DEP_3) | instskip(SKIP_4) | instid1(SALU_CYCLE_1)
	v_add_nc_u32_e32 v2, 4, v2
	ds_store_b64 v3, v[0:1]
	v_add_nc_u32_e32 v3, 32, v3
	v_cmp_lt_u32_e32 vcc_lo, 11, v2
	s_or_b32 s3, vcc_lo, s3
	s_and_not1_b32 exec_lo, exec_lo, s3
	s_cbranch_execnz .LBB48_6
.LBB48_7:
	s_or_b32 exec_lo, exec_lo, s2
	s_clause 0x1
	s_load_b32 s30, s[0:1], 0x8
	s_load_b32 s31, s[0:1], 0x0
	v_mul_u32_u24_e32 v14, 0x88, v10
	s_cmp_ge_i32 s33, s13
	s_wait_dscnt 0x0
	s_wait_kmcnt 0x0
	v_cmp_gt_i32_e64 s0, s30, v10
	v_xad_u32 v15, v10, -1, s30
	s_cbranch_scc1 .LBB48_96
; %bb.8:
	s_delay_alu instid0(VALU_DEP_1) | instskip(SKIP_3) | instid1(VALU_DEP_4)
	v_dual_lshrrev_b32 v0, 2, v15 :: v_dual_lshlrev_b32 v18, 3, v10
	v_mad_u32 v1, s30, s33, v11
	v_mul_lo_u32 v19, s30, v11
	v_mul_lo_u32 v24, v10, s30
	v_dual_add_nc_u32 v0, 1, v0 :: v_dual_bitop2_b32 v2, v10, v11 bitop3:0x54
	v_mad_u32_u24 v21, 0x88, v11, v18
	s_movk_i32 s22, 0x88
	s_movk_i32 s2, 0x880
	s_delay_alu instid0(VALU_DEP_2)
	v_and_b32_e32 v20, 0x7ffffffe, v0
	v_mad_u32_u24 v16, v11, s22, 0x1100
	v_mad_u32_u24 v26, v10, s22, 0x1100
	v_mul_lo_u32 v27, s30, v1
	s_movk_i32 s22, 0x1980
	v_cmp_ne_u32_e64 s4, v0, v20
	v_mov_b64_e32 v[0:1], 0
	s_cmp_lg_u32 s31, 0
	v_cmp_gt_i32_e64 s1, s30, v11
	v_mad_u32_u24 v17, 0x88, v11, s2
	v_cmp_ne_u32_e64 s2, 0, v2
	v_cmp_lt_u32_e64 s3, 3, v15
	v_lshl_add_u32 v22, v20, 2, v10
	v_add_nc_u32_e32 v23, 0x880, v21
	v_mul_u32_u24_e32 v25, 0x88, v10
	v_dual_mov_b32 v31, 0 :: v_dual_add_nc_u32 v28, 0x1980, v21
	v_mad_u32_u24 v29, 0x88, v11, s22
	v_add_nc_u32_e32 v30, 0x1100, v21
	s_cselect_b32 s34, -1, 0
	s_cmp_gt_i32 s30, 0
	s_mul_i32 s36, s30, s30
	s_cselect_b32 s35, -1, 0
	s_lshl_b32 s37, s30, 2
	s_mov_b32 s22, s33
	s_branch .LBB48_10
.LBB48_9:                               ;   in Loop: Header=BB48_10 Depth=1
	s_or_b32 exec_lo, exec_lo, s24
	s_add_co_i32 s22, s22, 1
	v_add_nc_u32_e32 v27, s36, v27
	s_cmp_ge_i32 s22, s13
	global_wb scope:SCOPE_DEV
	s_wait_storecnt 0x0
	global_inv scope:SCOPE_DEV
	s_cselect_b32 s23, -1, 0
	s_delay_alu instid0(SALU_CYCLE_1)
	s_and_b32 vcc_lo, exec_lo, s23
	s_cbranch_vccnz .LBB48_96
.LBB48_10:                              ; =>This Loop Header: Depth=1
                                        ;     Child Loop BB48_14 Depth 2
                                        ;     Child Loop BB48_26 Depth 2
	;; [unrolled: 1-line block ×5, first 2 shown]
                                        ;       Child Loop BB48_56 Depth 3
                                        ;     Child Loop BB48_70 Depth 2
                                        ;       Child Loop BB48_75 Depth 3
                                        ;       Child Loop BB48_79 Depth 3
	;; [unrolled: 1-line block ×3, first 2 shown]
                                        ;     Child Loop BB48_91 Depth 2
	s_ashr_i32 s23, s22, 31
	s_delay_alu instid0(SALU_CYCLE_1) | instskip(NEXT) | instid1(SALU_CYCLE_1)
	s_lshl_b64 s[24:25], s[22:23], 2
	s_add_nc_u64 s[24:25], s[18:19], s[24:25]
	s_load_b32 s38, s[24:25], 0x0
	s_wait_kmcnt 0x0
	s_sub_co_i32 s26, s38, s5
	s_delay_alu instid0(SALU_CYCLE_1) | instskip(SKIP_2) | instid1(SALU_CYCLE_1)
	s_ashr_i32 s27, s26, 31
	s_wait_xcnt 0x0
	s_lshl_b64 s[24:25], s[26:27], 2
	s_add_nc_u64 s[28:29], s[8:9], s[24:25]
	s_load_b32 s27, s[28:29], 0x0
	s_wait_kmcnt 0x0
	s_cmp_eq_u32 s27, -1
	s_cbranch_scc1 .LBB48_95
; %bb.11:                               ;   in Loop: Header=BB48_10 Depth=1
	s_wait_xcnt 0x0
	s_add_nc_u64 s[28:29], s[16:17], s[24:25]
	s_mul_i32 s23, s22, s30
	s_load_b32 s28, s[28:29], 0x0
	s_wait_xcnt 0x0
	s_and_saveexec_b32 s29, s0
	s_cbranch_execz .LBB48_24
; %bb.12:                               ;   in Loop: Header=BB48_10 Depth=1
	v_dual_mov_b32 v4, v23 :: v_dual_mov_b32 v5, v10
	s_mov_b32 s39, 0
	s_branch .LBB48_14
.LBB48_13:                              ;   in Loop: Header=BB48_14 Depth=2
	s_wait_xcnt 0x0
	s_or_b32 exec_lo, exec_lo, s41
	v_add_nc_u32_e32 v5, 4, v5
	s_wait_loadcnt 0x0
	ds_store_b64 v4, v[2:3] offset:2176
	ds_store_b64 v4, v[0:1]
	v_add_nc_u32_e32 v4, 32, v4
	v_cmp_le_i32_e32 vcc_lo, s30, v5
	s_or_b32 s39, vcc_lo, s39
	s_delay_alu instid0(SALU_CYCLE_1)
	s_and_not1_b32 exec_lo, exec_lo, s39
	s_cbranch_execz .LBB48_24
.LBB48_14:                              ;   Parent Loop BB48_10 Depth=1
                                        ; =>  This Inner Loop Header: Depth=2
	s_and_b32 vcc_lo, exec_lo, s34
	s_cbranch_vccz .LBB48_21
; %bb.15:                               ;   in Loop: Header=BB48_14 Depth=2
	s_mov_b32 s41, 0
	s_mov_b32 s40, 0
                                        ; implicit-def: $vgpr6
	s_and_saveexec_b32 s42, s1
	s_delay_alu instid0(SALU_CYCLE_1)
	s_xor_b32 s42, exec_lo, s42
; %bb.16:                               ;   in Loop: Header=BB48_14 Depth=2
	v_add_nc_u32_e32 v2, s23, v5
	s_mov_b32 s40, exec_lo
	s_delay_alu instid0(VALU_DEP_1)
	v_mad_u32 v6, v2, s30, v11
; %bb.17:                               ;   in Loop: Header=BB48_14 Depth=2
	s_or_b32 exec_lo, exec_lo, s42
	s_delay_alu instid0(SALU_CYCLE_1)
	s_and_b32 vcc_lo, exec_lo, s41
	s_cbranch_vccz .LBB48_22
.LBB48_18:                              ;   in Loop: Header=BB48_14 Depth=2
                                        ; implicit-def: $vgpr6
	s_and_saveexec_b32 s41, s1
; %bb.19:                               ;   in Loop: Header=BB48_14 Depth=2
	v_add_nc_u32_e32 v6, v27, v5
	s_or_b32 s40, s40, exec_lo
; %bb.20:                               ;   in Loop: Header=BB48_14 Depth=2
	s_or_b32 exec_lo, exec_lo, s41
	v_dual_mov_b32 v2, 0 :: v_dual_mov_b32 v3, 0
	s_and_saveexec_b32 s41, s40
	s_cbranch_execz .LBB48_13
	s_branch .LBB48_23
.LBB48_21:                              ;   in Loop: Header=BB48_14 Depth=2
	s_mov_b32 s40, 0
                                        ; implicit-def: $vgpr6
	s_cbranch_execnz .LBB48_18
.LBB48_22:                              ;   in Loop: Header=BB48_14 Depth=2
	v_dual_mov_b32 v2, 0 :: v_dual_mov_b32 v3, 0
	s_and_saveexec_b32 s41, s40
	s_cbranch_execz .LBB48_13
.LBB48_23:                              ;   in Loop: Header=BB48_14 Depth=2
	global_load_b64 v[2:3], v6, s[20:21] scale_offset
	s_branch .LBB48_13
.LBB48_24:                              ;   in Loop: Header=BB48_10 Depth=1
	s_or_b32 exec_lo, exec_lo, s29
	ds_load_b32 v2, v31 offset:8960
	s_wait_kmcnt 0x0
	s_sub_co_i32 s28, s28, s5
	s_delay_alu instid0(SALU_CYCLE_1) | instskip(SKIP_4) | instid1(SALU_CYCLE_1)
	s_cmp_le_i32 s28, s27
	s_cselect_b32 s29, -1, 0
	s_wait_dscnt 0x0
	v_cmp_ge_i32_e32 vcc_lo, s26, v2
	s_and_b32 s29, s29, vcc_lo
	s_and_not1_b32 vcc_lo, exec_lo, s29
	s_mov_b32 s29, 0
	s_cbranch_vccnz .LBB48_36
; %bb.25:                               ;   in Loop: Header=BB48_10 Depth=1
	s_mov_b32 s39, 0
	s_mov_b32 s40, 0
.LBB48_26:                              ;   Parent Loop BB48_10 Depth=1
                                        ; =>  This Inner Loop Header: Depth=2
	s_ashr_i32 s29, s28, 31
	s_lshl_b32 s41, s40, 2
	s_wait_xcnt 0x0
	s_lshl_b64 s[42:43], s[28:29], 2
	v_mov_b32_e32 v2, s41
	s_add_nc_u64 s[42:43], s[18:19], s[42:43]
	s_mov_b32 s44, -1
	s_load_b32 s29, s[42:43], 0x0
                                        ; implicit-def: $sgpr43
                                        ; implicit-def: $sgpr42
	ds_load_b32 v2, v2 offset:8960
	s_wait_kmcnt 0x0
	s_sub_co_i32 s45, s29, s5
                                        ; implicit-def: $sgpr29
	s_wait_dscnt 0x0
	v_readfirstlane_b32 s41, v2
	v_cmp_ge_i32_e32 vcc_lo, s45, v2
	s_cbranch_vccz .LBB48_32
; %bb.27:                               ;   in Loop: Header=BB48_26 Depth=2
	s_cmp_le_i32 s45, s41
                                        ; implicit-def: $sgpr29
                                        ; implicit-def: $sgpr43
                                        ; implicit-def: $sgpr42
	s_cbranch_scc0 .LBB48_29
; %bb.28:                               ;   in Loop: Header=BB48_26 Depth=2
	s_add_co_i32 s29, s40, s33
	s_wait_xcnt 0x0
	s_lshl_b32 s42, s39, 2
	s_mul_i32 s29, s29, s36
	s_mul_i32 s43, s28, s36
	s_delay_alu instid0(SALU_CYCLE_1)
	v_dual_mov_b32 v2, s29 :: v_dual_mov_b32 v3, s43
	v_add_nc_u32_e64 v4, 0x2000, s42
	s_add_co_i32 s42, s40, 1
	s_add_co_i32 s43, s28, 1
	;; [unrolled: 1-line block ×3, first 2 shown]
	s_mov_b32 s44, 0
	ds_store_2addr_b32 v4, v3, v2 offset0:128 offset1:160
.LBB48_29:                              ;   in Loop: Header=BB48_26 Depth=2
	s_and_not1_b32 vcc_lo, exec_lo, s44
	s_cbranch_vccnz .LBB48_31
; %bb.30:                               ;   in Loop: Header=BB48_26 Depth=2
	s_wait_xcnt 0x0
	s_add_co_i32 s42, s40, 1
	s_mov_b32 s29, s39
	s_mov_b32 s43, s28
.LBB48_31:                              ;   in Loop: Header=BB48_26 Depth=2
	s_mov_b32 s44, 0
.LBB48_32:                              ;   in Loop: Header=BB48_26 Depth=2
	s_delay_alu instid0(SALU_CYCLE_1)
	s_and_not1_b32 vcc_lo, exec_lo, s44
	s_cbranch_vccnz .LBB48_34
; %bb.33:                               ;   in Loop: Header=BB48_26 Depth=2
	s_wait_xcnt 0x0
	s_add_co_i32 s43, s28, 1
	s_mov_b32 s42, s40
	s_mov_b32 s29, s39
.LBB48_34:                              ;   in Loop: Header=BB48_26 Depth=2
	s_cmp_le_i32 s43, s27
	s_cselect_b32 s28, -1, 0
	s_cmp_le_i32 s41, s26
	s_cselect_b32 s39, -1, 0
	s_delay_alu instid0(SALU_CYCLE_1) | instskip(NEXT) | instid1(SALU_CYCLE_1)
	s_and_b32 s28, s28, s39
	s_and_b32 vcc_lo, exec_lo, s28
	s_cbranch_vccz .LBB48_36
; %bb.35:                               ;   in Loop: Header=BB48_26 Depth=2
	s_mov_b32 s39, s29
	s_mov_b32 s28, s43
	;; [unrolled: 1-line block ×3, first 2 shown]
	s_branch .LBB48_26
.LBB48_36:                              ;   in Loop: Header=BB48_10 Depth=1
	s_add_nc_u64 s[24:25], s[10:11], s[24:25]
	s_wait_dscnt 0x0
.LBB48_37:                              ;   Parent Loop BB48_10 Depth=1
                                        ; =>  This Inner Loop Header: Depth=2
	global_load_b32 v2, v31, s[24:25] scope:SCOPE_DEV
	s_wait_loadcnt 0x0
	v_cmp_eq_u32_e32 vcc_lo, 0, v2
	s_cbranch_vccnz .LBB48_37
; %bb.38:                               ;   in Loop: Header=BB48_10 Depth=1
	global_inv scope:SCOPE_DEV
	s_wait_xcnt 0x0
	s_and_saveexec_b32 s24, s0
	s_cbranch_execz .LBB48_51
; %bb.39:                               ;   in Loop: Header=BB48_10 Depth=1
	s_mul_i32 s27, s27, s30
	s_delay_alu instid0(SALU_CYCLE_1) | instskip(SKIP_2) | instid1(VALU_DEP_2)
	v_dual_mov_b32 v6, v10 :: v_dual_add_nc_u32 v2, s27, v11
	v_mov_b32_e32 v5, v21
	s_mov_b32 s25, 0
	v_mul_lo_u32 v4, v2, s30
	s_branch .LBB48_41
.LBB48_40:                              ;   in Loop: Header=BB48_41 Depth=2
	s_wait_xcnt 0x0
	s_or_b32 exec_lo, exec_lo, s28
	v_add_nc_u32_e32 v6, 4, v6
	s_wait_loadcnt 0x0
	ds_store_b64 v5, v[2:3]
	v_add_nc_u32_e32 v5, 32, v5
	v_cmp_le_i32_e32 vcc_lo, s30, v6
	s_or_b32 s25, vcc_lo, s25
	s_delay_alu instid0(SALU_CYCLE_1)
	s_and_not1_b32 exec_lo, exec_lo, s25
	s_cbranch_execz .LBB48_51
.LBB48_41:                              ;   Parent Loop BB48_10 Depth=1
                                        ; =>  This Inner Loop Header: Depth=2
	s_and_b32 vcc_lo, exec_lo, s34
	s_cbranch_vccz .LBB48_48
; %bb.42:                               ;   in Loop: Header=BB48_41 Depth=2
	s_mov_b32 s28, 0
	s_mov_b32 s26, 0
                                        ; implicit-def: $vgpr7
	s_and_saveexec_b32 s39, s1
	s_delay_alu instid0(SALU_CYCLE_1)
	s_xor_b32 s39, exec_lo, s39
; %bb.43:                               ;   in Loop: Header=BB48_41 Depth=2
	v_add_nc_u32_e32 v2, s27, v6
	s_mov_b32 s26, exec_lo
	s_delay_alu instid0(VALU_DEP_1)
	v_mad_u32 v7, v2, s30, v11
; %bb.44:                               ;   in Loop: Header=BB48_41 Depth=2
	s_or_b32 exec_lo, exec_lo, s39
	s_delay_alu instid0(SALU_CYCLE_1)
	s_and_b32 vcc_lo, exec_lo, s28
	s_cbranch_vccz .LBB48_49
.LBB48_45:                              ;   in Loop: Header=BB48_41 Depth=2
                                        ; implicit-def: $vgpr7
	s_and_saveexec_b32 s28, s1
; %bb.46:                               ;   in Loop: Header=BB48_41 Depth=2
	s_delay_alu instid0(VALU_DEP_1)
	v_add_nc_u32_e32 v7, v4, v6
	s_or_b32 s26, s26, exec_lo
; %bb.47:                               ;   in Loop: Header=BB48_41 Depth=2
	s_or_b32 exec_lo, exec_lo, s28
	v_dual_mov_b32 v2, 0 :: v_dual_mov_b32 v3, 0
	s_and_saveexec_b32 s28, s26
	s_cbranch_execz .LBB48_40
	s_branch .LBB48_50
.LBB48_48:                              ;   in Loop: Header=BB48_41 Depth=2
	s_mov_b32 s26, 0
                                        ; implicit-def: $vgpr7
	s_cbranch_execnz .LBB48_45
.LBB48_49:                              ;   in Loop: Header=BB48_41 Depth=2
	v_dual_mov_b32 v2, 0 :: v_dual_mov_b32 v3, 0
	s_and_saveexec_b32 s28, s26
	s_cbranch_execz .LBB48_40
.LBB48_50:                              ;   in Loop: Header=BB48_41 Depth=2
	global_load_b64 v[2:3], v7, s[20:21] scale_offset
	s_branch .LBB48_40
.LBB48_51:                              ;   in Loop: Header=BB48_10 Depth=1
	s_or_b32 exec_lo, exec_lo, s24
	s_cmp_lt_i32 s29, 2
	s_cbranch_scc1 .LBB48_67
; %bb.52:                               ;   in Loop: Header=BB48_10 Depth=1
	s_add_co_i32 s24, s29, -2
	s_mov_b32 s25, 0
	s_branch .LBB48_54
.LBB48_53:                              ;   in Loop: Header=BB48_54 Depth=2
	s_or_b32 exec_lo, exec_lo, s26
	s_add_co_i32 s26, s25, 1
	s_cmp_eq_u32 s25, s24
	s_mov_b32 s25, s26
	s_cbranch_scc1 .LBB48_67
.LBB48_54:                              ;   Parent Loop BB48_10 Depth=1
                                        ; =>  This Loop Header: Depth=2
                                        ;       Child Loop BB48_56 Depth 3
	s_and_saveexec_b32 s26, s0
	s_cbranch_execz .LBB48_53
; %bb.55:                               ;   in Loop: Header=BB48_54 Depth=2
	s_lshl_b32 s27, s25, 2
	v_mov_b32_e32 v34, v10
	v_add_nc_u32_e64 v2, 0x2000, s27
	s_mov_b32 s27, 0
	ds_load_2addr_b32 v[2:3], v2 offset0:128 offset1:160
	s_wait_dscnt 0x0
	v_dual_add_nc_u32 v8, v3, v19 :: v_dual_add_nc_u32 v32, v10, v2
	v_dual_add_nc_u32 v9, v11, v3 :: v_dual_add_nc_u32 v33, v24, v2
.LBB48_56:                              ;   Parent Loop BB48_10 Depth=1
                                        ;     Parent Loop BB48_54 Depth=2
                                        ; =>    This Inner Loop Header: Depth=3
	v_mov_b64_e32 v[2:3], 0
	s_delay_alu instid0(VALU_DEP_2)
	v_dual_mov_b32 v35, v32 :: v_dual_mov_b32 v36, v9
	s_mov_b32 s28, 0
	s_and_b32 vcc_lo, exec_lo, s34
	s_cbranch_vccnz .LBB48_59
	s_branch .LBB48_58
.LBB48_57:                              ;   in Loop: Header=BB48_56 Depth=3
	v_mov_b64_e32 v[2:3], v[4:5]
	s_and_b32 vcc_lo, exec_lo, s34
	s_cbranch_vccnz .LBB48_59
.LBB48_58:                              ;   in Loop: Header=BB48_56 Depth=3
                                        ; implicit-def: $vgpr4_vgpr5
	s_cbranch_execz .LBB48_65
	s_branch .LBB48_62
.LBB48_59:                              ;   in Loop: Header=BB48_56 Depth=3
	global_load_b64 v[4:5], v35, s[20:21] scale_offset
	v_dual_mov_b32 v6, 0 :: v_dual_mov_b32 v7, 0
	s_wait_xcnt 0x0
	s_and_saveexec_b32 s29, s1
	s_cbranch_execz .LBB48_61
; %bb.60:                               ;   in Loop: Header=BB48_56 Depth=3
	global_load_b64 v[6:7], v36, s[20:21] scale_offset
.LBB48_61:                              ;   in Loop: Header=BB48_56 Depth=3
	s_wait_xcnt 0x0
	s_or_b32 exec_lo, exec_lo, s29
	s_wait_loadcnt 0x0
	v_pk_add_f32 v[40:41], v[6:7], 0 neg_lo:[1,1] neg_hi:[1,1]
	v_pk_fma_f32 v[38:39], v[4:5], v[6:7], v[2:3] op_sel_hi:[1,0,1]
	v_mov_b32_e32 v40, v7
	s_delay_alu instid0(VALU_DEP_1)
	v_pk_fma_f32 v[4:5], v[4:5], v[40:41], v[38:39] op_sel:[1,0,0] op_sel_hi:[0,1,1]
	s_branch .LBB48_65
.LBB48_62:                              ;   in Loop: Header=BB48_56 Depth=3
	v_dual_add_nc_u32 v4, s28, v33 :: v_dual_mov_b32 v6, 0
	v_mov_b32_e32 v7, 0
	global_load_b64 v[4:5], v4, s[20:21] scale_offset
	s_wait_xcnt 0x0
	s_and_saveexec_b32 s29, s1
	s_cbranch_execz .LBB48_64
; %bb.63:                               ;   in Loop: Header=BB48_56 Depth=3
	v_add_nc_u32_e32 v6, s28, v8
	global_load_b64 v[6:7], v6, s[20:21] scale_offset
.LBB48_64:                              ;   in Loop: Header=BB48_56 Depth=3
	s_wait_xcnt 0x0
	s_or_b32 exec_lo, exec_lo, s29
	s_wait_loadcnt 0x0
	v_pk_add_f32 v[38:39], v[6:7], 0 neg_lo:[1,1] neg_hi:[1,1]
	v_pk_fma_f32 v[2:3], v[4:5], v[6:7], v[2:3] op_sel_hi:[1,0,1]
	v_mov_b32_e32 v38, v7
	s_delay_alu instid0(VALU_DEP_1)
	v_pk_fma_f32 v[4:5], v[4:5], v[38:39], v[2:3] op_sel:[1,0,0] op_sel_hi:[0,1,1]
.LBB48_65:                              ;   in Loop: Header=BB48_56 Depth=3
	v_dual_add_nc_u32 v36, s30, v36 :: v_dual_add_nc_u32 v35, s30, v35
	s_add_co_i32 s28, s28, 1
	s_delay_alu instid0(SALU_CYCLE_1)
	s_cmp_eq_u32 s30, s28
	s_cbranch_scc0 .LBB48_57
; %bb.66:                               ;   in Loop: Header=BB48_56 Depth=3
	v_lshl_add_u32 v6, v34, 3, v17
	v_dual_add_nc_u32 v34, 4, v34 :: v_dual_add_nc_u32 v32, 4, v32
	v_add_nc_u32_e32 v33, s37, v33
	ds_load_b64 v[2:3], v6
	v_cmp_le_i32_e32 vcc_lo, s30, v34
	s_or_b32 s27, vcc_lo, s27
	s_wait_dscnt 0x0
	v_pk_add_f32 v[2:3], v[4:5], v[2:3]
	ds_store_b64 v6, v[2:3]
	s_and_not1_b32 exec_lo, exec_lo, s27
	s_cbranch_execnz .LBB48_56
	s_branch .LBB48_53
.LBB48_67:                              ;   in Loop: Header=BB48_10 Depth=1
	s_and_not1_b32 vcc_lo, exec_lo, s35
	s_wait_loadcnt_dscnt 0x0
	s_cbranch_vccnz .LBB48_86
; %bb.68:                               ;   in Loop: Header=BB48_10 Depth=1
	v_mov_b32_e32 v32, v26
	s_mov_b32 s24, 0
	s_mov_b32 s25, 0
	;; [unrolled: 1-line block ×3, first 2 shown]
	s_branch .LBB48_70
.LBB48_69:                              ;   in Loop: Header=BB48_70 Depth=2
	s_or_b32 exec_lo, exec_lo, s27
	v_add_nc_u32_e32 v32, 8, v32
	s_add_co_i32 s26, s26, 1
	s_addk_co_i32 s25, 0x88
	s_add_co_i32 s24, s24, 8
	s_cmp_eq_u32 s26, s30
	s_wait_dscnt 0x0
	s_cbranch_scc1 .LBB48_86
.LBB48_70:                              ;   Parent Loop BB48_10 Depth=1
                                        ; =>  This Loop Header: Depth=2
                                        ;       Child Loop BB48_75 Depth 3
                                        ;       Child Loop BB48_79 Depth 3
	;; [unrolled: 1-line block ×3, first 2 shown]
	s_lshl_b32 s27, s26, 3
	s_mul_i32 s28, s26, 0x88
	v_add_nc_u32_e32 v5, s27, v16
	s_add_co_i32 s28, s28, s27
	s_delay_alu instid0(SALU_CYCLE_1)
	v_mov_b32_e32 v2, s28
	ds_load_b64 v[2:3], v2
	s_wait_dscnt 0x0
	v_readfirstlane_b32 s28, v2
	v_readfirstlane_b32 s27, v3
	ds_load_b64 v[2:3], v5
	s_cmp_neq_f32 s28, 0
	s_cselect_b32 s29, -1, 0
	s_cmp_neq_f32 s27, 0
	s_cselect_b32 s39, -1, 0
	s_delay_alu instid0(SALU_CYCLE_1) | instskip(NEXT) | instid1(SALU_CYCLE_1)
	s_or_b32 s29, s29, s39
	s_nor_b32 s39, s29, s2
	s_and_b32 s29, s29, exec_lo
	s_cselect_b32 s28, s28, 1.0
	s_cselect_b32 s27, s27, 0
	s_delay_alu instid0(SALU_CYCLE_1)
	v_dual_mov_b32 v4, s28 :: v_dual_mov_b32 v6, s27
	s_and_saveexec_b32 s27, s39
	s_cbranch_execz .LBB48_74
; %bb.71:                               ;   in Loop: Header=BB48_70 Depth=2
	v_mbcnt_lo_u32_b32 v4, exec_lo, 0
	s_mov_b32 s28, exec_lo
	s_delay_alu instid0(VALU_DEP_1)
	v_cmpx_eq_u32_e32 0, v4
	s_cbranch_execz .LBB48_73
; %bb.72:                               ;   in Loop: Header=BB48_70 Depth=2
	v_mov_b32_e32 v4, s38
	global_atomic_min_i32 v31, v4, s[14:15] scope:SCOPE_DEV
.LBB48_73:                              ;   in Loop: Header=BB48_70 Depth=2
	s_wait_xcnt 0x0
	s_or_b32 exec_lo, exec_lo, s28
	v_dual_mov_b32 v6, 0 :: v_dual_mov_b32 v4, 1.0
.LBB48_74:                              ;   in Loop: Header=BB48_70 Depth=2
	s_or_b32 exec_lo, exec_lo, s27
	v_lshl_add_u32 v7, s26, 3, v17
	s_cmp_eq_u32 s26, 0
	s_mov_b32 s27, s25
	s_mov_b32 s28, s26
	ds_load_b64 v[8:9], v7
	v_mov_b32_e32 v7, v16
	s_cbranch_scc1 .LBB48_76
.LBB48_75:                              ;   Parent Loop BB48_10 Depth=1
                                        ;     Parent Loop BB48_70 Depth=2
                                        ; =>    This Inner Loop Header: Depth=3
	v_mov_b32_e32 v33, s27
	s_add_co_i32 s28, s28, -1
	s_add_co_i32 s27, s27, 8
	s_cmp_eq_u32 s28, 0
	ds_load_b64 v[34:35], v7
	ds_load_b64 v[36:37], v33
	v_add_nc_u32_e32 v7, 8, v7
	s_wait_dscnt 0x0
	v_pk_fma_f32 v[8:9], v[36:37], v[34:35], v[8:9] op_sel_hi:[1,0,1]
	s_delay_alu instid0(VALU_DEP_1)
	v_pk_fma_f32 v[8:9], v[36:37], v[34:35], v[8:9] op_sel:[1,1,0] op_sel_hi:[0,1,1] neg_hi:[0,1,0]
	s_cbranch_scc0 .LBB48_75
.LBB48_76:                              ;   in Loop: Header=BB48_70 Depth=2
	v_mul_f32_e32 v33, v6, v6
	s_wait_dscnt 0x0
	s_delay_alu instid0(VALU_DEP_2) | instskip(NEXT) | instid1(VALU_DEP_2)
	v_pk_add_f32 v[2:3], v[2:3], v[8:9] neg_lo:[0,1] neg_hi:[0,1]
	v_fmac_f32_e32 v33, v4, v4
	s_delay_alu instid0(VALU_DEP_1) | instskip(NEXT) | instid1(VALU_DEP_1)
	v_div_scale_f32 v7, null, v33, v33, 1.0
	v_rcp_f32_e32 v34, v7
	v_nop
	s_delay_alu instid0(TRANS32_DEP_1) | instskip(NEXT) | instid1(VALU_DEP_1)
	v_fma_f32 v35, -v7, v34, 1.0
	v_fmac_f32_e32 v34, v35, v34
	v_div_scale_f32 v36, vcc_lo, 1.0, v33, 1.0
	s_delay_alu instid0(VALU_DEP_1) | instskip(NEXT) | instid1(VALU_DEP_1)
	v_mul_f32_e32 v35, v36, v34
	v_fma_f32 v37, -v7, v35, v36
	s_delay_alu instid0(VALU_DEP_1) | instskip(NEXT) | instid1(VALU_DEP_1)
	v_fmac_f32_e32 v35, v37, v34
	v_fma_f32 v8, -v7, v35, v36
	v_pk_mul_f32 v[6:7], v[6:7], v[2:3] op_sel:[0,1] op_sel_hi:[0,0] neg_hi:[0,1]
	s_delay_alu instid0(VALU_DEP_2) | instskip(NEXT) | instid1(VALU_DEP_2)
	v_div_fmas_f32 v8, v8, v34, v35
	v_pk_fma_f32 v[2:3], v[2:3], v[4:5], v[6:7] op_sel_hi:[1,0,1]
	s_delay_alu instid0(VALU_DEP_2) | instskip(NEXT) | instid1(VALU_DEP_1)
	v_div_fixup_f32 v4, v8, v33, 1.0
	v_pk_mul_f32 v[2:3], v[4:5], v[2:3] op_sel_hi:[0,1]
	ds_store_b64 v5, v[2:3]
	s_wait_storecnt_dscnt 0x0
	s_and_saveexec_b32 s27, s0
	s_cbranch_execz .LBB48_69
; %bb.77:                               ;   in Loop: Header=BB48_70 Depth=2
	v_dual_mov_b32 v4, v10 :: v_dual_mov_b32 v5, v18
	v_mov_b32_e32 v6, v25
	s_mov_b32 s29, -1
	s_and_saveexec_b32 s28, s3
	s_cbranch_execz .LBB48_83
; %bb.78:                               ;   in Loop: Header=BB48_70 Depth=2
	v_dual_mov_b32 v4, v2 :: v_dual_mov_b32 v5, v2
	v_dual_mov_b32 v6, v3 :: v_dual_mov_b32 v7, v3
	;; [unrolled: 1-line block ×3, first 2 shown]
	v_mov_b32_e32 v33, v32
	s_mov_b32 s29, 0
.LBB48_79:                              ;   Parent Loop BB48_10 Depth=1
                                        ;     Parent Loop BB48_70 Depth=2
                                        ; =>    This Inner Loop Header: Depth=3
	ds_load_2addr_b64 v[34:37], v33 offset1:68
	ds_load_2addr_b64 v[38:41], v9 offset1:4
	s_wait_dscnt 0x1
	v_dual_mov_b32 v42, v34 :: v_dual_add_nc_u32 v33, 0x440, v33
	s_wait_dscnt 0x0
	v_dual_mov_b32 v43, v36 :: v_dual_mov_b32 v44, v38
	v_dual_mov_b32 v45, v40 :: v_dual_mov_b32 v40, v39
	v_mov_b32_e32 v36, v35
	s_delay_alu instid0(VALU_DEP_2) | instskip(NEXT) | instid1(VALU_DEP_3)
	v_pk_fma_f32 v[34:35], v[4:5], v[42:43], v[44:45]
	v_pk_fma_f32 v[38:39], v[6:7], v[42:43], v[40:41]
	s_delay_alu instid0(VALU_DEP_2) | instskip(NEXT) | instid1(VALU_DEP_2)
	v_pk_fma_f32 v[34:35], v[6:7], v[36:37], v[34:35]
	v_pk_fma_f32 v[36:37], v[4:5], v[36:37], v[38:39] neg_lo:[0,1,0] neg_hi:[0,1,0]
	s_delay_alu instid0(VALU_DEP_2) | instskip(NEXT) | instid1(VALU_DEP_2)
	v_dual_add_nc_u32 v8, -2, v8 :: v_dual_mov_b32 v38, v34
	v_dual_mov_b32 v39, v36 :: v_dual_mov_b32 v36, v35
	s_delay_alu instid0(VALU_DEP_2) | instskip(SKIP_3) | instid1(SALU_CYCLE_1)
	v_cmp_eq_u32_e32 vcc_lo, 0, v8
	ds_store_2addr_b64 v9, v[38:39], v[36:37] offset1:4
	v_add_nc_u32_e32 v9, 64, v9
	s_or_b32 s29, vcc_lo, s29
	s_and_not1_b32 exec_lo, exec_lo, s29
	s_cbranch_execnz .LBB48_79
; %bb.80:                               ;   in Loop: Header=BB48_70 Depth=2
	s_or_b32 exec_lo, exec_lo, s29
	s_mov_b32 s29, 0
                                        ; implicit-def: $vgpr5
                                        ; implicit-def: $vgpr6
	s_and_saveexec_b32 s39, s4
; %bb.81:                               ;   in Loop: Header=BB48_70 Depth=2
	v_mul_lo_u32 v6, 0x88, v22
	v_lshlrev_b32_e32 v5, 3, v22
	s_mov_b32 s29, exec_lo
; %bb.82:                               ;   in Loop: Header=BB48_70 Depth=2
	s_or_b32 exec_lo, exec_lo, s39
	v_mov_b32_e32 v4, v22
	s_or_not1_b32 s29, s29, exec_lo
.LBB48_83:                              ;   in Loop: Header=BB48_70 Depth=2
	s_or_b32 exec_lo, exec_lo, s28
	s_delay_alu instid0(SALU_CYCLE_1)
	s_and_b32 exec_lo, exec_lo, s29
	s_cbranch_execz .LBB48_69
; %bb.84:                               ;   in Loop: Header=BB48_70 Depth=2
	s_delay_alu instid0(VALU_DEP_1)
	v_dual_add_nc_u32 v5, v29, v5 :: v_dual_add_nc_u32 v6, s24, v6
	s_mov_b32 s28, 0
.LBB48_85:                              ;   Parent Loop BB48_10 Depth=1
                                        ;     Parent Loop BB48_70 Depth=2
                                        ; =>    This Inner Loop Header: Depth=3
	ds_load_b64 v[8:9], v6 offset:4352
	ds_load_b64 v[34:35], v5
	v_add_nc_u32_e32 v6, 0x220, v6
	s_wait_dscnt 0x0
	v_pk_fma_f32 v[34:35], v[2:3], v[8:9], v[34:35] op_sel_hi:[1,0,1]
	s_delay_alu instid0(VALU_DEP_1) | instskip(NEXT) | instid1(VALU_DEP_1)
	v_pk_fma_f32 v[8:9], v[2:3], v[8:9], v[34:35] op_sel:[0,1,1] op_sel_hi:[1,1,0] neg_lo:[0,1,0]
	v_dual_add_nc_u32 v4, 4, v4 :: v_dual_mov_b32 v34, v9
	s_delay_alu instid0(VALU_DEP_2) | instskip(NEXT) | instid1(VALU_DEP_2)
	v_mov_b32_e32 v35, v8
	v_cmp_le_i32_e32 vcc_lo, s30, v4
	ds_store_b64 v5, v[34:35]
	v_add_nc_u32_e32 v5, 32, v5
	s_or_b32 s28, vcc_lo, s28
	s_delay_alu instid0(SALU_CYCLE_1)
	s_and_not1_b32 exec_lo, exec_lo, s28
	s_cbranch_execnz .LBB48_85
	s_branch .LBB48_69
.LBB48_86:                              ;   in Loop: Header=BB48_10 Depth=1
	s_and_saveexec_b32 s24, s0
	s_cbranch_execz .LBB48_9
; %bb.87:                               ;   in Loop: Header=BB48_10 Depth=1
	v_dual_mov_b32 v2, v30 :: v_dual_mov_b32 v3, v10
	s_mov_b32 s25, 0
	s_branch .LBB48_91
.LBB48_88:                              ;   in Loop: Header=BB48_91 Depth=2
	v_add_nc_u32_e32 v4, v27, v3
.LBB48_89:                              ;   in Loop: Header=BB48_91 Depth=2
	ds_load_b64 v[6:7], v2
	s_wait_dscnt 0x0
	global_store_b64 v4, v[6:7], s[20:21] scale_offset
.LBB48_90:                              ;   in Loop: Header=BB48_91 Depth=2
	s_wait_xcnt 0x0
	s_or_b32 exec_lo, exec_lo, s26
	v_dual_add_nc_u32 v3, 4, v3 :: v_dual_add_nc_u32 v2, 32, v2
	s_delay_alu instid0(VALU_DEP_1) | instskip(SKIP_1) | instid1(SALU_CYCLE_1)
	v_cmp_le_i32_e32 vcc_lo, s30, v3
	s_or_b32 s25, vcc_lo, s25
	s_and_not1_b32 exec_lo, exec_lo, s25
	s_cbranch_execz .LBB48_9
.LBB48_91:                              ;   Parent Loop BB48_10 Depth=1
                                        ; =>  This Inner Loop Header: Depth=2
	s_and_saveexec_b32 s26, s1
	s_cbranch_execz .LBB48_90
; %bb.92:                               ;   in Loop: Header=BB48_91 Depth=2
	s_and_b32 vcc_lo, exec_lo, s34
	s_cbranch_vccz .LBB48_94
; %bb.93:                               ;   in Loop: Header=BB48_91 Depth=2
	v_add_nc_u32_e32 v4, s23, v3
	s_delay_alu instid0(VALU_DEP_1)
	v_mad_u32 v4, v4, s30, v11
	s_cbranch_execnz .LBB48_89
	s_branch .LBB48_88
.LBB48_94:                              ;   in Loop: Header=BB48_91 Depth=2
                                        ; implicit-def: $vgpr4
	s_branch .LBB48_88
.LBB48_95:                              ;   in Loop: Header=BB48_10 Depth=1
                                        ; implicit-def: $sgpr22
                                        ; implicit-def: $vgpr27
	s_cbranch_execz .LBB48_10
.LBB48_96:
	v_cmp_gt_i32_e64 s0, s30, v10
	s_and_saveexec_b32 s2, s0
	s_cbranch_execz .LBB48_109
; %bb.97:
	s_mul_i32 s3, s13, s30
	v_cmp_gt_i32_e64 s1, s30, v11
	v_dual_add_nc_u32 v0, s3, v11 :: v_dual_mov_b32 v4, v10
	s_cmp_lg_u32 s31, 0
	s_mov_b32 s4, 0
	s_cselect_b32 s8, -1, 0
	s_delay_alu instid0(VALU_DEP_1) | instskip(SKIP_1) | instid1(VALU_DEP_1)
	v_mul_lo_u32 v2, v0, s30
	v_lshlrev_b32_e32 v0, 3, v10
	v_add3_u32 v3, v12, v0, 0x1100
	s_branch .LBB48_99
.LBB48_98:                              ;   in Loop: Header=BB48_99 Depth=1
	s_wait_xcnt 0x0
	s_or_b32 exec_lo, exec_lo, s16
	v_add_nc_u32_e32 v4, 4, v4
	s_wait_loadcnt 0x0
	ds_store_b64 v3, v[0:1]
	v_add_nc_u32_e32 v3, 32, v3
	v_cmp_le_i32_e32 vcc_lo, s30, v4
	s_or_b32 s4, vcc_lo, s4
	s_delay_alu instid0(SALU_CYCLE_1)
	s_and_not1_b32 exec_lo, exec_lo, s4
	s_cbranch_execz .LBB48_109
.LBB48_99:                              ; =>This Inner Loop Header: Depth=1
	s_and_b32 vcc_lo, exec_lo, s8
	s_cbranch_vccz .LBB48_106
; %bb.100:                              ;   in Loop: Header=BB48_99 Depth=1
	s_mov_b32 s16, 0
	s_mov_b32 s9, 0
                                        ; implicit-def: $vgpr5
	s_and_saveexec_b32 s17, s1
	s_delay_alu instid0(SALU_CYCLE_1)
	s_xor_b32 s17, exec_lo, s17
; %bb.101:                              ;   in Loop: Header=BB48_99 Depth=1
	v_add_nc_u32_e32 v0, s3, v4
	s_mov_b32 s9, exec_lo
	s_delay_alu instid0(VALU_DEP_1)
	v_mad_u32 v5, v0, s30, v11
; %bb.102:                              ;   in Loop: Header=BB48_99 Depth=1
	s_or_b32 exec_lo, exec_lo, s17
	s_delay_alu instid0(SALU_CYCLE_1)
	s_and_b32 vcc_lo, exec_lo, s16
	s_cbranch_vccz .LBB48_107
.LBB48_103:                             ;   in Loop: Header=BB48_99 Depth=1
                                        ; implicit-def: $vgpr5
	s_and_saveexec_b32 s16, s1
; %bb.104:                              ;   in Loop: Header=BB48_99 Depth=1
	s_delay_alu instid0(VALU_DEP_3)
	v_add_nc_u32_e32 v5, v2, v4
	s_or_b32 s9, s9, exec_lo
; %bb.105:                              ;   in Loop: Header=BB48_99 Depth=1
	s_or_b32 exec_lo, exec_lo, s16
	v_dual_mov_b32 v0, 0 :: v_dual_mov_b32 v1, 0
	s_and_saveexec_b32 s16, s9
	s_cbranch_execz .LBB48_98
	s_branch .LBB48_108
.LBB48_106:                             ;   in Loop: Header=BB48_99 Depth=1
	s_mov_b32 s9, 0
                                        ; implicit-def: $vgpr5
	s_cbranch_execnz .LBB48_103
.LBB48_107:                             ;   in Loop: Header=BB48_99 Depth=1
	v_dual_mov_b32 v0, 0 :: v_dual_mov_b32 v1, 0
	s_and_saveexec_b32 s16, s9
	s_cbranch_execz .LBB48_98
.LBB48_108:                             ;   in Loop: Header=BB48_99 Depth=1
	global_load_b64 v[0:1], v5, s[20:21] scale_offset
	s_branch .LBB48_98
.LBB48_109:
	s_or_b32 exec_lo, exec_lo, s2
	s_cmp_lt_i32 s30, 1
	s_wait_loadcnt_dscnt 0x0
	s_cbranch_scc1 .LBB48_135
; %bb.110:
	s_movk_i32 s4, 0x88
	v_lshlrev_b32_e32 v2, 3, v11
	v_mad_u32_u24 v8, v11, s4, 0x1100
	v_lshrrev_b32_e32 v0, 2, v15
	s_movk_i32 s1, 0x1980
	v_cmp_lt_u32_e64 s2, 3, v15
	v_mad_u32_u24 v16, 0x88, v11, s1
	s_delay_alu instid0(VALU_DEP_3)
	v_dual_add_nc_u32 v18, v8, v2 :: v_dual_add_nc_u32 v0, 1, v0
	v_or_b32_e32 v1, v10, v11
	v_mad_u32_u24 v15, v10, s4, 0x1100
	v_add3_u32 v21, v12, v13, 0x1980
	s_mov_b32 s8, 0
	v_and_b32_e32 v9, 0x7ffffffe, v0
	v_cmp_ne_u32_e64 s1, 0, v1
	v_mov_b32_e32 v1, 0
	s_add_co_i32 s9, s12, s5
	s_mov_b32 s16, 0
	v_lshl_add_u32 v17, v9, 2, v10
	v_add_nc_u32_e32 v19, v16, v2
	v_cmp_ne_u32_e64 s3, v0, v9
	s_delay_alu instid0(VALU_DEP_3)
	v_mul_lo_u32 v20, 0x88, v17
	v_lshlrev_b32_e32 v22, 3, v17
	s_branch .LBB48_112
.LBB48_111:                             ;   in Loop: Header=BB48_112 Depth=1
	s_or_b32 exec_lo, exec_lo, s4
	v_add_nc_u32_e32 v15, 8, v15
	s_add_co_i32 s16, s16, 1
	s_add_co_i32 s8, s8, 8
	s_cmp_eq_u32 s16, s30
	s_wait_storecnt_dscnt 0x0
	s_cbranch_scc1 .LBB48_135
.LBB48_112:                             ; =>This Loop Header: Depth=1
                                        ;     Child Loop BB48_128 Depth 2
                                        ;     Child Loop BB48_134 Depth 2
	s_mov_b32 s17, exec_lo
	v_cmpx_eq_u32_e64 s16, v11
	s_cbranch_execz .LBB48_120
; %bb.113:                              ;   in Loop: Header=BB48_112 Depth=1
	ds_load_b64 v[2:3], v18
	ds_load_b64 v[4:5], v19
	s_mov_b32 s4, exec_lo
	s_wait_dscnt 0x0
	v_dual_sub_f32 v0, v2, v4 :: v_dual_sub_f32 v4, v3, v5
                                        ; implicit-def: $vgpr3
	s_delay_alu instid0(VALU_DEP_1) | instskip(SKIP_1) | instid1(VALU_DEP_3)
	v_cmp_gt_f32_e32 vcc_lo, 0, v0
	v_cndmask_b32_e64 v0, v0, -v0, vcc_lo
	v_cmp_gt_f32_e32 vcc_lo, 0, v4
	v_cndmask_b32_e64 v2, v4, -v4, vcc_lo
	s_delay_alu instid0(VALU_DEP_1)
	v_cmpx_ngt_f32_e32 v0, v2
	s_xor_b32 s18, exec_lo, s4
	s_cbranch_execz .LBB48_117
; %bb.114:                              ;   in Loop: Header=BB48_112 Depth=1
	v_mov_b32_e32 v3, 0
	s_mov_b32 s19, exec_lo
	v_cmpx_neq_f32_e32 0, v4
	s_cbranch_execz .LBB48_116
; %bb.115:                              ;   in Loop: Header=BB48_112 Depth=1
	v_div_scale_f32 v3, null, v2, v2, v0
	v_div_scale_f32 v6, vcc_lo, v0, v2, v0
	s_delay_alu instid0(VALU_DEP_2) | instskip(SKIP_1) | instid1(TRANS32_DEP_1)
	v_rcp_f32_e32 v4, v3
	v_nop
	v_fma_f32 v5, -v3, v4, 1.0
	s_delay_alu instid0(VALU_DEP_1) | instskip(NEXT) | instid1(VALU_DEP_1)
	v_fmac_f32_e32 v4, v5, v4
	v_mul_f32_e32 v5, v6, v4
	s_delay_alu instid0(VALU_DEP_1) | instskip(NEXT) | instid1(VALU_DEP_1)
	v_fma_f32 v7, -v3, v5, v6
	v_fmac_f32_e32 v5, v7, v4
	s_delay_alu instid0(VALU_DEP_1) | instskip(NEXT) | instid1(VALU_DEP_1)
	v_fma_f32 v3, -v3, v5, v6
	v_div_fmas_f32 v3, v3, v4, v5
	s_delay_alu instid0(VALU_DEP_1) | instskip(NEXT) | instid1(VALU_DEP_1)
	v_div_fixup_f32 v0, v3, v2, v0
	v_fma_f32 v0, v0, v0, 1.0
	s_delay_alu instid0(VALU_DEP_1) | instskip(SKIP_1) | instid1(VALU_DEP_2)
	v_mul_f32_e32 v3, 0x4f800000, v0
	v_cmp_gt_f32_e32 vcc_lo, 0xf800000, v0
	v_cndmask_b32_e32 v0, v0, v3, vcc_lo
	s_delay_alu instid0(VALU_DEP_1) | instskip(SKIP_1) | instid1(TRANS32_DEP_1)
	v_sqrt_f32_e32 v3, v0
	v_nop
	v_dual_add_nc_u32 v4, -1, v3 :: v_dual_add_nc_u32 v5, 1, v3
	s_delay_alu instid0(VALU_DEP_1) | instskip(NEXT) | instid1(VALU_DEP_1)
	v_fma_f32 v6, -v4, v3, v0
	v_cmp_ge_f32_e64 s4, 0, v6
	s_delay_alu instid0(VALU_DEP_1) | instskip(NEXT) | instid1(VALU_DEP_1)
	v_dual_fma_f32 v7, -v5, v3, v0 :: v_dual_cndmask_b32 v3, v3, v4, s4
	v_cmp_lt_f32_e64 s4, 0, v7
	s_delay_alu instid0(VALU_DEP_1) | instskip(NEXT) | instid1(VALU_DEP_1)
	v_cndmask_b32_e64 v3, v3, v5, s4
	v_mul_f32_e32 v4, 0x37800000, v3
	s_delay_alu instid0(VALU_DEP_1) | instskip(SKIP_1) | instid1(VALU_DEP_2)
	v_cndmask_b32_e32 v3, v3, v4, vcc_lo
	v_cmp_class_f32_e64 vcc_lo, v0, 0x260
	v_cndmask_b32_e32 v0, v3, v0, vcc_lo
	s_delay_alu instid0(VALU_DEP_1)
	v_mul_f32_e32 v3, v2, v0
.LBB48_116:                             ;   in Loop: Header=BB48_112 Depth=1
	s_or_b32 exec_lo, exec_lo, s19
                                        ; implicit-def: $vgpr0
                                        ; implicit-def: $vgpr2
.LBB48_117:                             ;   in Loop: Header=BB48_112 Depth=1
	s_and_not1_saveexec_b32 s18, s18
	s_cbranch_execz .LBB48_119
; %bb.118:                              ;   in Loop: Header=BB48_112 Depth=1
	v_div_scale_f32 v3, null, v0, v0, v2
	v_div_scale_f32 v6, vcc_lo, v2, v0, v2
	s_delay_alu instid0(VALU_DEP_2) | instskip(SKIP_1) | instid1(TRANS32_DEP_1)
	v_rcp_f32_e32 v4, v3
	v_nop
	v_fma_f32 v5, -v3, v4, 1.0
	s_delay_alu instid0(VALU_DEP_1) | instskip(NEXT) | instid1(VALU_DEP_1)
	v_fmac_f32_e32 v4, v5, v4
	v_mul_f32_e32 v5, v6, v4
	s_delay_alu instid0(VALU_DEP_1) | instskip(NEXT) | instid1(VALU_DEP_1)
	v_fma_f32 v7, -v3, v5, v6
	v_fmac_f32_e32 v5, v7, v4
	s_delay_alu instid0(VALU_DEP_1) | instskip(NEXT) | instid1(VALU_DEP_1)
	v_fma_f32 v3, -v3, v5, v6
	v_div_fmas_f32 v3, v3, v4, v5
	s_delay_alu instid0(VALU_DEP_1) | instskip(NEXT) | instid1(VALU_DEP_1)
	v_div_fixup_f32 v2, v3, v0, v2
	v_fma_f32 v2, v2, v2, 1.0
	s_delay_alu instid0(VALU_DEP_1) | instskip(SKIP_1) | instid1(VALU_DEP_2)
	v_mul_f32_e32 v3, 0x4f800000, v2
	v_cmp_gt_f32_e32 vcc_lo, 0xf800000, v2
	v_cndmask_b32_e32 v2, v2, v3, vcc_lo
	s_delay_alu instid0(VALU_DEP_1) | instskip(SKIP_1) | instid1(TRANS32_DEP_1)
	v_sqrt_f32_e32 v3, v2
	v_nop
	v_dual_add_nc_u32 v4, -1, v3 :: v_dual_add_nc_u32 v5, 1, v3
	s_delay_alu instid0(VALU_DEP_1) | instskip(NEXT) | instid1(VALU_DEP_1)
	v_fma_f32 v6, -v4, v3, v2
	v_cmp_ge_f32_e64 s4, 0, v6
	s_delay_alu instid0(VALU_DEP_1) | instskip(NEXT) | instid1(VALU_DEP_1)
	v_dual_fma_f32 v7, -v5, v3, v2 :: v_dual_cndmask_b32 v3, v3, v4, s4
	v_cmp_lt_f32_e64 s4, 0, v7
	s_delay_alu instid0(VALU_DEP_1) | instskip(NEXT) | instid1(VALU_DEP_1)
	v_cndmask_b32_e64 v3, v3, v5, s4
	v_mul_f32_e32 v4, 0x37800000, v3
	s_delay_alu instid0(VALU_DEP_1) | instskip(SKIP_1) | instid1(VALU_DEP_2)
	v_cndmask_b32_e32 v3, v3, v4, vcc_lo
	v_cmp_class_f32_e64 vcc_lo, v2, 0x260
	v_cndmask_b32_e32 v2, v3, v2, vcc_lo
	s_delay_alu instid0(VALU_DEP_1)
	v_mul_f32_e32 v3, v0, v2
.LBB48_119:                             ;   in Loop: Header=BB48_112 Depth=1
	s_or_b32 exec_lo, exec_lo, s18
	s_delay_alu instid0(VALU_DEP_1) | instskip(SKIP_1) | instid1(VALU_DEP_2)
	v_mul_f32_e32 v0, 0x4f800000, v3
	v_cmp_gt_f32_e32 vcc_lo, 0xf800000, v3
	v_cndmask_b32_e32 v0, v3, v0, vcc_lo
	s_delay_alu instid0(VALU_DEP_1) | instskip(SKIP_1) | instid1(TRANS32_DEP_1)
	v_sqrt_f32_e32 v2, v0
	v_nop
	v_dual_add_nc_u32 v3, -1, v2 :: v_dual_add_nc_u32 v4, 1, v2
	s_delay_alu instid0(VALU_DEP_1) | instskip(NEXT) | instid1(VALU_DEP_1)
	v_dual_fma_f32 v5, -v3, v2, v0 :: v_dual_fma_f32 v6, -v4, v2, v0
	v_cmp_ge_f32_e64 s4, 0, v5
	s_delay_alu instid0(VALU_DEP_1) | instskip(NEXT) | instid1(VALU_DEP_3)
	v_cndmask_b32_e64 v2, v2, v3, s4
	v_cmp_lt_f32_e64 s4, 0, v6
	s_delay_alu instid0(VALU_DEP_1) | instskip(NEXT) | instid1(VALU_DEP_1)
	v_cndmask_b32_e64 v2, v2, v4, s4
	v_mul_f32_e32 v3, 0x37800000, v2
	s_delay_alu instid0(VALU_DEP_1) | instskip(SKIP_1) | instid1(VALU_DEP_2)
	v_cndmask_b32_e32 v2, v2, v3, vcc_lo
	v_cmp_class_f32_e64 vcc_lo, v0, 0x260
	v_cndmask_b32_e32 v0, v2, v0, vcc_lo
	ds_store_b64 v18, v[0:1]
.LBB48_120:                             ;   in Loop: Header=BB48_112 Depth=1
	s_or_b32 exec_lo, exec_lo, s17
	s_lshl_b32 s4, s16, 3
	s_mul_i32 s17, s16, 0x88
	s_wait_dscnt 0x0
	s_add_co_i32 s17, s17, s4
	s_delay_alu instid0(SALU_CYCLE_1)
	v_dual_mov_b32 v0, s17 :: v_dual_add_nc_u32 v5, s4, v8
	ds_load_b64 v[2:3], v0 offset:4352
	s_wait_dscnt 0x0
	v_readfirstlane_b32 s17, v2
	v_readfirstlane_b32 s4, v3
	ds_load_b64 v[2:3], v5
	s_cmp_neq_f32 s17, 0
	s_cselect_b32 s18, -1, 0
	s_cmp_neq_f32 s4, 0
	s_cselect_b32 s19, -1, 0
	s_delay_alu instid0(SALU_CYCLE_1) | instskip(NEXT) | instid1(SALU_CYCLE_1)
	s_or_b32 s18, s18, s19
	s_nor_b32 s19, s18, s1
	s_and_b32 s18, s18, exec_lo
	s_cselect_b32 s4, s4, 0
	s_cselect_b32 s17, s17, 1.0
	s_delay_alu instid0(SALU_CYCLE_1)
	v_dual_mov_b32 v4, s4 :: v_dual_mov_b32 v0, s17
	s_and_saveexec_b32 s4, s19
	s_cbranch_execz .LBB48_124
; %bb.121:                              ;   in Loop: Header=BB48_112 Depth=1
	v_mbcnt_lo_u32_b32 v0, exec_lo, 0
	s_mov_b32 s17, exec_lo
	s_delay_alu instid0(VALU_DEP_1)
	v_cmpx_eq_u32_e32 0, v0
	s_cbranch_execz .LBB48_123
; %bb.122:                              ;   in Loop: Header=BB48_112 Depth=1
	v_mov_b32_e32 v0, s9
	global_atomic_min_i32 v1, v0, s[14:15] scope:SCOPE_DEV
.LBB48_123:                             ;   in Loop: Header=BB48_112 Depth=1
	s_wait_xcnt 0x0
	s_or_b32 exec_lo, exec_lo, s17
	v_dual_mov_b32 v0, 1.0 :: v_dual_mov_b32 v4, 0
.LBB48_124:                             ;   in Loop: Header=BB48_112 Depth=1
	s_or_b32 exec_lo, exec_lo, s4
	s_delay_alu instid0(SALU_CYCLE_1)
	s_mov_b32 s4, exec_lo
	v_cmpx_lt_u32_e64 s16, v11
	s_cbranch_execz .LBB48_111
; %bb.125:                              ;   in Loop: Header=BB48_112 Depth=1
	v_mul_f32_e32 v23, v4, v4
	v_lshl_add_u32 v6, s16, 3, v16
	s_wait_dscnt 0x0
	s_delay_alu instid0(VALU_DEP_2) | instskip(SKIP_2) | instid1(VALU_DEP_1)
	v_dual_mov_b32 v25, v2 :: v_dual_fmac_f32 v23, v0, v0
	ds_load_b64 v[6:7], v6
	v_div_scale_f32 v26, null, v23, v23, 1.0
	v_rcp_f32_e32 v27, v26
	v_nop
	s_delay_alu instid0(TRANS32_DEP_1) | instskip(NEXT) | instid1(VALU_DEP_1)
	v_fma_f32 v24, -v26, v27, 1.0
	v_dual_fmac_f32 v27, v24, v27 :: v_dual_mov_b32 v24, v3
	v_div_scale_f32 v28, vcc_lo, 1.0, v23, 1.0
	s_wait_dscnt 0x0
	s_delay_alu instid0(VALU_DEP_2) | instskip(NEXT) | instid1(VALU_DEP_2)
	v_pk_add_f32 v[2:3], v[24:25], v[6:7] op_sel:[0,1] op_sel_hi:[1,0] neg_lo:[0,1] neg_hi:[0,1]
	v_mul_f32_e32 v29, v28, v27
	s_delay_alu instid0(VALU_DEP_2) | instskip(NEXT) | instid1(VALU_DEP_2)
	v_pk_mul_f32 v[6:7], v[4:5], v[2:3] op_sel:[0,1] op_sel_hi:[0,0] neg_lo:[0,1]
	v_fma_f32 v30, -v26, v29, v28
	s_delay_alu instid0(VALU_DEP_2) | instskip(NEXT) | instid1(VALU_DEP_2)
	v_pk_fma_f32 v[2:3], v[2:3], v[0:1], v[6:7] op_sel_hi:[1,0,1]
	v_fmac_f32_e32 v29, v30, v27
	s_delay_alu instid0(VALU_DEP_1) | instskip(NEXT) | instid1(VALU_DEP_1)
	v_fma_f32 v24, -v26, v29, v28
	v_div_fmas_f32 v4, v24, v27, v29
	s_delay_alu instid0(VALU_DEP_1) | instskip(NEXT) | instid1(VALU_DEP_1)
	v_div_fixup_f32 v0, v4, v23, 1.0
	v_pk_mul_f32 v[2:3], v[0:1], v[2:3] op_sel_hi:[0,1]
	s_delay_alu instid0(VALU_DEP_1)
	v_dual_mov_b32 v6, v3 :: v_dual_mov_b32 v7, v2
	ds_store_b64 v5, v[6:7]
	s_wait_storecnt_dscnt 0x0
	s_and_b32 exec_lo, exec_lo, s0
	s_cbranch_execz .LBB48_111
; %bb.126:                              ;   in Loop: Header=BB48_112 Depth=1
	v_dual_mov_b32 v0, v10 :: v_dual_mov_b32 v6, v13
	v_mov_b32_e32 v7, v14
	s_mov_b32 s18, -1
	s_and_saveexec_b32 s17, s2
	s_cbranch_execz .LBB48_132
; %bb.127:                              ;   in Loop: Header=BB48_112 Depth=1
	v_dual_mov_b32 v4, v3 :: v_dual_mov_b32 v5, v3
	v_dual_mov_b32 v6, v2 :: v_dual_mov_b32 v7, v2
	;; [unrolled: 1-line block ×3, first 2 shown]
	v_mov_b32_e32 v24, v15
	s_mov_b32 s18, 0
.LBB48_128:                             ;   Parent Loop BB48_112 Depth=1
                                        ; =>  This Inner Loop Header: Depth=2
	ds_load_2addr_b64 v[26:29], v24 offset1:68
	ds_load_2addr_b64 v[30:33], v23 offset1:4
	v_add_nc_u32_e32 v24, 0x440, v24
	s_wait_dscnt 0x1
	v_dual_mov_b32 v34, v26 :: v_dual_mov_b32 v35, v28
	s_wait_dscnt 0x0
	v_dual_mov_b32 v36, v30 :: v_dual_mov_b32 v37, v32
	v_dual_mov_b32 v32, v31 :: v_dual_mov_b32 v28, v27
	s_delay_alu instid0(VALU_DEP_2) | instskip(NEXT) | instid1(VALU_DEP_2)
	v_pk_fma_f32 v[26:27], v[4:5], v[34:35], v[36:37]
	v_pk_fma_f32 v[30:31], v[6:7], v[34:35], v[32:33]
	s_delay_alu instid0(VALU_DEP_2) | instskip(NEXT) | instid1(VALU_DEP_2)
	v_pk_fma_f32 v[26:27], v[6:7], v[28:29], v[26:27]
	v_pk_fma_f32 v[28:29], v[4:5], v[28:29], v[30:31] neg_lo:[0,1,0] neg_hi:[0,1,0]
	s_delay_alu instid0(VALU_DEP_2) | instskip(NEXT) | instid1(VALU_DEP_2)
	v_dual_add_nc_u32 v0, -2, v0 :: v_dual_mov_b32 v30, v26
	v_dual_mov_b32 v31, v28 :: v_dual_mov_b32 v28, v27
	s_delay_alu instid0(VALU_DEP_2) | instskip(SKIP_3) | instid1(SALU_CYCLE_1)
	v_cmp_eq_u32_e32 vcc_lo, 0, v0
	ds_store_2addr_b64 v23, v[30:31], v[28:29] offset1:4
	v_add_nc_u32_e32 v23, 64, v23
	s_or_b32 s18, vcc_lo, s18
	s_and_not1_b32 exec_lo, exec_lo, s18
	s_cbranch_execnz .LBB48_128
; %bb.129:                              ;   in Loop: Header=BB48_112 Depth=1
	s_or_b32 exec_lo, exec_lo, s18
	s_mov_b32 s18, 0
	s_and_saveexec_b32 s19, s3
; %bb.130:                              ;   in Loop: Header=BB48_112 Depth=1
	s_mov_b32 s18, exec_lo
; %bb.131:                              ;   in Loop: Header=BB48_112 Depth=1
	s_or_b32 exec_lo, exec_lo, s19
	v_dual_mov_b32 v0, v17 :: v_dual_mov_b32 v6, v22
	v_mov_b32_e32 v7, v20
	s_or_not1_b32 s18, s18, exec_lo
.LBB48_132:                             ;   in Loop: Header=BB48_112 Depth=1
	s_or_b32 exec_lo, exec_lo, s17
	s_delay_alu instid0(SALU_CYCLE_1)
	s_and_b32 exec_lo, exec_lo, s18
	s_cbranch_execz .LBB48_111
; %bb.133:                              ;   in Loop: Header=BB48_112 Depth=1
	v_dual_mov_b32 v4, v3 :: v_dual_mov_b32 v5, v2
	v_dual_add_nc_u32 v6, v16, v6 :: v_dual_add_nc_u32 v7, s8, v7
	s_mov_b32 s17, 0
.LBB48_134:                             ;   Parent Loop BB48_112 Depth=1
                                        ; =>  This Inner Loop Header: Depth=2
	ds_load_b64 v[24:25], v7 offset:4352
	ds_load_b64 v[26:27], v6
	v_add_nc_u32_e32 v0, 4, v0
	v_add_nc_u32_e32 v7, 0x220, v7
	s_wait_dscnt 0x0
	v_pk_fma_f32 v[26:27], v[4:5], v[24:25], v[26:27] op_sel_hi:[1,0,1]
	s_delay_alu instid0(VALU_DEP_1) | instskip(SKIP_4) | instid1(SALU_CYCLE_1)
	v_pk_fma_f32 v[24:25], v[2:3], v[24:25], v[26:27] op_sel:[0,1,0] neg_hi:[0,1,0]
	ds_store_b64 v6, v[24:25]
	v_add_nc_u32_e32 v6, 32, v6
	v_cmp_le_i32_e32 vcc_lo, s30, v0
	s_or_b32 s17, vcc_lo, s17
	s_and_not1_b32 exec_lo, exec_lo, s17
	s_cbranch_execnz .LBB48_134
	s_branch .LBB48_111
.LBB48_135:
	s_and_saveexec_b32 s1, s0
	s_cbranch_execz .LBB48_144
; %bb.136:
	s_mul_i32 s13, s13, s30
	v_cmp_gt_i32_e64 s0, s30, v11
	v_dual_add_nc_u32 v0, s13, v11 :: v_dual_mov_b32 v2, v10
	v_add3_u32 v1, v12, v13, 0x1100
	s_cmp_lg_u32 s31, 0
	s_mov_b32 s2, 0
	s_delay_alu instid0(VALU_DEP_2)
	v_mul_lo_u32 v0, v0, s30
	s_cselect_b32 s3, -1, 0
	s_branch .LBB48_140
.LBB48_137:                             ;   in Loop: Header=BB48_140 Depth=1
	s_delay_alu instid0(VALU_DEP_1)
	v_add_nc_u32_e32 v3, v0, v2
.LBB48_138:                             ;   in Loop: Header=BB48_140 Depth=1
	ds_load_b64 v[4:5], v1
	s_wait_dscnt 0x0
	global_store_b64 v3, v[4:5], s[20:21] scale_offset
.LBB48_139:                             ;   in Loop: Header=BB48_140 Depth=1
	s_wait_xcnt 0x0
	s_or_b32 exec_lo, exec_lo, s4
	v_dual_add_nc_u32 v2, 4, v2 :: v_dual_add_nc_u32 v1, 32, v1
	s_delay_alu instid0(VALU_DEP_1) | instskip(SKIP_1) | instid1(SALU_CYCLE_1)
	v_cmp_le_i32_e32 vcc_lo, s30, v2
	s_or_b32 s2, vcc_lo, s2
	s_and_not1_b32 exec_lo, exec_lo, s2
	s_cbranch_execz .LBB48_144
.LBB48_140:                             ; =>This Inner Loop Header: Depth=1
	s_and_saveexec_b32 s4, s0
	s_cbranch_execz .LBB48_139
; %bb.141:                              ;   in Loop: Header=BB48_140 Depth=1
	s_and_b32 vcc_lo, exec_lo, s3
	s_cbranch_vccz .LBB48_143
; %bb.142:                              ;   in Loop: Header=BB48_140 Depth=1
	v_add_nc_u32_e32 v3, s13, v2
	s_delay_alu instid0(VALU_DEP_1)
	v_mad_u32 v3, v3, s30, v11
	s_cbranch_execnz .LBB48_138
	s_branch .LBB48_137
.LBB48_143:                             ;   in Loop: Header=BB48_140 Depth=1
                                        ; implicit-def: $vgpr3
	s_branch .LBB48_137
.LBB48_144:
	s_or_b32 exec_lo, exec_lo, s1
	v_or_b32_e32 v0, v10, v11
	s_mov_b32 s0, 0
	s_mov_b32 s1, exec_lo
	s_delay_alu instid0(VALU_DEP_1)
	v_cmpx_eq_u32_e32 0, v0
	s_cbranch_execz .LBB48_146
; %bb.145:
	v_dual_mov_b32 v0, 0 :: v_dual_mov_b32 v1, 1
	s_add_nc_u64 s[2:3], s[10:11], s[6:7]
	global_wb scope:SCOPE_DEV
	s_wait_storecnt 0x0
	global_store_b32 v0, v1, s[2:3] scope:SCOPE_DEV
.LBB48_146:
	s_wait_xcnt 0x0
	s_or_b32 exec_lo, exec_lo, s1
	s_delay_alu instid0(SALU_CYCLE_1)
	s_and_b32 vcc_lo, exec_lo, s0
	s_cbranch_vccnz .LBB48_149
.LBB48_147:
	s_endpgm
.LBB48_148:
	s_cbranch_execz .LBB48_147
.LBB48_149:
	v_or_b32_e32 v0, v10, v11
	s_mov_b32 s0, exec_lo
	s_delay_alu instid0(VALU_DEP_1)
	v_cmpx_eq_u32_e32 0, v0
	s_cbranch_execz .LBB48_147
; %bb.150:
	v_mbcnt_lo_u32_b32 v0, exec_lo, 0
	s_mov_b32 s0, exec_lo
	s_delay_alu instid0(VALU_DEP_1)
	v_cmpx_eq_u32_e32 0, v0
	s_cbranch_execz .LBB48_152
; %bb.151:
	s_add_co_i32 s1, s12, s5
	s_delay_alu instid0(SALU_CYCLE_1)
	v_dual_mov_b32 v0, 0 :: v_dual_mov_b32 v1, s1
	global_atomic_min_i32 v0, v1, s[14:15] scope:SCOPE_DEV
.LBB48_152:
	s_wait_xcnt 0x0
	s_or_b32 exec_lo, exec_lo, s0
	v_dual_mov_b32 v0, 0 :: v_dual_mov_b32 v1, 1
	s_add_nc_u64 s[0:1], s[10:11], s[6:7]
	global_wb scope:SCOPE_DEV
	s_wait_storecnt 0x0
	global_store_b32 v0, v1, s[0:1] scope:SCOPE_DEV
	s_endpgm
	.section	.rodata,"a",@progbits
	.p2align	6, 0x0
	.amdhsa_kernel _ZN9rocsparseL18bsric0_9_16_kernelILi64ELi32ELi16E21rocsparse_complex_numIfEEEv20rocsparse_direction_iiPKiS5_PT2_S5_PiS5_S8_21rocsparse_index_base_
		.amdhsa_group_segment_fixed_size 9088
		.amdhsa_private_segment_fixed_size 0
		.amdhsa_kernarg_size 76
		.amdhsa_user_sgpr_count 2
		.amdhsa_user_sgpr_dispatch_ptr 0
		.amdhsa_user_sgpr_queue_ptr 0
		.amdhsa_user_sgpr_kernarg_segment_ptr 1
		.amdhsa_user_sgpr_dispatch_id 0
		.amdhsa_user_sgpr_kernarg_preload_length 0
		.amdhsa_user_sgpr_kernarg_preload_offset 0
		.amdhsa_user_sgpr_private_segment_size 0
		.amdhsa_wavefront_size32 1
		.amdhsa_uses_dynamic_stack 0
		.amdhsa_enable_private_segment 0
		.amdhsa_system_sgpr_workgroup_id_x 1
		.amdhsa_system_sgpr_workgroup_id_y 0
		.amdhsa_system_sgpr_workgroup_id_z 0
		.amdhsa_system_sgpr_workgroup_info 0
		.amdhsa_system_vgpr_workitem_id 1
		.amdhsa_next_free_vgpr 97
		.amdhsa_next_free_sgpr 46
		.amdhsa_named_barrier_count 0
		.amdhsa_reserve_vcc 1
		.amdhsa_float_round_mode_32 0
		.amdhsa_float_round_mode_16_64 0
		.amdhsa_float_denorm_mode_32 3
		.amdhsa_float_denorm_mode_16_64 3
		.amdhsa_fp16_overflow 0
		.amdhsa_memory_ordered 1
		.amdhsa_forward_progress 1
		.amdhsa_inst_pref_size 45
		.amdhsa_round_robin_scheduling 0
		.amdhsa_exception_fp_ieee_invalid_op 0
		.amdhsa_exception_fp_denorm_src 0
		.amdhsa_exception_fp_ieee_div_zero 0
		.amdhsa_exception_fp_ieee_overflow 0
		.amdhsa_exception_fp_ieee_underflow 0
		.amdhsa_exception_fp_ieee_inexact 0
		.amdhsa_exception_int_div_zero 0
	.end_amdhsa_kernel
	.section	.text._ZN9rocsparseL18bsric0_9_16_kernelILi64ELi32ELi16E21rocsparse_complex_numIfEEEv20rocsparse_direction_iiPKiS5_PT2_S5_PiS5_S8_21rocsparse_index_base_,"axG",@progbits,_ZN9rocsparseL18bsric0_9_16_kernelILi64ELi32ELi16E21rocsparse_complex_numIfEEEv20rocsparse_direction_iiPKiS5_PT2_S5_PiS5_S8_21rocsparse_index_base_,comdat
.Lfunc_end48:
	.size	_ZN9rocsparseL18bsric0_9_16_kernelILi64ELi32ELi16E21rocsparse_complex_numIfEEEv20rocsparse_direction_iiPKiS5_PT2_S5_PiS5_S8_21rocsparse_index_base_, .Lfunc_end48-_ZN9rocsparseL18bsric0_9_16_kernelILi64ELi32ELi16E21rocsparse_complex_numIfEEEv20rocsparse_direction_iiPKiS5_PT2_S5_PiS5_S8_21rocsparse_index_base_
                                        ; -- End function
	.set _ZN9rocsparseL18bsric0_9_16_kernelILi64ELi32ELi16E21rocsparse_complex_numIfEEEv20rocsparse_direction_iiPKiS5_PT2_S5_PiS5_S8_21rocsparse_index_base_.num_vgpr, 46
	.set _ZN9rocsparseL18bsric0_9_16_kernelILi64ELi32ELi16E21rocsparse_complex_numIfEEEv20rocsparse_direction_iiPKiS5_PT2_S5_PiS5_S8_21rocsparse_index_base_.num_agpr, 0
	.set _ZN9rocsparseL18bsric0_9_16_kernelILi64ELi32ELi16E21rocsparse_complex_numIfEEEv20rocsparse_direction_iiPKiS5_PT2_S5_PiS5_S8_21rocsparse_index_base_.numbered_sgpr, 46
	.set _ZN9rocsparseL18bsric0_9_16_kernelILi64ELi32ELi16E21rocsparse_complex_numIfEEEv20rocsparse_direction_iiPKiS5_PT2_S5_PiS5_S8_21rocsparse_index_base_.num_named_barrier, 0
	.set _ZN9rocsparseL18bsric0_9_16_kernelILi64ELi32ELi16E21rocsparse_complex_numIfEEEv20rocsparse_direction_iiPKiS5_PT2_S5_PiS5_S8_21rocsparse_index_base_.private_seg_size, 0
	.set _ZN9rocsparseL18bsric0_9_16_kernelILi64ELi32ELi16E21rocsparse_complex_numIfEEEv20rocsparse_direction_iiPKiS5_PT2_S5_PiS5_S8_21rocsparse_index_base_.uses_vcc, 1
	.set _ZN9rocsparseL18bsric0_9_16_kernelILi64ELi32ELi16E21rocsparse_complex_numIfEEEv20rocsparse_direction_iiPKiS5_PT2_S5_PiS5_S8_21rocsparse_index_base_.uses_flat_scratch, 0
	.set _ZN9rocsparseL18bsric0_9_16_kernelILi64ELi32ELi16E21rocsparse_complex_numIfEEEv20rocsparse_direction_iiPKiS5_PT2_S5_PiS5_S8_21rocsparse_index_base_.has_dyn_sized_stack, 0
	.set _ZN9rocsparseL18bsric0_9_16_kernelILi64ELi32ELi16E21rocsparse_complex_numIfEEEv20rocsparse_direction_iiPKiS5_PT2_S5_PiS5_S8_21rocsparse_index_base_.has_recursion, 0
	.set _ZN9rocsparseL18bsric0_9_16_kernelILi64ELi32ELi16E21rocsparse_complex_numIfEEEv20rocsparse_direction_iiPKiS5_PT2_S5_PiS5_S8_21rocsparse_index_base_.has_indirect_call, 0
	.section	.AMDGPU.csdata,"",@progbits
; Kernel info:
; codeLenInByte = 5660
; TotalNumSgprs: 48
; NumVgprs: 46
; ScratchSize: 0
; MemoryBound: 0
; FloatMode: 240
; IeeeMode: 1
; LDSByteSize: 9088 bytes/workgroup (compile time only)
; SGPRBlocks: 0
; VGPRBlocks: 6
; NumSGPRsForWavesPerEU: 48
; NumVGPRsForWavesPerEU: 97
; NamedBarCnt: 0
; Occupancy: 9
; WaveLimiterHint : 1
; COMPUTE_PGM_RSRC2:SCRATCH_EN: 0
; COMPUTE_PGM_RSRC2:USER_SGPR: 2
; COMPUTE_PGM_RSRC2:TRAP_HANDLER: 0
; COMPUTE_PGM_RSRC2:TGID_X_EN: 1
; COMPUTE_PGM_RSRC2:TGID_Y_EN: 0
; COMPUTE_PGM_RSRC2:TGID_Z_EN: 0
; COMPUTE_PGM_RSRC2:TIDIG_COMP_CNT: 1
	.section	.text._ZN9rocsparseL19bsric0_17_32_kernelILi64ELi32ELi32E21rocsparse_complex_numIfEEEv20rocsparse_direction_iiPKiS5_PT2_S5_PiS5_S8_21rocsparse_index_base_,"axG",@progbits,_ZN9rocsparseL19bsric0_17_32_kernelILi64ELi32ELi32E21rocsparse_complex_numIfEEEv20rocsparse_direction_iiPKiS5_PT2_S5_PiS5_S8_21rocsparse_index_base_,comdat
	.globl	_ZN9rocsparseL19bsric0_17_32_kernelILi64ELi32ELi32E21rocsparse_complex_numIfEEEv20rocsparse_direction_iiPKiS5_PT2_S5_PiS5_S8_21rocsparse_index_base_ ; -- Begin function _ZN9rocsparseL19bsric0_17_32_kernelILi64ELi32ELi32E21rocsparse_complex_numIfEEEv20rocsparse_direction_iiPKiS5_PT2_S5_PiS5_S8_21rocsparse_index_base_
	.p2align	8
	.type	_ZN9rocsparseL19bsric0_17_32_kernelILi64ELi32ELi32E21rocsparse_complex_numIfEEEv20rocsparse_direction_iiPKiS5_PT2_S5_PiS5_S8_21rocsparse_index_base_,@function
_ZN9rocsparseL19bsric0_17_32_kernelILi64ELi32ELi32E21rocsparse_complex_numIfEEEv20rocsparse_direction_iiPKiS5_PT2_S5_PiS5_S8_21rocsparse_index_base_: ; @_ZN9rocsparseL19bsric0_17_32_kernelILi64ELi32ELi32E21rocsparse_complex_numIfEEEv20rocsparse_direction_iiPKiS5_PT2_S5_PiS5_S8_21rocsparse_index_base_
; %bb.0:
	s_load_b256 s[8:15], s[0:1], 0x28
	s_bfe_u32 s2, ttmp6, 0x4000c
	s_and_b32 s3, ttmp6, 15
	s_add_co_i32 s2, s2, 1
	s_getreg_b32 s4, hwreg(HW_REG_IB_STS2, 6, 4)
	s_mul_i32 s2, ttmp9, s2
	v_and_b32_e32 v10, 0x3ff, v0
	s_add_co_i32 s3, s3, s2
	s_cmp_eq_u32 s4, 0
	v_bfe_u32 v11, v0, 10, 10
	s_cselect_b32 s2, ttmp9, s3
	s_wait_kmcnt 0x0
	s_load_b32 s12, s[12:13], s2 offset:0x0 scale_offset
	s_wait_kmcnt 0x0
	s_ashr_i32 s13, s12, 31
	s_delay_alu instid0(SALU_CYCLE_1) | instskip(NEXT) | instid1(SALU_CYCLE_1)
	s_lshl_b64 s[6:7], s[12:13], 2
	s_add_nc_u64 s[2:3], s[8:9], s[6:7]
	s_load_b32 s13, s[2:3], 0x0
	s_load_b32 s5, s[0:1], 0x48
	s_wait_kmcnt 0x0
	s_cmp_lg_u32 s13, -1
	s_cbranch_scc0 .LBB49_138
; %bb.1:
	s_clause 0x1
	s_load_b128 s[16:19], s[0:1], 0x10
	s_load_b64 s[20:21], s[0:1], 0x20
	v_dual_lshlrev_b32 v0, 1, v11 :: v_dual_lshlrev_b32 v15, 3, v11
	s_wait_kmcnt 0x0
	s_add_nc_u64 s[2:3], s[16:17], s[6:7]
	s_load_b32 s2, s[2:3], 0x0
	s_wait_kmcnt 0x0
	s_sub_co_i32 s33, s2, s5
	s_mov_b32 s2, exec_lo
	v_add3_u32 v0, v0, v10, s33
	s_delay_alu instid0(VALU_DEP_1)
	v_cmpx_ge_i32_e64 s13, v0
	s_cbranch_execz .LBB49_4
; %bb.2:
	v_lshlrev_b32_e32 v1, 2, v10
	s_mov_b32 s3, 0
	s_delay_alu instid0(VALU_DEP_1)
	v_add3_u32 v1, v15, v1, 0x6400
.LBB49_3:                               ; =>This Inner Loop Header: Depth=1
	global_load_b32 v2, v0, s[18:19] scale_offset
	s_wait_xcnt 0x0
	v_add_nc_u32_e32 v0, 64, v0
	s_delay_alu instid0(VALU_DEP_1)
	v_cmp_lt_i32_e32 vcc_lo, s13, v0
	s_or_b32 s3, vcc_lo, s3
	s_wait_loadcnt 0x0
	v_subrev_nc_u32_e32 v2, s5, v2
	ds_store_b32 v1, v2
	v_add_nc_u32_e32 v1, 0x100, v1
	s_and_not1_b32 exec_lo, exec_lo, s3
	s_cbranch_execnz .LBB49_3
.LBB49_4:
	s_or_b32 exec_lo, exec_lo, s2
	v_mul_u32_u24_e32 v12, 0x108, v11
	v_lshlrev_b32_e32 v13, 3, v10
	s_mov_b32 s2, exec_lo
	v_cmpx_gt_u32_e32 32, v10
	s_cbranch_execz .LBB49_7
; %bb.5:
	v_dual_lshlrev_b32 v3, 3, v10 :: v_dual_add_nc_u32 v2, -2, v10
	v_mov_b64_e32 v[0:1], 0
	s_mov_b32 s3, 0
	s_delay_alu instid0(VALU_DEP_2)
	v_add3_u32 v3, v12, v3, 0x4200
.LBB49_6:                               ; =>This Inner Loop Header: Depth=1
	s_delay_alu instid0(VALU_DEP_3) | instskip(SKIP_4) | instid1(SALU_CYCLE_1)
	v_add_nc_u32_e32 v2, 2, v2
	ds_store_b64 v3, v[0:1]
	v_add_nc_u32_e32 v3, 16, v3
	v_cmp_lt_u32_e32 vcc_lo, 29, v2
	s_or_b32 s3, vcc_lo, s3
	s_and_not1_b32 exec_lo, exec_lo, s3
	s_cbranch_execnz .LBB49_6
.LBB49_7:
	s_or_b32 exec_lo, exec_lo, s2
	s_clause 0x1
	s_load_b32 s30, s[0:1], 0x8
	s_load_b32 s31, s[0:1], 0x0
	v_mul_u32_u24_e32 v14, 0x108, v10
	s_cmp_ge_i32 s33, s13
	s_wait_dscnt 0x0
	s_wait_kmcnt 0x0
	v_cmp_gt_i32_e64 s0, s30, v10
	v_xad_u32 v16, v10, -1, s30
	s_cbranch_scc1 .LBB49_86
; %bb.8:
	s_delay_alu instid0(VALU_DEP_1) | instskip(SKIP_3) | instid1(VALU_DEP_4)
	v_dual_lshrrev_b32 v0, 1, v16 :: v_dual_bitop2_b32 v2, v10, v11 bitop3:0x54
	v_mad_u32 v1, s30, s33, v11
	v_mul_lo_u32 v18, s30, v11
	v_mul_lo_u32 v23, v10, s30
	v_dual_add_nc_u32 v0, 1, v0 :: v_dual_lshlrev_b32 v20, 3, v10
	s_movk_i32 s22, 0x2100
	s_cmp_eq_u32 s31, 0
	v_mad_u32_u24 v17, 0x108, v11, s22
	s_delay_alu instid0(VALU_DEP_2) | instskip(SKIP_3) | instid1(VALU_DEP_4)
	v_dual_mov_b32 v31, 0 :: v_dual_bitop2_b32 v19, -2, v0 bitop3:0x40
	v_mad_u32_u24 v22, 0x108, v11, v20
	v_mul_lo_u32 v26, s30, v1
	v_mad_u32_u24 v25, 0x108, v10, s22
	v_lshl_add_u32 v21, v19, 1, v10
	v_cmp_ne_u32_e64 s4, v0, v19
	s_movk_i32 s22, 0x4200
	v_mov_b64_e32 v[0:1], 0
	s_cselect_b32 s34, -1, 0
	v_mul_lo_u32 v30, 0x108, v21
	s_cmp_lg_u32 s31, 0
	v_cmp_gt_i32_e64 s1, s30, v11
	v_cmp_ne_u32_e64 s2, 0, v2
	v_cmp_lt_u32_e64 s3, 1, v16
	v_mul_u32_u24_e32 v24, 0x108, v10
	v_add_nc_u32_e32 v27, 0x4200, v22
	v_mad_u32_u24 v28, 0x108, v11, s22
	v_add_nc_u32_e32 v29, 0x2100, v22
	v_lshlrev_b32_e32 v32, 3, v21
	s_cselect_b32 s35, -1, 0
	s_cmp_gt_i32 s30, 0
	s_mul_i32 s37, s30, s30
	s_cselect_b32 s36, -1, 0
	s_lshl_b32 s38, s30, 1
	s_mov_b32 s22, s33
	s_branch .LBB49_10
.LBB49_9:                               ;   in Loop: Header=BB49_10 Depth=1
	s_or_b32 exec_lo, exec_lo, s24
	s_add_co_i32 s22, s22, 1
	v_add_nc_u32_e32 v26, s37, v26
	s_cmp_ge_i32 s22, s13
	global_wb scope:SCOPE_DEV
	s_wait_storecnt 0x0
	global_inv scope:SCOPE_DEV
	s_cselect_b32 s23, -1, 0
	s_delay_alu instid0(SALU_CYCLE_1)
	s_and_b32 vcc_lo, exec_lo, s23
	s_cbranch_vccnz .LBB49_86
.LBB49_10:                              ; =>This Loop Header: Depth=1
                                        ;     Child Loop BB49_14 Depth 2
                                        ;     Child Loop BB49_26 Depth 2
	;; [unrolled: 1-line block ×4, first 2 shown]
                                        ;       Child Loop BB49_43 Depth 3
                                        ;         Child Loop BB49_48 Depth 4
                                        ;     Child Loop BB49_57 Depth 2
                                        ;       Child Loop BB49_64 Depth 3
                                        ;       Child Loop BB49_69 Depth 3
	;; [unrolled: 1-line block ×3, first 2 shown]
                                        ;     Child Loop BB49_80 Depth 2
	s_ashr_i32 s23, s22, 31
	s_delay_alu instid0(SALU_CYCLE_1) | instskip(NEXT) | instid1(SALU_CYCLE_1)
	s_lshl_b64 s[24:25], s[22:23], 2
	s_add_nc_u64 s[24:25], s[18:19], s[24:25]
	s_load_b32 s39, s[24:25], 0x0
	s_wait_kmcnt 0x0
	s_sub_co_i32 s26, s39, s5
	s_delay_alu instid0(SALU_CYCLE_1) | instskip(SKIP_2) | instid1(SALU_CYCLE_1)
	s_ashr_i32 s27, s26, 31
	s_wait_xcnt 0x0
	s_lshl_b64 s[24:25], s[26:27], 2
	s_add_nc_u64 s[28:29], s[8:9], s[24:25]
	s_load_b32 s27, s[28:29], 0x0
	s_wait_kmcnt 0x0
	s_cmp_eq_u32 s27, -1
	s_cbranch_scc1 .LBB49_85
; %bb.11:                               ;   in Loop: Header=BB49_10 Depth=1
	s_wait_xcnt 0x0
	s_add_nc_u64 s[28:29], s[16:17], s[24:25]
	s_mul_i32 s23, s22, s30
	s_load_b32 s28, s[28:29], 0x0
	s_wait_xcnt 0x0
	s_and_saveexec_b32 s29, s0
	s_cbranch_execz .LBB49_24
; %bb.12:                               ;   in Loop: Header=BB49_10 Depth=1
	v_dual_mov_b32 v4, v22 :: v_dual_mov_b32 v5, v10
	s_mov_b32 s40, 0
	s_branch .LBB49_14
.LBB49_13:                              ;   in Loop: Header=BB49_14 Depth=2
	s_wait_xcnt 0x0
	s_or_b32 exec_lo, exec_lo, s42
	v_add_nc_u32_e32 v5, 2, v5
	s_wait_loadcnt 0x0
	ds_store_b64 v4, v[2:3] offset:8448
	ds_store_b64 v4, v[0:1]
	v_add_nc_u32_e32 v4, 16, v4
	v_cmp_le_i32_e32 vcc_lo, s30, v5
	s_or_b32 s40, vcc_lo, s40
	s_delay_alu instid0(SALU_CYCLE_1)
	s_and_not1_b32 exec_lo, exec_lo, s40
	s_cbranch_execz .LBB49_24
.LBB49_14:                              ;   Parent Loop BB49_10 Depth=1
                                        ; =>  This Inner Loop Header: Depth=2
	s_mov_b32 s42, -1
	s_and_b32 vcc_lo, exec_lo, s35
	s_mov_b32 s41, 0
                                        ; implicit-def: $vgpr6
	s_cbranch_vccz .LBB49_19
; %bb.15:                               ;   in Loop: Header=BB49_14 Depth=2
	s_mov_b32 s42, 0
                                        ; implicit-def: $vgpr6
	s_and_saveexec_b32 s43, s1
	s_delay_alu instid0(SALU_CYCLE_1)
	s_xor_b32 s43, exec_lo, s43
; %bb.16:                               ;   in Loop: Header=BB49_14 Depth=2
	v_add_nc_u32_e32 v2, s23, v5
	s_mov_b32 s41, exec_lo
	s_delay_alu instid0(VALU_DEP_1)
	v_mad_u32 v6, v2, s30, v11
; %bb.17:                               ;   in Loop: Header=BB49_14 Depth=2
	s_or_b32 exec_lo, exec_lo, s43
	s_delay_alu instid0(SALU_CYCLE_1)
	s_and_b32 vcc_lo, exec_lo, s42
	s_cbranch_vccnz .LBB49_20
.LBB49_18:                              ;   in Loop: Header=BB49_14 Depth=2
	v_dual_mov_b32 v2, 0 :: v_dual_mov_b32 v3, 0
	s_and_saveexec_b32 s42, s41
	s_cbranch_execz .LBB49_13
	s_branch .LBB49_23
.LBB49_19:                              ;   in Loop: Header=BB49_14 Depth=2
	s_and_b32 vcc_lo, exec_lo, s42
	s_cbranch_vccz .LBB49_18
.LBB49_20:                              ;   in Loop: Header=BB49_14 Depth=2
                                        ; implicit-def: $vgpr6
	s_and_saveexec_b32 s42, s1
; %bb.21:                               ;   in Loop: Header=BB49_14 Depth=2
	v_add_nc_u32_e32 v6, v26, v5
	s_or_b32 s41, s41, exec_lo
; %bb.22:                               ;   in Loop: Header=BB49_14 Depth=2
	s_or_b32 exec_lo, exec_lo, s42
	v_dual_mov_b32 v2, 0 :: v_dual_mov_b32 v3, 0
	s_and_saveexec_b32 s42, s41
	s_cbranch_execz .LBB49_13
.LBB49_23:                              ;   in Loop: Header=BB49_14 Depth=2
	global_load_b64 v[2:3], v6, s[20:21] scale_offset
	s_branch .LBB49_13
.LBB49_24:                              ;   in Loop: Header=BB49_10 Depth=1
	s_or_b32 exec_lo, exec_lo, s29
	ds_load_b32 v2, v31 offset:25600
	s_wait_kmcnt 0x0
	s_sub_co_i32 s28, s28, s5
	s_delay_alu instid0(SALU_CYCLE_1) | instskip(SKIP_4) | instid1(SALU_CYCLE_1)
	s_cmp_le_i32 s28, s27
	s_cselect_b32 s29, -1, 0
	s_wait_dscnt 0x0
	v_cmp_ge_i32_e32 vcc_lo, s26, v2
	s_and_b32 s29, s29, vcc_lo
	s_and_not1_b32 vcc_lo, exec_lo, s29
	s_mov_b32 s29, 0
	s_cbranch_vccnz .LBB49_36
; %bb.25:                               ;   in Loop: Header=BB49_10 Depth=1
	s_mov_b32 s40, 0
	s_mov_b32 s41, 0
.LBB49_26:                              ;   Parent Loop BB49_10 Depth=1
                                        ; =>  This Inner Loop Header: Depth=2
	s_ashr_i32 s29, s28, 31
	s_lshl_b32 s44, s41, 2
	s_lshl_b64 s[42:43], s[28:29], 2
	v_mov_b32_e32 v2, s44
	s_add_nc_u64 s[42:43], s[18:19], s[42:43]
	s_mov_b32 s45, -1
	s_load_b32 s29, s[42:43], 0x0
                                        ; implicit-def: $sgpr44
                                        ; implicit-def: $sgpr43
	ds_load_b32 v2, v2 offset:25600
	s_wait_kmcnt 0x0
	s_sub_co_i32 s46, s29, s5
                                        ; implicit-def: $sgpr29
	s_wait_dscnt 0x0
	s_wait_xcnt 0x0
	v_readfirstlane_b32 s42, v2
	v_cmp_ge_i32_e32 vcc_lo, s46, v2
	s_cbranch_vccz .LBB49_32
; %bb.27:                               ;   in Loop: Header=BB49_26 Depth=2
	s_cmp_le_i32 s46, s42
                                        ; implicit-def: $sgpr29
                                        ; implicit-def: $sgpr44
                                        ; implicit-def: $sgpr43
	s_cbranch_scc0 .LBB49_29
; %bb.28:                               ;   in Loop: Header=BB49_26 Depth=2
	s_add_co_i32 s29, s41, s33
	s_lshl_b32 s43, s40, 2
	s_mul_i32 s29, s29, s37
	s_mul_i32 s44, s28, s37
	s_delay_alu instid0(SALU_CYCLE_1)
	v_dual_mov_b32 v2, s29 :: v_dual_mov_b32 v3, s44
	v_add_nc_u32_e64 v4, 0x6000, s43
	s_add_co_i32 s43, s41, 1
	s_add_co_i32 s44, s28, 1
	;; [unrolled: 1-line block ×3, first 2 shown]
	s_mov_b32 s45, 0
	ds_store_2addr_b32 v4, v3, v2 offset0:192 offset1:224
.LBB49_29:                              ;   in Loop: Header=BB49_26 Depth=2
	s_and_not1_b32 vcc_lo, exec_lo, s45
	s_cbranch_vccnz .LBB49_31
; %bb.30:                               ;   in Loop: Header=BB49_26 Depth=2
	s_add_co_i32 s43, s41, 1
	s_mov_b32 s29, s40
	s_mov_b32 s44, s28
.LBB49_31:                              ;   in Loop: Header=BB49_26 Depth=2
	s_mov_b32 s45, 0
.LBB49_32:                              ;   in Loop: Header=BB49_26 Depth=2
	s_delay_alu instid0(SALU_CYCLE_1)
	s_and_not1_b32 vcc_lo, exec_lo, s45
	s_cbranch_vccnz .LBB49_34
; %bb.33:                               ;   in Loop: Header=BB49_26 Depth=2
	s_add_co_i32 s44, s28, 1
	s_mov_b32 s43, s41
	s_mov_b32 s29, s40
.LBB49_34:                              ;   in Loop: Header=BB49_26 Depth=2
	s_cmp_le_i32 s44, s27
	s_cselect_b32 s28, -1, 0
	s_cmp_le_i32 s42, s26
	s_cselect_b32 s40, -1, 0
	s_delay_alu instid0(SALU_CYCLE_1) | instskip(NEXT) | instid1(SALU_CYCLE_1)
	s_and_b32 s28, s28, s40
	s_and_b32 vcc_lo, exec_lo, s28
	s_cbranch_vccz .LBB49_36
; %bb.35:                               ;   in Loop: Header=BB49_26 Depth=2
	s_mov_b32 s40, s29
	s_mov_b32 s28, s44
	;; [unrolled: 1-line block ×3, first 2 shown]
	s_branch .LBB49_26
.LBB49_36:                              ;   in Loop: Header=BB49_10 Depth=1
	s_add_nc_u64 s[24:25], s[10:11], s[24:25]
	s_wait_dscnt 0x0
.LBB49_37:                              ;   Parent Loop BB49_10 Depth=1
                                        ; =>  This Inner Loop Header: Depth=2
	global_load_b32 v2, v31, s[24:25] scope:SCOPE_DEV
	s_wait_loadcnt 0x0
	v_cmp_eq_u32_e32 vcc_lo, 0, v2
	s_cbranch_vccnz .LBB49_37
; %bb.38:                               ;   in Loop: Header=BB49_10 Depth=1
	s_cmp_lt_i32 s29, 2
	global_inv scope:SCOPE_DEV
	s_cbranch_scc1 .LBB49_54
; %bb.39:                               ;   in Loop: Header=BB49_10 Depth=1
	s_wait_xcnt 0x0
	s_add_co_i32 s24, s29, -2
	s_mov_b32 s25, 0
	s_branch .LBB49_41
.LBB49_40:                              ;   in Loop: Header=BB49_41 Depth=2
	s_or_b32 exec_lo, exec_lo, s26
	s_add_co_i32 s26, s25, 1
	s_cmp_eq_u32 s25, s24
	s_mov_b32 s25, s26
	s_cbranch_scc1 .LBB49_54
.LBB49_41:                              ;   Parent Loop BB49_10 Depth=1
                                        ; =>  This Loop Header: Depth=2
                                        ;       Child Loop BB49_43 Depth 3
                                        ;         Child Loop BB49_48 Depth 4
	s_and_saveexec_b32 s26, s0
	s_cbranch_execz .LBB49_40
; %bb.42:                               ;   in Loop: Header=BB49_41 Depth=2
	s_lshl_b32 s28, s25, 2
	v_mov_b32_e32 v35, v10
	v_add_nc_u32_e64 v2, 0x6000, s28
	s_mov_b32 s28, 0
	ds_load_2addr_b32 v[2:3], v2 offset0:192 offset1:224
	s_wait_dscnt 0x0
	v_add_nc_u32_e32 v8, v3, v18
	v_dual_add_nc_u32 v9, v11, v3 :: v_dual_add_nc_u32 v33, v10, v2
	v_add_nc_u32_e32 v34, v23, v2
.LBB49_43:                              ;   Parent Loop BB49_10 Depth=1
                                        ;     Parent Loop BB49_41 Depth=2
                                        ; =>    This Loop Header: Depth=3
                                        ;         Child Loop BB49_48 Depth 4
	v_mov_b64_e32 v[2:3], 0
	s_delay_alu instid0(VALU_DEP_3)
	v_dual_mov_b32 v36, v33 :: v_dual_mov_b32 v37, v9
	s_mov_b32 s29, 0
	s_and_b32 vcc_lo, exec_lo, s35
	s_mov_b32 s40, -1
                                        ; implicit-def: $vgpr4_vgpr5
	s_cbranch_vccz .LBB49_48
	s_branch .LBB49_45
.LBB49_44:                              ;   in Loop: Header=BB49_48 Depth=4
	v_mov_b64_e32 v[2:3], v[4:5]
	s_and_b32 vcc_lo, exec_lo, s35
	s_mov_b32 s40, -1
                                        ; implicit-def: $vgpr4_vgpr5
	s_cbranch_vccz .LBB49_48
.LBB49_45:                              ;   in Loop: Header=BB49_43 Depth=3
	global_load_b64 v[4:5], v36, s[20:21] scale_offset
	v_dual_mov_b32 v6, 0 :: v_dual_mov_b32 v7, 0
	s_wait_xcnt 0x0
	s_and_saveexec_b32 s40, s1
	s_cbranch_execz .LBB49_47
; %bb.46:                               ;   in Loop: Header=BB49_43 Depth=3
	global_load_b64 v[6:7], v37, s[20:21] scale_offset
.LBB49_47:                              ;   in Loop: Header=BB49_43 Depth=3
	s_wait_xcnt 0x0
	s_or_b32 exec_lo, exec_lo, s40
	s_wait_loadcnt 0x0
	v_pk_add_f32 v[40:41], v[6:7], 0 neg_lo:[1,1] neg_hi:[1,1]
	v_pk_fma_f32 v[38:39], v[4:5], v[6:7], v[2:3] op_sel_hi:[1,0,1]
	v_mov_b32_e32 v40, v7
	s_mov_b32 s40, 0
	s_delay_alu instid0(VALU_DEP_1)
	v_pk_fma_f32 v[4:5], v[4:5], v[40:41], v[38:39] op_sel:[1,0,0] op_sel_hi:[0,1,1]
.LBB49_48:                              ;   Parent Loop BB49_10 Depth=1
                                        ;     Parent Loop BB49_41 Depth=2
                                        ;       Parent Loop BB49_43 Depth=3
                                        ; =>      This Inner Loop Header: Depth=4
	s_and_b32 vcc_lo, exec_lo, s40
	s_cbranch_vccz .LBB49_52
; %bb.49:                               ;   in Loop: Header=BB49_48 Depth=4
	v_dual_add_nc_u32 v4, s29, v34 :: v_dual_mov_b32 v6, 0
	v_mov_b32_e32 v7, 0
	global_load_b64 v[4:5], v4, s[20:21] scale_offset
	s_wait_xcnt 0x0
	s_and_saveexec_b32 s40, s1
	s_cbranch_execz .LBB49_51
; %bb.50:                               ;   in Loop: Header=BB49_48 Depth=4
	v_add_nc_u32_e32 v6, s29, v8
	global_load_b64 v[6:7], v6, s[20:21] scale_offset
.LBB49_51:                              ;   in Loop: Header=BB49_48 Depth=4
	s_wait_xcnt 0x0
	s_or_b32 exec_lo, exec_lo, s40
	s_wait_loadcnt 0x0
	v_pk_add_f32 v[38:39], v[6:7], 0 neg_lo:[1,1] neg_hi:[1,1]
	v_pk_fma_f32 v[2:3], v[4:5], v[6:7], v[2:3] op_sel_hi:[1,0,1]
	v_mov_b32_e32 v38, v7
	s_delay_alu instid0(VALU_DEP_1)
	v_pk_fma_f32 v[4:5], v[4:5], v[38:39], v[2:3] op_sel:[1,0,0] op_sel_hi:[0,1,1]
.LBB49_52:                              ;   in Loop: Header=BB49_48 Depth=4
	v_dual_add_nc_u32 v37, s30, v37 :: v_dual_add_nc_u32 v36, s30, v36
	s_add_co_i32 s29, s29, 1
	s_delay_alu instid0(SALU_CYCLE_1)
	s_cmp_eq_u32 s30, s29
	s_cbranch_scc0 .LBB49_44
; %bb.53:                               ;   in Loop: Header=BB49_43 Depth=3
	v_lshl_add_u32 v6, v35, 3, v12
	v_dual_add_nc_u32 v35, 2, v35 :: v_dual_add_nc_u32 v33, 2, v33
	v_add_nc_u32_e32 v34, s38, v34
	ds_load_b64 v[2:3], v6
	v_cmp_le_i32_e32 vcc_lo, s30, v35
	s_or_b32 s28, vcc_lo, s28
	s_wait_dscnt 0x0
	v_pk_add_f32 v[2:3], v[4:5], v[2:3]
	ds_store_b64 v6, v[2:3]
	s_and_not1_b32 exec_lo, exec_lo, s28
	s_cbranch_execnz .LBB49_43
	s_branch .LBB49_40
.LBB49_54:                              ;   in Loop: Header=BB49_10 Depth=1
	s_and_not1_b32 vcc_lo, exec_lo, s36
	s_wait_loadcnt_dscnt 0x0
	s_cbranch_vccnz .LBB49_76
; %bb.55:                               ;   in Loop: Header=BB49_10 Depth=1
	v_mov_b32_e32 v33, v25
	s_wait_xcnt 0x0
	s_mul_i32 s24, s37, s27
	s_mov_b32 s25, 0
	s_mov_b32 s26, s24
	;; [unrolled: 1-line block ×3, first 2 shown]
	s_branch .LBB49_57
.LBB49_56:                              ;   in Loop: Header=BB49_57 Depth=2
	s_or_b32 exec_lo, exec_lo, s28
	v_add_nc_u32_e32 v33, 8, v33
	s_add_co_i32 s27, s27, 1
	s_add_co_i32 s26, s26, 1
	;; [unrolled: 1-line block ×3, first 2 shown]
	s_cmp_eq_u32 s27, s30
	s_wait_dscnt 0x0
	s_cbranch_scc1 .LBB49_76
.LBB49_57:                              ;   Parent Loop BB49_10 Depth=1
                                        ; =>  This Loop Header: Depth=2
                                        ;       Child Loop BB49_64 Depth 3
                                        ;       Child Loop BB49_69 Depth 3
	;; [unrolled: 1-line block ×3, first 2 shown]
	s_mul_i32 s28, s27, s30
	v_lshl_add_u32 v5, s27, 3, v17
	s_add_co_i32 s28, s28, s24
	s_delay_alu instid0(SALU_CYCLE_1) | instskip(NEXT) | instid1(SALU_CYCLE_1)
	s_add_co_i32 s29, s28, s27
	v_mov_b32_e32 v2, s29
	global_load_b64 v[2:3], v2, s[20:21] scale_offset
	s_wait_loadcnt 0x0
	v_readfirstlane_b32 s29, v2
	v_readfirstlane_b32 s40, v3
	ds_load_b64 v[2:3], v5
	s_cmp_neq_f32 s29, 0
	s_cselect_b32 s41, -1, 0
	s_cmp_neq_f32 s40, 0
	s_cselect_b32 s42, -1, 0
	s_delay_alu instid0(SALU_CYCLE_1) | instskip(NEXT) | instid1(SALU_CYCLE_1)
	s_or_b32 s41, s41, s42
	s_nor_b32 s42, s41, s2
	s_and_b32 s41, s41, exec_lo
	s_cselect_b32 s29, s29, 1.0
	s_cselect_b32 s40, s40, 0
	s_delay_alu instid0(SALU_CYCLE_1)
	v_dual_mov_b32 v4, s29 :: v_dual_mov_b32 v6, s40
	s_and_saveexec_b32 s29, s42
	s_cbranch_execz .LBB49_61
; %bb.58:                               ;   in Loop: Header=BB49_57 Depth=2
	v_mbcnt_lo_u32_b32 v4, exec_lo, 0
	s_mov_b32 s40, exec_lo
	s_delay_alu instid0(VALU_DEP_1)
	v_cmpx_eq_u32_e32 0, v4
	s_cbranch_execz .LBB49_60
; %bb.59:                               ;   in Loop: Header=BB49_57 Depth=2
	v_mov_b32_e32 v4, s39
	global_atomic_min_i32 v31, v4, s[14:15] scope:SCOPE_DEV
.LBB49_60:                              ;   in Loop: Header=BB49_57 Depth=2
	s_wait_xcnt 0x0
	s_or_b32 exec_lo, exec_lo, s40
	v_dual_mov_b32 v6, 0 :: v_dual_mov_b32 v4, 1.0
.LBB49_61:                              ;   in Loop: Header=BB49_57 Depth=2
	s_or_b32 exec_lo, exec_lo, s29
	v_lshl_add_u32 v7, s27, 3, v12
	s_cmp_eq_u32 s27, 0
	ds_load_b64 v[8:9], v7
	s_cbranch_scc1 .LBB49_66
; %bb.62:                               ;   in Loop: Header=BB49_57 Depth=2
	v_mov_b32_e32 v7, v17
	s_mov_b32 s29, 0
	s_mov_b32 s40, s27
	;; [unrolled: 1-line block ×3, first 2 shown]
	s_branch .LBB49_64
.LBB49_63:                              ;   in Loop: Header=BB49_64 Depth=3
	s_wait_xcnt 0x0
	v_mov_b32_e32 v34, s42
	ds_load_b64 v[36:37], v7
	v_add_nc_u32_e32 v7, 8, v7
	s_add_co_i32 s40, s40, -1
	s_add_co_i32 s29, s29, 1
	global_load_b64 v[34:35], v34, s[20:21] scale_offset
	s_add_co_i32 s41, s41, s30
	s_cmp_eq_u32 s40, 0
	s_wait_loadcnt_dscnt 0x0
	v_pk_fma_f32 v[8:9], v[34:35], v[36:37], v[8:9] op_sel_hi:[1,0,1]
	s_delay_alu instid0(VALU_DEP_1)
	v_pk_fma_f32 v[8:9], v[34:35], v[36:37], v[8:9] op_sel:[1,1,0] op_sel_hi:[0,1,1] neg_hi:[0,1,0]
	s_cbranch_scc1 .LBB49_66
.LBB49_64:                              ;   Parent Loop BB49_10 Depth=1
                                        ;     Parent Loop BB49_57 Depth=2
                                        ; =>    This Inner Loop Header: Depth=3
	s_and_not1_b32 vcc_lo, exec_lo, s34
	s_mov_b32 s42, s41
	s_cbranch_vccnz .LBB49_63
; %bb.65:                               ;   in Loop: Header=BB49_64 Depth=3
	s_add_co_i32 s42, s29, s28
	s_branch .LBB49_63
.LBB49_66:                              ;   in Loop: Header=BB49_57 Depth=2
	s_wait_xcnt 0x0
	v_mul_f32_e32 v34, v6, v6
	s_wait_dscnt 0x0
	v_pk_add_f32 v[2:3], v[2:3], v[8:9] neg_lo:[0,1] neg_hi:[0,1]
	s_delay_alu instid0(VALU_DEP_2) | instskip(NEXT) | instid1(VALU_DEP_1)
	v_fmac_f32_e32 v34, v4, v4
	v_div_scale_f32 v7, null, v34, v34, 1.0
	v_div_scale_f32 v37, vcc_lo, 1.0, v34, 1.0
	s_delay_alu instid0(VALU_DEP_2) | instskip(SKIP_1) | instid1(TRANS32_DEP_1)
	v_rcp_f32_e32 v35, v7
	v_nop
	v_fma_f32 v36, -v7, v35, 1.0
	s_delay_alu instid0(VALU_DEP_1) | instskip(NEXT) | instid1(VALU_DEP_1)
	v_fmac_f32_e32 v35, v36, v35
	v_mul_f32_e32 v36, v37, v35
	s_delay_alu instid0(VALU_DEP_1) | instskip(NEXT) | instid1(VALU_DEP_1)
	v_fma_f32 v38, -v7, v36, v37
	v_fmac_f32_e32 v36, v38, v35
	s_delay_alu instid0(VALU_DEP_1) | instskip(SKIP_1) | instid1(VALU_DEP_2)
	v_fma_f32 v8, -v7, v36, v37
	v_pk_mul_f32 v[6:7], v[6:7], v[2:3] op_sel:[0,1] op_sel_hi:[0,0] neg_hi:[0,1]
	v_div_fmas_f32 v8, v8, v35, v36
	s_delay_alu instid0(VALU_DEP_2) | instskip(NEXT) | instid1(VALU_DEP_2)
	v_pk_fma_f32 v[2:3], v[2:3], v[4:5], v[6:7] op_sel_hi:[1,0,1]
	v_div_fixup_f32 v4, v8, v34, 1.0
	s_delay_alu instid0(VALU_DEP_1)
	v_pk_mul_f32 v[2:3], v[4:5], v[2:3] op_sel_hi:[0,1]
	ds_store_b64 v5, v[2:3]
	s_wait_storecnt_dscnt 0x0
	s_and_saveexec_b32 s28, s0
	s_cbranch_execz .LBB49_56
; %bb.67:                               ;   in Loop: Header=BB49_57 Depth=2
	v_dual_mov_b32 v4, v10 :: v_dual_mov_b32 v5, v20
	v_mov_b32_e32 v6, v24
	s_mov_b32 s40, -1
	s_and_saveexec_b32 s29, s3
	s_cbranch_execz .LBB49_73
; %bb.68:                               ;   in Loop: Header=BB49_57 Depth=2
	v_dual_mov_b32 v4, v2 :: v_dual_mov_b32 v5, v2
	v_dual_mov_b32 v6, v3 :: v_dual_mov_b32 v7, v3
	;; [unrolled: 1-line block ×3, first 2 shown]
	v_mov_b32_e32 v34, v33
	s_mov_b32 s40, 0
.LBB49_69:                              ;   Parent Loop BB49_10 Depth=1
                                        ;     Parent Loop BB49_57 Depth=2
                                        ; =>    This Inner Loop Header: Depth=3
	ds_load_2addr_b64 v[36:39], v34 offset1:66
	ds_load_2addr_b64 v[40:43], v9 offset1:2
	v_add_nc_u32_e32 v34, 0x420, v34
	s_wait_dscnt 0x1
	v_dual_mov_b32 v44, v36 :: v_dual_mov_b32 v45, v38
	s_wait_dscnt 0x0
	v_dual_mov_b32 v46, v40 :: v_dual_mov_b32 v47, v42
	v_dual_mov_b32 v42, v41 :: v_dual_mov_b32 v38, v37
	s_delay_alu instid0(VALU_DEP_2) | instskip(NEXT) | instid1(VALU_DEP_2)
	v_pk_fma_f32 v[36:37], v[4:5], v[44:45], v[46:47]
	v_pk_fma_f32 v[40:41], v[6:7], v[44:45], v[42:43]
	s_delay_alu instid0(VALU_DEP_2) | instskip(NEXT) | instid1(VALU_DEP_2)
	v_pk_fma_f32 v[36:37], v[6:7], v[38:39], v[36:37]
	v_pk_fma_f32 v[38:39], v[4:5], v[38:39], v[40:41] neg_lo:[0,1,0] neg_hi:[0,1,0]
	s_delay_alu instid0(VALU_DEP_2) | instskip(NEXT) | instid1(VALU_DEP_2)
	v_dual_add_nc_u32 v8, -2, v8 :: v_dual_mov_b32 v40, v36
	v_dual_mov_b32 v41, v38 :: v_dual_mov_b32 v38, v37
	s_delay_alu instid0(VALU_DEP_2) | instskip(SKIP_3) | instid1(SALU_CYCLE_1)
	v_cmp_eq_u32_e32 vcc_lo, 0, v8
	ds_store_2addr_b64 v9, v[40:41], v[38:39] offset1:2
	v_add_nc_u32_e32 v9, 32, v9
	s_or_b32 s40, vcc_lo, s40
	s_and_not1_b32 exec_lo, exec_lo, s40
	s_cbranch_execnz .LBB49_69
; %bb.70:                               ;   in Loop: Header=BB49_57 Depth=2
	s_or_b32 exec_lo, exec_lo, s40
	s_mov_b32 s40, 0
	s_and_saveexec_b32 s41, s4
; %bb.71:                               ;   in Loop: Header=BB49_57 Depth=2
	s_mov_b32 s40, exec_lo
; %bb.72:                               ;   in Loop: Header=BB49_57 Depth=2
	s_or_b32 exec_lo, exec_lo, s41
	v_dual_mov_b32 v4, v21 :: v_dual_mov_b32 v5, v32
	v_mov_b32_e32 v6, v30
	s_or_not1_b32 s40, s40, exec_lo
.LBB49_73:                              ;   in Loop: Header=BB49_57 Depth=2
	s_or_b32 exec_lo, exec_lo, s29
	s_delay_alu instid0(SALU_CYCLE_1)
	s_and_b32 exec_lo, exec_lo, s40
	s_cbranch_execz .LBB49_56
; %bb.74:                               ;   in Loop: Header=BB49_57 Depth=2
	v_dual_add_nc_u32 v5, v28, v5 :: v_dual_add_nc_u32 v6, s25, v6
	s_mov_b32 s29, 0
.LBB49_75:                              ;   Parent Loop BB49_10 Depth=1
                                        ;     Parent Loop BB49_57 Depth=2
                                        ; =>    This Inner Loop Header: Depth=3
	ds_load_b64 v[8:9], v6 offset:8448
	ds_load_b64 v[34:35], v5
	v_add_nc_u32_e32 v6, 0x210, v6
	s_wait_dscnt 0x0
	v_pk_fma_f32 v[34:35], v[2:3], v[8:9], v[34:35] op_sel_hi:[1,0,1]
	s_delay_alu instid0(VALU_DEP_1) | instskip(NEXT) | instid1(VALU_DEP_1)
	v_pk_fma_f32 v[8:9], v[2:3], v[8:9], v[34:35] op_sel:[0,1,1] op_sel_hi:[1,1,0] neg_lo:[0,1,0]
	v_dual_add_nc_u32 v4, 2, v4 :: v_dual_mov_b32 v34, v9
	s_delay_alu instid0(VALU_DEP_2) | instskip(NEXT) | instid1(VALU_DEP_2)
	v_mov_b32_e32 v35, v8
	v_cmp_le_i32_e32 vcc_lo, s30, v4
	ds_store_b64 v5, v[34:35]
	v_add_nc_u32_e32 v5, 16, v5
	s_or_b32 s29, vcc_lo, s29
	s_delay_alu instid0(SALU_CYCLE_1)
	s_and_not1_b32 exec_lo, exec_lo, s29
	s_cbranch_execnz .LBB49_75
	s_branch .LBB49_56
.LBB49_76:                              ;   in Loop: Header=BB49_10 Depth=1
	s_wait_xcnt 0x0
	s_and_saveexec_b32 s24, s0
	s_cbranch_execz .LBB49_9
; %bb.77:                               ;   in Loop: Header=BB49_10 Depth=1
	v_dual_mov_b32 v2, v29 :: v_dual_mov_b32 v3, v10
	s_mov_b32 s25, 0
	s_branch .LBB49_80
.LBB49_78:                              ;   in Loop: Header=BB49_80 Depth=2
	ds_load_b64 v[6:7], v2
	s_wait_dscnt 0x0
	global_store_b64 v4, v[6:7], s[20:21] scale_offset
.LBB49_79:                              ;   in Loop: Header=BB49_80 Depth=2
	s_wait_xcnt 0x0
	s_or_b32 exec_lo, exec_lo, s26
	v_dual_add_nc_u32 v3, 2, v3 :: v_dual_add_nc_u32 v2, 16, v2
	s_delay_alu instid0(VALU_DEP_1) | instskip(SKIP_1) | instid1(SALU_CYCLE_1)
	v_cmp_le_i32_e32 vcc_lo, s30, v3
	s_or_b32 s25, vcc_lo, s25
	s_and_not1_b32 exec_lo, exec_lo, s25
	s_cbranch_execz .LBB49_9
.LBB49_80:                              ;   Parent Loop BB49_10 Depth=1
                                        ; =>  This Inner Loop Header: Depth=2
	s_and_saveexec_b32 s26, s1
	s_cbranch_execz .LBB49_79
; %bb.81:                               ;   in Loop: Header=BB49_80 Depth=2
	s_and_b32 vcc_lo, exec_lo, s35
	s_mov_b32 s27, -1
                                        ; implicit-def: $vgpr4
	s_cbranch_vccz .LBB49_83
; %bb.82:                               ;   in Loop: Header=BB49_80 Depth=2
	v_add_nc_u32_e32 v4, s23, v3
	s_mov_b32 s27, 0
	s_delay_alu instid0(VALU_DEP_1)
	v_mad_u32 v4, v4, s30, v11
.LBB49_83:                              ;   in Loop: Header=BB49_80 Depth=2
	s_and_not1_b32 vcc_lo, exec_lo, s27
	s_cbranch_vccnz .LBB49_78
; %bb.84:                               ;   in Loop: Header=BB49_80 Depth=2
	v_add_nc_u32_e32 v4, v26, v3
	s_branch .LBB49_78
.LBB49_85:                              ;   in Loop: Header=BB49_10 Depth=1
                                        ; implicit-def: $sgpr22
                                        ; implicit-def: $vgpr26
	s_cbranch_execz .LBB49_10
.LBB49_86:
	v_cmp_gt_i32_e64 s0, s30, v10
	s_and_saveexec_b32 s2, s0
	s_cbranch_execz .LBB49_99
; %bb.87:
	s_mul_i32 s3, s13, s30
	v_cmp_gt_i32_e64 s1, s30, v11
	v_dual_add_nc_u32 v0, s3, v11 :: v_dual_mov_b32 v4, v10
	s_cmp_lg_u32 s31, 0
	s_mov_b32 s4, 0
	s_cselect_b32 s8, -1, 0
	s_delay_alu instid0(VALU_DEP_1) | instskip(SKIP_1) | instid1(VALU_DEP_1)
	v_mul_lo_u32 v2, v0, s30
	v_lshlrev_b32_e32 v0, 3, v10
	v_add3_u32 v3, v12, v0, 0x2100
	s_branch .LBB49_89
.LBB49_88:                              ;   in Loop: Header=BB49_89 Depth=1
	s_wait_xcnt 0x0
	s_or_b32 exec_lo, exec_lo, s16
	v_add_nc_u32_e32 v4, 2, v4
	s_wait_loadcnt 0x0
	ds_store_b64 v3, v[0:1]
	v_add_nc_u32_e32 v3, 16, v3
	v_cmp_le_i32_e32 vcc_lo, s30, v4
	s_or_b32 s4, vcc_lo, s4
	s_delay_alu instid0(SALU_CYCLE_1)
	s_and_not1_b32 exec_lo, exec_lo, s4
	s_cbranch_execz .LBB49_99
.LBB49_89:                              ; =>This Inner Loop Header: Depth=1
	s_and_b32 vcc_lo, exec_lo, s8
	s_cbranch_vccz .LBB49_96
; %bb.90:                               ;   in Loop: Header=BB49_89 Depth=1
	s_mov_b32 s16, 0
	s_mov_b32 s9, 0
                                        ; implicit-def: $vgpr5
	s_and_saveexec_b32 s17, s1
	s_delay_alu instid0(SALU_CYCLE_1)
	s_xor_b32 s17, exec_lo, s17
; %bb.91:                               ;   in Loop: Header=BB49_89 Depth=1
	v_add_nc_u32_e32 v0, s3, v4
	s_mov_b32 s9, exec_lo
	s_delay_alu instid0(VALU_DEP_1)
	v_mad_u32 v5, v0, s30, v11
; %bb.92:                               ;   in Loop: Header=BB49_89 Depth=1
	s_or_b32 exec_lo, exec_lo, s17
	s_delay_alu instid0(SALU_CYCLE_1)
	s_and_b32 vcc_lo, exec_lo, s16
	s_cbranch_vccz .LBB49_97
.LBB49_93:                              ;   in Loop: Header=BB49_89 Depth=1
                                        ; implicit-def: $vgpr5
	s_and_saveexec_b32 s16, s1
; %bb.94:                               ;   in Loop: Header=BB49_89 Depth=1
	s_delay_alu instid0(VALU_DEP_3)
	v_add_nc_u32_e32 v5, v2, v4
	s_or_b32 s9, s9, exec_lo
; %bb.95:                               ;   in Loop: Header=BB49_89 Depth=1
	s_or_b32 exec_lo, exec_lo, s16
	v_dual_mov_b32 v0, 0 :: v_dual_mov_b32 v1, 0
	s_and_saveexec_b32 s16, s9
	s_cbranch_execz .LBB49_88
	s_branch .LBB49_98
.LBB49_96:                              ;   in Loop: Header=BB49_89 Depth=1
	s_mov_b32 s9, 0
                                        ; implicit-def: $vgpr5
	s_cbranch_execnz .LBB49_93
.LBB49_97:                              ;   in Loop: Header=BB49_89 Depth=1
	v_dual_mov_b32 v0, 0 :: v_dual_mov_b32 v1, 0
	s_and_saveexec_b32 s16, s9
	s_cbranch_execz .LBB49_88
.LBB49_98:                              ;   in Loop: Header=BB49_89 Depth=1
	global_load_b64 v[0:1], v5, s[20:21] scale_offset
	s_branch .LBB49_88
.LBB49_99:
	s_or_b32 exec_lo, exec_lo, s2
	s_cmp_lt_i32 s30, 1
	s_wait_loadcnt_dscnt 0x0
	s_cbranch_scc1 .LBB49_125
; %bb.100:
	v_dual_lshrrev_b32 v0, 1, v16 :: v_dual_bitop2_b32 v1, v10, v11 bitop3:0x54
	s_movk_i32 s4, 0x108
	s_movk_i32 s1, 0x4200
	v_mad_u32_u24 v9, v11, s4, 0x2100
	s_delay_alu instid0(VALU_DEP_2) | instskip(SKIP_3) | instid1(VALU_DEP_4)
	v_add_nc_u32_e32 v0, 1, v0
	v_mad_u32_u24 v17, 0x108, v11, s1
	v_cmp_ne_u32_e64 s1, 0, v1
	v_cmp_lt_u32_e64 s2, 1, v16
	v_dual_add_nc_u32 v19, v9, v15 :: v_dual_bitop2_b32 v8, -2, v0 bitop3:0x40
	s_delay_alu instid0(VALU_DEP_4)
	v_add_nc_u32_e32 v15, v17, v15
	v_mad_u32_u24 v16, v10, s4, 0x2100
	v_add3_u32 v21, v12, v13, 0x4200
	s_mov_b32 s8, 0
	v_lshl_add_u32 v18, v8, 1, v10
	v_cmp_ne_u32_e64 s3, v0, v8
	v_mov_b32_e32 v1, 0
	s_add_co_i32 s9, s12, s5
	s_mov_b32 s16, 0
	v_mul_lo_u32 v20, 0x108, v18
	v_lshlrev_b32_e32 v22, 3, v18
	s_branch .LBB49_102
.LBB49_101:                             ;   in Loop: Header=BB49_102 Depth=1
	s_or_b32 exec_lo, exec_lo, s4
	v_add_nc_u32_e32 v16, 8, v16
	s_add_co_i32 s16, s16, 1
	s_add_co_i32 s8, s8, 8
	s_cmp_eq_u32 s16, s30
	s_wait_storecnt_dscnt 0x0
	s_cbranch_scc1 .LBB49_125
.LBB49_102:                             ; =>This Loop Header: Depth=1
                                        ;     Child Loop BB49_118 Depth 2
                                        ;     Child Loop BB49_124 Depth 2
	s_mov_b32 s17, exec_lo
	v_cmpx_eq_u32_e64 s16, v11
	s_cbranch_execz .LBB49_110
; %bb.103:                              ;   in Loop: Header=BB49_102 Depth=1
	ds_load_b64 v[2:3], v19
	ds_load_b64 v[4:5], v15
	s_mov_b32 s4, exec_lo
	s_wait_dscnt 0x0
	v_dual_sub_f32 v0, v2, v4 :: v_dual_sub_f32 v4, v3, v5
                                        ; implicit-def: $vgpr3
	s_delay_alu instid0(VALU_DEP_1) | instskip(SKIP_1) | instid1(VALU_DEP_3)
	v_cmp_gt_f32_e32 vcc_lo, 0, v0
	v_cndmask_b32_e64 v0, v0, -v0, vcc_lo
	v_cmp_gt_f32_e32 vcc_lo, 0, v4
	v_cndmask_b32_e64 v2, v4, -v4, vcc_lo
	s_delay_alu instid0(VALU_DEP_1)
	v_cmpx_ngt_f32_e32 v0, v2
	s_xor_b32 s18, exec_lo, s4
	s_cbranch_execz .LBB49_107
; %bb.104:                              ;   in Loop: Header=BB49_102 Depth=1
	v_mov_b32_e32 v3, 0
	s_mov_b32 s19, exec_lo
	v_cmpx_neq_f32_e32 0, v4
	s_cbranch_execz .LBB49_106
; %bb.105:                              ;   in Loop: Header=BB49_102 Depth=1
	v_div_scale_f32 v3, null, v2, v2, v0
	v_div_scale_f32 v6, vcc_lo, v0, v2, v0
	s_delay_alu instid0(VALU_DEP_2) | instskip(SKIP_1) | instid1(TRANS32_DEP_1)
	v_rcp_f32_e32 v4, v3
	v_nop
	v_fma_f32 v5, -v3, v4, 1.0
	s_delay_alu instid0(VALU_DEP_1) | instskip(NEXT) | instid1(VALU_DEP_1)
	v_fmac_f32_e32 v4, v5, v4
	v_mul_f32_e32 v5, v6, v4
	s_delay_alu instid0(VALU_DEP_1) | instskip(NEXT) | instid1(VALU_DEP_1)
	v_fma_f32 v7, -v3, v5, v6
	v_fmac_f32_e32 v5, v7, v4
	s_delay_alu instid0(VALU_DEP_1) | instskip(NEXT) | instid1(VALU_DEP_1)
	v_fma_f32 v3, -v3, v5, v6
	v_div_fmas_f32 v3, v3, v4, v5
	s_delay_alu instid0(VALU_DEP_1) | instskip(NEXT) | instid1(VALU_DEP_1)
	v_div_fixup_f32 v0, v3, v2, v0
	v_fma_f32 v0, v0, v0, 1.0
	s_delay_alu instid0(VALU_DEP_1) | instskip(SKIP_1) | instid1(VALU_DEP_2)
	v_mul_f32_e32 v3, 0x4f800000, v0
	v_cmp_gt_f32_e32 vcc_lo, 0xf800000, v0
	v_cndmask_b32_e32 v0, v0, v3, vcc_lo
	s_delay_alu instid0(VALU_DEP_1) | instskip(SKIP_1) | instid1(TRANS32_DEP_1)
	v_sqrt_f32_e32 v3, v0
	v_nop
	v_dual_add_nc_u32 v4, -1, v3 :: v_dual_add_nc_u32 v5, 1, v3
	s_delay_alu instid0(VALU_DEP_1) | instskip(NEXT) | instid1(VALU_DEP_1)
	v_fma_f32 v6, -v4, v3, v0
	v_cmp_ge_f32_e64 s4, 0, v6
	s_delay_alu instid0(VALU_DEP_1) | instskip(NEXT) | instid1(VALU_DEP_1)
	v_dual_fma_f32 v7, -v5, v3, v0 :: v_dual_cndmask_b32 v3, v3, v4, s4
	v_cmp_lt_f32_e64 s4, 0, v7
	s_delay_alu instid0(VALU_DEP_1) | instskip(NEXT) | instid1(VALU_DEP_1)
	v_cndmask_b32_e64 v3, v3, v5, s4
	v_mul_f32_e32 v4, 0x37800000, v3
	s_delay_alu instid0(VALU_DEP_1) | instskip(SKIP_1) | instid1(VALU_DEP_2)
	v_cndmask_b32_e32 v3, v3, v4, vcc_lo
	v_cmp_class_f32_e64 vcc_lo, v0, 0x260
	v_cndmask_b32_e32 v0, v3, v0, vcc_lo
	s_delay_alu instid0(VALU_DEP_1)
	v_mul_f32_e32 v3, v2, v0
.LBB49_106:                             ;   in Loop: Header=BB49_102 Depth=1
	s_or_b32 exec_lo, exec_lo, s19
                                        ; implicit-def: $vgpr0
                                        ; implicit-def: $vgpr2
.LBB49_107:                             ;   in Loop: Header=BB49_102 Depth=1
	s_and_not1_saveexec_b32 s18, s18
	s_cbranch_execz .LBB49_109
; %bb.108:                              ;   in Loop: Header=BB49_102 Depth=1
	v_div_scale_f32 v3, null, v0, v0, v2
	v_div_scale_f32 v6, vcc_lo, v2, v0, v2
	s_delay_alu instid0(VALU_DEP_2) | instskip(SKIP_1) | instid1(TRANS32_DEP_1)
	v_rcp_f32_e32 v4, v3
	v_nop
	v_fma_f32 v5, -v3, v4, 1.0
	s_delay_alu instid0(VALU_DEP_1) | instskip(NEXT) | instid1(VALU_DEP_1)
	v_fmac_f32_e32 v4, v5, v4
	v_mul_f32_e32 v5, v6, v4
	s_delay_alu instid0(VALU_DEP_1) | instskip(NEXT) | instid1(VALU_DEP_1)
	v_fma_f32 v7, -v3, v5, v6
	v_fmac_f32_e32 v5, v7, v4
	s_delay_alu instid0(VALU_DEP_1) | instskip(NEXT) | instid1(VALU_DEP_1)
	v_fma_f32 v3, -v3, v5, v6
	v_div_fmas_f32 v3, v3, v4, v5
	s_delay_alu instid0(VALU_DEP_1) | instskip(NEXT) | instid1(VALU_DEP_1)
	v_div_fixup_f32 v2, v3, v0, v2
	v_fma_f32 v2, v2, v2, 1.0
	s_delay_alu instid0(VALU_DEP_1) | instskip(SKIP_1) | instid1(VALU_DEP_2)
	v_mul_f32_e32 v3, 0x4f800000, v2
	v_cmp_gt_f32_e32 vcc_lo, 0xf800000, v2
	v_cndmask_b32_e32 v2, v2, v3, vcc_lo
	s_delay_alu instid0(VALU_DEP_1) | instskip(SKIP_1) | instid1(TRANS32_DEP_1)
	v_sqrt_f32_e32 v3, v2
	v_nop
	v_dual_add_nc_u32 v4, -1, v3 :: v_dual_add_nc_u32 v5, 1, v3
	s_delay_alu instid0(VALU_DEP_1) | instskip(NEXT) | instid1(VALU_DEP_1)
	v_fma_f32 v6, -v4, v3, v2
	v_cmp_ge_f32_e64 s4, 0, v6
	s_delay_alu instid0(VALU_DEP_1) | instskip(NEXT) | instid1(VALU_DEP_1)
	v_dual_fma_f32 v7, -v5, v3, v2 :: v_dual_cndmask_b32 v3, v3, v4, s4
	v_cmp_lt_f32_e64 s4, 0, v7
	s_delay_alu instid0(VALU_DEP_1) | instskip(NEXT) | instid1(VALU_DEP_1)
	v_cndmask_b32_e64 v3, v3, v5, s4
	v_mul_f32_e32 v4, 0x37800000, v3
	s_delay_alu instid0(VALU_DEP_1) | instskip(SKIP_1) | instid1(VALU_DEP_2)
	v_cndmask_b32_e32 v3, v3, v4, vcc_lo
	v_cmp_class_f32_e64 vcc_lo, v2, 0x260
	v_cndmask_b32_e32 v2, v3, v2, vcc_lo
	s_delay_alu instid0(VALU_DEP_1)
	v_mul_f32_e32 v3, v0, v2
.LBB49_109:                             ;   in Loop: Header=BB49_102 Depth=1
	s_or_b32 exec_lo, exec_lo, s18
	s_delay_alu instid0(VALU_DEP_1) | instskip(SKIP_1) | instid1(VALU_DEP_2)
	v_mul_f32_e32 v0, 0x4f800000, v3
	v_cmp_gt_f32_e32 vcc_lo, 0xf800000, v3
	v_cndmask_b32_e32 v0, v3, v0, vcc_lo
	s_delay_alu instid0(VALU_DEP_1) | instskip(SKIP_1) | instid1(TRANS32_DEP_1)
	v_sqrt_f32_e32 v2, v0
	v_nop
	v_dual_add_nc_u32 v3, -1, v2 :: v_dual_add_nc_u32 v4, 1, v2
	s_delay_alu instid0(VALU_DEP_1) | instskip(NEXT) | instid1(VALU_DEP_1)
	v_dual_fma_f32 v5, -v3, v2, v0 :: v_dual_fma_f32 v6, -v4, v2, v0
	v_cmp_ge_f32_e64 s4, 0, v5
	s_delay_alu instid0(VALU_DEP_1) | instskip(NEXT) | instid1(VALU_DEP_3)
	v_cndmask_b32_e64 v2, v2, v3, s4
	v_cmp_lt_f32_e64 s4, 0, v6
	s_delay_alu instid0(VALU_DEP_1) | instskip(NEXT) | instid1(VALU_DEP_1)
	v_cndmask_b32_e64 v2, v2, v4, s4
	v_mul_f32_e32 v3, 0x37800000, v2
	s_delay_alu instid0(VALU_DEP_1) | instskip(SKIP_1) | instid1(VALU_DEP_2)
	v_cndmask_b32_e32 v2, v2, v3, vcc_lo
	v_cmp_class_f32_e64 vcc_lo, v0, 0x260
	v_cndmask_b32_e32 v0, v2, v0, vcc_lo
	ds_store_b64 v19, v[0:1]
.LBB49_110:                             ;   in Loop: Header=BB49_102 Depth=1
	s_or_b32 exec_lo, exec_lo, s17
	s_lshl_b32 s4, s16, 3
	s_mul_i32 s17, s16, 0x108
	s_wait_dscnt 0x0
	s_add_co_i32 s17, s17, s4
	s_delay_alu instid0(SALU_CYCLE_1)
	v_dual_mov_b32 v0, s17 :: v_dual_add_nc_u32 v5, s4, v9
	ds_load_b64 v[2:3], v0 offset:8448
	s_wait_dscnt 0x0
	v_readfirstlane_b32 s17, v2
	v_readfirstlane_b32 s4, v3
	ds_load_b64 v[2:3], v5
	s_cmp_neq_f32 s17, 0
	s_cselect_b32 s18, -1, 0
	s_cmp_neq_f32 s4, 0
	s_cselect_b32 s19, -1, 0
	s_delay_alu instid0(SALU_CYCLE_1) | instskip(NEXT) | instid1(SALU_CYCLE_1)
	s_or_b32 s18, s18, s19
	s_nor_b32 s19, s18, s1
	s_and_b32 s18, s18, exec_lo
	s_cselect_b32 s4, s4, 0
	s_cselect_b32 s17, s17, 1.0
	s_delay_alu instid0(SALU_CYCLE_1)
	v_dual_mov_b32 v4, s4 :: v_dual_mov_b32 v0, s17
	s_and_saveexec_b32 s4, s19
	s_cbranch_execz .LBB49_114
; %bb.111:                              ;   in Loop: Header=BB49_102 Depth=1
	v_mbcnt_lo_u32_b32 v0, exec_lo, 0
	s_mov_b32 s17, exec_lo
	s_delay_alu instid0(VALU_DEP_1)
	v_cmpx_eq_u32_e32 0, v0
	s_cbranch_execz .LBB49_113
; %bb.112:                              ;   in Loop: Header=BB49_102 Depth=1
	v_mov_b32_e32 v0, s9
	global_atomic_min_i32 v1, v0, s[14:15] scope:SCOPE_DEV
.LBB49_113:                             ;   in Loop: Header=BB49_102 Depth=1
	s_wait_xcnt 0x0
	s_or_b32 exec_lo, exec_lo, s17
	v_dual_mov_b32 v0, 1.0 :: v_dual_mov_b32 v4, 0
.LBB49_114:                             ;   in Loop: Header=BB49_102 Depth=1
	s_or_b32 exec_lo, exec_lo, s4
	s_delay_alu instid0(SALU_CYCLE_1)
	s_mov_b32 s4, exec_lo
	v_cmpx_lt_u32_e64 s16, v11
	s_cbranch_execz .LBB49_101
; %bb.115:                              ;   in Loop: Header=BB49_102 Depth=1
	v_mul_f32_e32 v23, v4, v4
	v_lshl_add_u32 v6, s16, 3, v17
	s_wait_dscnt 0x0
	s_delay_alu instid0(VALU_DEP_2) | instskip(SKIP_2) | instid1(VALU_DEP_1)
	v_dual_mov_b32 v25, v2 :: v_dual_fmac_f32 v23, v0, v0
	ds_load_b64 v[6:7], v6
	v_div_scale_f32 v26, null, v23, v23, 1.0
	v_rcp_f32_e32 v27, v26
	v_nop
	s_delay_alu instid0(TRANS32_DEP_1) | instskip(NEXT) | instid1(VALU_DEP_1)
	v_fma_f32 v24, -v26, v27, 1.0
	v_dual_fmac_f32 v27, v24, v27 :: v_dual_mov_b32 v24, v3
	v_div_scale_f32 v28, vcc_lo, 1.0, v23, 1.0
	s_wait_dscnt 0x0
	s_delay_alu instid0(VALU_DEP_2) | instskip(NEXT) | instid1(VALU_DEP_2)
	v_pk_add_f32 v[2:3], v[24:25], v[6:7] op_sel:[0,1] op_sel_hi:[1,0] neg_lo:[0,1] neg_hi:[0,1]
	v_mul_f32_e32 v29, v28, v27
	s_delay_alu instid0(VALU_DEP_2) | instskip(NEXT) | instid1(VALU_DEP_2)
	v_pk_mul_f32 v[6:7], v[4:5], v[2:3] op_sel:[0,1] op_sel_hi:[0,0] neg_lo:[0,1]
	v_fma_f32 v30, -v26, v29, v28
	s_delay_alu instid0(VALU_DEP_2) | instskip(NEXT) | instid1(VALU_DEP_2)
	v_pk_fma_f32 v[2:3], v[2:3], v[0:1], v[6:7] op_sel_hi:[1,0,1]
	v_fmac_f32_e32 v29, v30, v27
	s_delay_alu instid0(VALU_DEP_1) | instskip(NEXT) | instid1(VALU_DEP_1)
	v_fma_f32 v24, -v26, v29, v28
	v_div_fmas_f32 v4, v24, v27, v29
	s_delay_alu instid0(VALU_DEP_1) | instskip(NEXT) | instid1(VALU_DEP_1)
	v_div_fixup_f32 v0, v4, v23, 1.0
	v_pk_mul_f32 v[2:3], v[0:1], v[2:3] op_sel_hi:[0,1]
	s_delay_alu instid0(VALU_DEP_1)
	v_dual_mov_b32 v6, v3 :: v_dual_mov_b32 v7, v2
	ds_store_b64 v5, v[6:7]
	s_wait_storecnt_dscnt 0x0
	s_and_b32 exec_lo, exec_lo, s0
	s_cbranch_execz .LBB49_101
; %bb.116:                              ;   in Loop: Header=BB49_102 Depth=1
	v_dual_mov_b32 v0, v10 :: v_dual_mov_b32 v6, v13
	v_mov_b32_e32 v7, v14
	s_mov_b32 s18, -1
	s_and_saveexec_b32 s17, s2
	s_cbranch_execz .LBB49_122
; %bb.117:                              ;   in Loop: Header=BB49_102 Depth=1
	v_dual_mov_b32 v4, v3 :: v_dual_mov_b32 v5, v3
	v_dual_mov_b32 v6, v2 :: v_dual_mov_b32 v7, v2
	;; [unrolled: 1-line block ×3, first 2 shown]
	v_mov_b32_e32 v24, v16
	s_mov_b32 s18, 0
.LBB49_118:                             ;   Parent Loop BB49_102 Depth=1
                                        ; =>  This Inner Loop Header: Depth=2
	ds_load_2addr_b64 v[26:29], v24 offset1:66
	ds_load_2addr_b64 v[30:33], v23 offset1:2
	v_add_nc_u32_e32 v24, 0x420, v24
	s_wait_dscnt 0x1
	v_dual_mov_b32 v34, v26 :: v_dual_mov_b32 v35, v28
	s_wait_dscnt 0x0
	v_dual_mov_b32 v36, v30 :: v_dual_mov_b32 v37, v32
	v_dual_mov_b32 v32, v31 :: v_dual_mov_b32 v28, v27
	s_delay_alu instid0(VALU_DEP_2) | instskip(NEXT) | instid1(VALU_DEP_2)
	v_pk_fma_f32 v[26:27], v[4:5], v[34:35], v[36:37]
	v_pk_fma_f32 v[30:31], v[6:7], v[34:35], v[32:33]
	s_delay_alu instid0(VALU_DEP_2) | instskip(NEXT) | instid1(VALU_DEP_2)
	v_pk_fma_f32 v[26:27], v[6:7], v[28:29], v[26:27]
	v_pk_fma_f32 v[28:29], v[4:5], v[28:29], v[30:31] neg_lo:[0,1,0] neg_hi:[0,1,0]
	s_delay_alu instid0(VALU_DEP_2) | instskip(NEXT) | instid1(VALU_DEP_2)
	v_dual_add_nc_u32 v0, -2, v0 :: v_dual_mov_b32 v30, v26
	v_dual_mov_b32 v31, v28 :: v_dual_mov_b32 v28, v27
	s_delay_alu instid0(VALU_DEP_2) | instskip(SKIP_3) | instid1(SALU_CYCLE_1)
	v_cmp_eq_u32_e32 vcc_lo, 0, v0
	ds_store_2addr_b64 v23, v[30:31], v[28:29] offset1:2
	v_add_nc_u32_e32 v23, 32, v23
	s_or_b32 s18, vcc_lo, s18
	s_and_not1_b32 exec_lo, exec_lo, s18
	s_cbranch_execnz .LBB49_118
; %bb.119:                              ;   in Loop: Header=BB49_102 Depth=1
	s_or_b32 exec_lo, exec_lo, s18
	s_mov_b32 s18, 0
	s_and_saveexec_b32 s19, s3
; %bb.120:                              ;   in Loop: Header=BB49_102 Depth=1
	s_mov_b32 s18, exec_lo
; %bb.121:                              ;   in Loop: Header=BB49_102 Depth=1
	s_or_b32 exec_lo, exec_lo, s19
	v_dual_mov_b32 v0, v18 :: v_dual_mov_b32 v6, v22
	v_mov_b32_e32 v7, v20
	s_or_not1_b32 s18, s18, exec_lo
.LBB49_122:                             ;   in Loop: Header=BB49_102 Depth=1
	s_or_b32 exec_lo, exec_lo, s17
	s_delay_alu instid0(SALU_CYCLE_1)
	s_and_b32 exec_lo, exec_lo, s18
	s_cbranch_execz .LBB49_101
; %bb.123:                              ;   in Loop: Header=BB49_102 Depth=1
	v_dual_mov_b32 v4, v3 :: v_dual_mov_b32 v5, v2
	v_dual_add_nc_u32 v6, v17, v6 :: v_dual_add_nc_u32 v7, s8, v7
	s_mov_b32 s17, 0
.LBB49_124:                             ;   Parent Loop BB49_102 Depth=1
                                        ; =>  This Inner Loop Header: Depth=2
	ds_load_b64 v[24:25], v7 offset:8448
	ds_load_b64 v[26:27], v6
	v_add_nc_u32_e32 v0, 2, v0
	v_add_nc_u32_e32 v7, 0x210, v7
	s_wait_dscnt 0x0
	v_pk_fma_f32 v[26:27], v[4:5], v[24:25], v[26:27] op_sel_hi:[1,0,1]
	s_delay_alu instid0(VALU_DEP_1) | instskip(SKIP_4) | instid1(SALU_CYCLE_1)
	v_pk_fma_f32 v[24:25], v[2:3], v[24:25], v[26:27] op_sel:[0,1,0] neg_hi:[0,1,0]
	ds_store_b64 v6, v[24:25]
	v_add_nc_u32_e32 v6, 16, v6
	v_cmp_le_i32_e32 vcc_lo, s30, v0
	s_or_b32 s17, vcc_lo, s17
	s_and_not1_b32 exec_lo, exec_lo, s17
	s_cbranch_execnz .LBB49_124
	s_branch .LBB49_101
.LBB49_125:
	s_and_saveexec_b32 s1, s0
	s_cbranch_execz .LBB49_134
; %bb.126:
	s_mul_i32 s13, s13, s30
	v_cmp_gt_i32_e64 s0, s30, v11
	v_dual_add_nc_u32 v0, s13, v11 :: v_dual_mov_b32 v2, v10
	v_add3_u32 v1, v12, v13, 0x2100
	s_cmp_lg_u32 s31, 0
	s_mov_b32 s2, 0
	s_delay_alu instid0(VALU_DEP_2)
	v_mul_lo_u32 v0, v0, s30
	s_cselect_b32 s3, -1, 0
	s_branch .LBB49_130
.LBB49_127:                             ;   in Loop: Header=BB49_130 Depth=1
	s_delay_alu instid0(VALU_DEP_1)
	v_add_nc_u32_e32 v3, v0, v2
.LBB49_128:                             ;   in Loop: Header=BB49_130 Depth=1
	ds_load_b64 v[4:5], v1
	s_wait_dscnt 0x0
	global_store_b64 v3, v[4:5], s[20:21] scale_offset
.LBB49_129:                             ;   in Loop: Header=BB49_130 Depth=1
	s_wait_xcnt 0x0
	s_or_b32 exec_lo, exec_lo, s4
	v_dual_add_nc_u32 v2, 2, v2 :: v_dual_add_nc_u32 v1, 16, v1
	s_delay_alu instid0(VALU_DEP_1) | instskip(SKIP_1) | instid1(SALU_CYCLE_1)
	v_cmp_le_i32_e32 vcc_lo, s30, v2
	s_or_b32 s2, vcc_lo, s2
	s_and_not1_b32 exec_lo, exec_lo, s2
	s_cbranch_execz .LBB49_134
.LBB49_130:                             ; =>This Inner Loop Header: Depth=1
	s_and_saveexec_b32 s4, s0
	s_cbranch_execz .LBB49_129
; %bb.131:                              ;   in Loop: Header=BB49_130 Depth=1
	s_and_b32 vcc_lo, exec_lo, s3
	s_cbranch_vccz .LBB49_133
; %bb.132:                              ;   in Loop: Header=BB49_130 Depth=1
	v_add_nc_u32_e32 v3, s13, v2
	s_delay_alu instid0(VALU_DEP_1)
	v_mad_u32 v3, v3, s30, v11
	s_cbranch_execnz .LBB49_128
	s_branch .LBB49_127
.LBB49_133:                             ;   in Loop: Header=BB49_130 Depth=1
                                        ; implicit-def: $vgpr3
	s_branch .LBB49_127
.LBB49_134:
	s_or_b32 exec_lo, exec_lo, s1
	v_or_b32_e32 v0, v10, v11
	s_mov_b32 s0, 0
	s_mov_b32 s1, exec_lo
	s_delay_alu instid0(VALU_DEP_1)
	v_cmpx_eq_u32_e32 0, v0
	s_cbranch_execz .LBB49_136
; %bb.135:
	v_dual_mov_b32 v0, 0 :: v_dual_mov_b32 v1, 1
	s_add_nc_u64 s[2:3], s[10:11], s[6:7]
	global_wb scope:SCOPE_DEV
	s_wait_storecnt 0x0
	global_store_b32 v0, v1, s[2:3] scope:SCOPE_DEV
.LBB49_136:
	s_wait_xcnt 0x0
	s_or_b32 exec_lo, exec_lo, s1
	s_delay_alu instid0(SALU_CYCLE_1)
	s_and_b32 vcc_lo, exec_lo, s0
	s_cbranch_vccnz .LBB49_139
.LBB49_137:
	s_endpgm
.LBB49_138:
	s_cbranch_execz .LBB49_137
.LBB49_139:
	v_or_b32_e32 v0, v10, v11
	s_mov_b32 s0, exec_lo
	s_delay_alu instid0(VALU_DEP_1)
	v_cmpx_eq_u32_e32 0, v0
	s_cbranch_execz .LBB49_137
; %bb.140:
	v_mbcnt_lo_u32_b32 v0, exec_lo, 0
	s_mov_b32 s0, exec_lo
	s_delay_alu instid0(VALU_DEP_1)
	v_cmpx_eq_u32_e32 0, v0
	s_cbranch_execz .LBB49_142
; %bb.141:
	s_add_co_i32 s1, s12, s5
	s_delay_alu instid0(SALU_CYCLE_1)
	v_dual_mov_b32 v0, 0 :: v_dual_mov_b32 v1, s1
	global_atomic_min_i32 v0, v1, s[14:15] scope:SCOPE_DEV
.LBB49_142:
	s_wait_xcnt 0x0
	s_or_b32 exec_lo, exec_lo, s0
	v_dual_mov_b32 v0, 0 :: v_dual_mov_b32 v1, 1
	s_add_nc_u64 s[0:1], s[10:11], s[6:7]
	global_wb scope:SCOPE_DEV
	s_wait_storecnt 0x0
	global_store_b32 v0, v1, s[0:1] scope:SCOPE_DEV
	s_endpgm
	.section	.rodata,"a",@progbits
	.p2align	6, 0x0
	.amdhsa_kernel _ZN9rocsparseL19bsric0_17_32_kernelILi64ELi32ELi32E21rocsparse_complex_numIfEEEv20rocsparse_direction_iiPKiS5_PT2_S5_PiS5_S8_21rocsparse_index_base_
		.amdhsa_group_segment_fixed_size 25728
		.amdhsa_private_segment_fixed_size 0
		.amdhsa_kernarg_size 76
		.amdhsa_user_sgpr_count 2
		.amdhsa_user_sgpr_dispatch_ptr 0
		.amdhsa_user_sgpr_queue_ptr 0
		.amdhsa_user_sgpr_kernarg_segment_ptr 1
		.amdhsa_user_sgpr_dispatch_id 0
		.amdhsa_user_sgpr_kernarg_preload_length 0
		.amdhsa_user_sgpr_kernarg_preload_offset 0
		.amdhsa_user_sgpr_private_segment_size 0
		.amdhsa_wavefront_size32 1
		.amdhsa_uses_dynamic_stack 0
		.amdhsa_enable_private_segment 0
		.amdhsa_system_sgpr_workgroup_id_x 1
		.amdhsa_system_sgpr_workgroup_id_y 0
		.amdhsa_system_sgpr_workgroup_id_z 0
		.amdhsa_system_sgpr_workgroup_info 0
		.amdhsa_system_vgpr_workitem_id 1
		.amdhsa_next_free_vgpr 145
		.amdhsa_next_free_sgpr 47
		.amdhsa_named_barrier_count 0
		.amdhsa_reserve_vcc 1
		.amdhsa_float_round_mode_32 0
		.amdhsa_float_round_mode_16_64 0
		.amdhsa_float_denorm_mode_32 3
		.amdhsa_float_denorm_mode_16_64 3
		.amdhsa_fp16_overflow 0
		.amdhsa_memory_ordered 1
		.amdhsa_forward_progress 1
		.amdhsa_inst_pref_size 43
		.amdhsa_round_robin_scheduling 0
		.amdhsa_exception_fp_ieee_invalid_op 0
		.amdhsa_exception_fp_denorm_src 0
		.amdhsa_exception_fp_ieee_div_zero 0
		.amdhsa_exception_fp_ieee_overflow 0
		.amdhsa_exception_fp_ieee_underflow 0
		.amdhsa_exception_fp_ieee_inexact 0
		.amdhsa_exception_int_div_zero 0
	.end_amdhsa_kernel
	.section	.text._ZN9rocsparseL19bsric0_17_32_kernelILi64ELi32ELi32E21rocsparse_complex_numIfEEEv20rocsparse_direction_iiPKiS5_PT2_S5_PiS5_S8_21rocsparse_index_base_,"axG",@progbits,_ZN9rocsparseL19bsric0_17_32_kernelILi64ELi32ELi32E21rocsparse_complex_numIfEEEv20rocsparse_direction_iiPKiS5_PT2_S5_PiS5_S8_21rocsparse_index_base_,comdat
.Lfunc_end49:
	.size	_ZN9rocsparseL19bsric0_17_32_kernelILi64ELi32ELi32E21rocsparse_complex_numIfEEEv20rocsparse_direction_iiPKiS5_PT2_S5_PiS5_S8_21rocsparse_index_base_, .Lfunc_end49-_ZN9rocsparseL19bsric0_17_32_kernelILi64ELi32ELi32E21rocsparse_complex_numIfEEEv20rocsparse_direction_iiPKiS5_PT2_S5_PiS5_S8_21rocsparse_index_base_
                                        ; -- End function
	.set _ZN9rocsparseL19bsric0_17_32_kernelILi64ELi32ELi32E21rocsparse_complex_numIfEEEv20rocsparse_direction_iiPKiS5_PT2_S5_PiS5_S8_21rocsparse_index_base_.num_vgpr, 48
	.set _ZN9rocsparseL19bsric0_17_32_kernelILi64ELi32ELi32E21rocsparse_complex_numIfEEEv20rocsparse_direction_iiPKiS5_PT2_S5_PiS5_S8_21rocsparse_index_base_.num_agpr, 0
	.set _ZN9rocsparseL19bsric0_17_32_kernelILi64ELi32ELi32E21rocsparse_complex_numIfEEEv20rocsparse_direction_iiPKiS5_PT2_S5_PiS5_S8_21rocsparse_index_base_.numbered_sgpr, 47
	.set _ZN9rocsparseL19bsric0_17_32_kernelILi64ELi32ELi32E21rocsparse_complex_numIfEEEv20rocsparse_direction_iiPKiS5_PT2_S5_PiS5_S8_21rocsparse_index_base_.num_named_barrier, 0
	.set _ZN9rocsparseL19bsric0_17_32_kernelILi64ELi32ELi32E21rocsparse_complex_numIfEEEv20rocsparse_direction_iiPKiS5_PT2_S5_PiS5_S8_21rocsparse_index_base_.private_seg_size, 0
	.set _ZN9rocsparseL19bsric0_17_32_kernelILi64ELi32ELi32E21rocsparse_complex_numIfEEEv20rocsparse_direction_iiPKiS5_PT2_S5_PiS5_S8_21rocsparse_index_base_.uses_vcc, 1
	.set _ZN9rocsparseL19bsric0_17_32_kernelILi64ELi32ELi32E21rocsparse_complex_numIfEEEv20rocsparse_direction_iiPKiS5_PT2_S5_PiS5_S8_21rocsparse_index_base_.uses_flat_scratch, 0
	.set _ZN9rocsparseL19bsric0_17_32_kernelILi64ELi32ELi32E21rocsparse_complex_numIfEEEv20rocsparse_direction_iiPKiS5_PT2_S5_PiS5_S8_21rocsparse_index_base_.has_dyn_sized_stack, 0
	.set _ZN9rocsparseL19bsric0_17_32_kernelILi64ELi32ELi32E21rocsparse_complex_numIfEEEv20rocsparse_direction_iiPKiS5_PT2_S5_PiS5_S8_21rocsparse_index_base_.has_recursion, 0
	.set _ZN9rocsparseL19bsric0_17_32_kernelILi64ELi32ELi32E21rocsparse_complex_numIfEEEv20rocsparse_direction_iiPKiS5_PT2_S5_PiS5_S8_21rocsparse_index_base_.has_indirect_call, 0
	.section	.AMDGPU.csdata,"",@progbits
; Kernel info:
; codeLenInByte = 5468
; TotalNumSgprs: 49
; NumVgprs: 48
; ScratchSize: 0
; MemoryBound: 0
; FloatMode: 240
; IeeeMode: 1
; LDSByteSize: 25728 bytes/workgroup (compile time only)
; SGPRBlocks: 0
; VGPRBlocks: 9
; NumSGPRsForWavesPerEU: 49
; NumVGPRsForWavesPerEU: 145
; NamedBarCnt: 0
; Occupancy: 6
; WaveLimiterHint : 1
; COMPUTE_PGM_RSRC2:SCRATCH_EN: 0
; COMPUTE_PGM_RSRC2:USER_SGPR: 2
; COMPUTE_PGM_RSRC2:TRAP_HANDLER: 0
; COMPUTE_PGM_RSRC2:TGID_X_EN: 1
; COMPUTE_PGM_RSRC2:TGID_Y_EN: 0
; COMPUTE_PGM_RSRC2:TGID_Z_EN: 0
; COMPUTE_PGM_RSRC2:TIDIG_COMP_CNT: 1
	.section	.text._ZN9rocsparseL23bsric0_binsearch_kernelILj64ELj64ELb0E21rocsparse_complex_numIfEEEv20rocsparse_direction_iiPKiS5_PT2_S5_PiS5_S8_21rocsparse_index_base_,"axG",@progbits,_ZN9rocsparseL23bsric0_binsearch_kernelILj64ELj64ELb0E21rocsparse_complex_numIfEEEv20rocsparse_direction_iiPKiS5_PT2_S5_PiS5_S8_21rocsparse_index_base_,comdat
	.globl	_ZN9rocsparseL23bsric0_binsearch_kernelILj64ELj64ELb0E21rocsparse_complex_numIfEEEv20rocsparse_direction_iiPKiS5_PT2_S5_PiS5_S8_21rocsparse_index_base_ ; -- Begin function _ZN9rocsparseL23bsric0_binsearch_kernelILj64ELj64ELb0E21rocsparse_complex_numIfEEEv20rocsparse_direction_iiPKiS5_PT2_S5_PiS5_S8_21rocsparse_index_base_
	.p2align	8
	.type	_ZN9rocsparseL23bsric0_binsearch_kernelILj64ELj64ELb0E21rocsparse_complex_numIfEEEv20rocsparse_direction_iiPKiS5_PT2_S5_PiS5_S8_21rocsparse_index_base_,@function
_ZN9rocsparseL23bsric0_binsearch_kernelILj64ELj64ELb0E21rocsparse_complex_numIfEEEv20rocsparse_direction_iiPKiS5_PT2_S5_PiS5_S8_21rocsparse_index_base_: ; @_ZN9rocsparseL23bsric0_binsearch_kernelILj64ELj64ELb0E21rocsparse_complex_numIfEEEv20rocsparse_direction_iiPKiS5_PT2_S5_PiS5_S8_21rocsparse_index_base_
; %bb.0:
	s_load_b256 s[8:15], s[0:1], 0x28
	s_bfe_u32 s2, ttmp6, 0x4000c
	s_and_b32 s3, ttmp6, 15
	s_add_co_i32 s2, s2, 1
	s_getreg_b32 s4, hwreg(HW_REG_IB_STS2, 6, 4)
	s_mul_i32 s2, ttmp9, s2
	s_load_b32 s7, s[0:1], 0x48
	s_add_co_i32 s3, s3, s2
	s_cmp_eq_u32 s4, 0
	s_cselect_b32 s2, ttmp9, s3
	s_delay_alu instid0(SALU_CYCLE_1)
	v_mov_b32_e32 v1, s2
	s_wait_kmcnt 0x0
	global_load_b32 v2, v1, s[12:13] scale_offset
	s_wait_loadcnt 0x0
	global_load_b32 v1, v2, s[8:9] scale_offset
	v_ashrrev_i32_e32 v3, 31, v2
	s_wait_loadcnt 0x0
	v_readfirstlane_b32 s2, v1
	s_cmp_lg_u32 s2, -1
	s_cselect_b32 s2, -1, 0
	s_delay_alu instid0(SALU_CYCLE_1) | instskip(NEXT) | instid1(SALU_CYCLE_1)
	s_and_saveexec_b32 s3, s2
	s_xor_b32 s20, exec_lo, s3
	s_cbranch_execz .LBB50_76
; %bb.1:
	s_load_b32 s21, s[0:1], 0x8
	s_mov_b32 s22, exec_lo
	s_wait_kmcnt 0x0
	v_cmpx_gt_i32_e64 s21, v0
	s_cbranch_execz .LBB50_73
; %bb.2:
	s_clause 0x2
	s_load_b128 s[16:19], s[0:1], 0x10
	s_load_b32 s5, s[0:1], 0x0
	s_load_b64 s[12:13], s[0:1], 0x20
	s_mul_i32 s23, s21, s21
	s_wait_xcnt 0x0
	v_cmp_ne_u32_e64 s0, 0, v0
	v_mul_lo_u32 v24, v1, s23
	s_mov_b32 s24, 0
	v_add_nc_u32_e32 v22, s7, v2
	s_wait_kmcnt 0x0
	v_lshl_add_u64 v[4:5], v[2:3], 2, s[16:17]
	s_cmp_eq_u32 s5, 0
	s_cselect_b32 s1, -1, 0
	s_cmp_lg_u32 s5, 0
	global_load_b64 v[4:5], v[4:5], off
	s_cselect_b32 s25, -1, 0
	s_wait_loadcnt 0x0
	v_subrev_nc_u32_e32 v20, s7, v4
	v_xad_u32 v21, s7, -1, v5
	s_delay_alu instid0(VALU_DEP_2) | instskip(NEXT) | instid1(VALU_DEP_2)
	v_mul_lo_u32 v23, s23, v20
	v_dual_mov_b32 v5, 0 :: v_dual_add_nc_u32 v4, v21, v20
	v_cmp_lt_i32_e64 s2, v20, v1
	v_cmp_ge_i32_e64 s3, v20, v1
	v_cmp_lt_i32_e64 s4, v20, v21
	s_delay_alu instid0(VALU_DEP_4) | instskip(NEXT) | instid1(VALU_DEP_1)
	v_ashrrev_i32_e32 v6, 1, v4
	v_dual_ashrrev_i32 v7, 31, v6 :: v_dual_add_nc_u32 v25, v23, v0
	s_delay_alu instid0(VALU_DEP_1)
	v_lshl_add_u64 v[8:9], v[6:7], 2, s[18:19]
	v_mov_b32_e32 v7, v0
	s_branch .LBB50_4
.LBB50_3:                               ;   in Loop: Header=BB50_4 Depth=1
	v_dual_add_nc_u32 v7, 64, v7 :: v_dual_add_nc_u32 v25, 64, v25
	s_delay_alu instid0(VALU_DEP_1) | instskip(SKIP_1) | instid1(SALU_CYCLE_1)
	v_cmp_le_i32_e32 vcc_lo, s21, v7
	s_or_b32 s24, vcc_lo, s24
	s_and_not1_b32 exec_lo, exec_lo, s24
	s_cbranch_execz .LBB50_73
.LBB50_4:                               ; =>This Loop Header: Depth=1
                                        ;     Child Loop BB50_10 Depth 2
                                        ;       Child Loop BB50_13 Depth 3
                                        ;       Child Loop BB50_17 Depth 3
                                        ;         Child Loop BB50_19 Depth 4
                                        ;         Child Loop BB50_26 Depth 4
                                        ;           Child Loop BB50_28 Depth 5
                                        ;           Child Loop BB50_34 Depth 5
                                        ;     Child Loop BB50_41 Depth 2
                                        ;       Child Loop BB50_51 Depth 3
                                        ;       Child Loop BB50_59 Depth 3
                                        ;         Child Loop BB50_61 Depth 4
                                        ;       Child Loop BB50_69 Depth 3
	s_delay_alu instid0(VALU_DEP_1) | instskip(SKIP_1) | instid1(SALU_CYCLE_1)
	v_mul_lo_u32 v26, v7, s21
	s_and_saveexec_b32 s5, s3
	s_xor_b32 s5, exec_lo, s5
; %bb.5:                                ;   in Loop: Header=BB50_4 Depth=1
	v_mul_lo_u32 v26, v7, s21
; %bb.6:                                ;   in Loop: Header=BB50_4 Depth=1
	s_or_saveexec_b32 s26, s5
	v_mov_b64_e32 v[10:11], 0
	s_xor_b32 exec_lo, exec_lo, s26
	s_cbranch_execz .LBB50_38
; %bb.7:                                ;   in Loop: Header=BB50_4 Depth=1
	v_mov_b64_e32 v[10:11], 0
	v_mov_b32_e32 v27, v20
	s_mov_b32 s27, 0
                                        ; implicit-def: $sgpr28
	s_branch .LBB50_10
.LBB50_8:                               ;   in Loop: Header=BB50_10 Depth=2
	v_add_nc_u32_e32 v27, 1, v27
	s_and_not1_b32 s5, s28, exec_lo
	s_delay_alu instid0(VALU_DEP_1) | instskip(SKIP_1) | instid1(SALU_CYCLE_1)
	v_cmp_ge_i32_e32 vcc_lo, v27, v1
	s_and_b32 s6, vcc_lo, exec_lo
	s_or_b32 s28, s5, s6
.LBB50_9:                               ;   in Loop: Header=BB50_10 Depth=2
	s_wait_xcnt 0x0
	s_or_b32 exec_lo, exec_lo, s29
	s_delay_alu instid0(SALU_CYCLE_1) | instskip(NEXT) | instid1(SALU_CYCLE_1)
	s_and_b32 s5, exec_lo, s28
	s_or_b32 s27, s5, s27
	s_delay_alu instid0(SALU_CYCLE_1)
	s_and_not1_b32 exec_lo, exec_lo, s27
	s_cbranch_execz .LBB50_37
.LBB50_10:                              ;   Parent Loop BB50_4 Depth=1
                                        ; =>  This Loop Header: Depth=2
                                        ;       Child Loop BB50_13 Depth 3
                                        ;       Child Loop BB50_17 Depth 3
                                        ;         Child Loop BB50_19 Depth 4
                                        ;         Child Loop BB50_26 Depth 4
                                        ;           Child Loop BB50_28 Depth 5
                                        ;           Child Loop BB50_34 Depth 5
	global_load_b32 v28, v27, s[18:19] scale_offset
	s_or_b32 s28, s28, exec_lo
	s_mov_b32 s29, exec_lo
	s_wait_loadcnt 0x0
	v_subrev_nc_u32_e32 v12, s7, v28
	global_load_b32 v29, v12, s[8:9] scale_offset
	s_wait_loadcnt 0x0
	s_wait_xcnt 0x0
	v_cmpx_ne_u32_e32 -1, v29
	s_cbranch_execz .LBB50_9
; %bb.11:                               ;   in Loop: Header=BB50_10 Depth=2
	v_ashrrev_i32_e32 v13, 31, v12
	s_mov_b32 s5, exec_lo
	s_delay_alu instid0(VALU_DEP_1) | instskip(NEXT) | instid1(VALU_DEP_1)
	v_lshlrev_b64_e32 v[14:15], 2, v[12:13]
	v_add_nc_u64_e32 v[16:17], s[16:17], v[14:15]
	v_add_nc_u64_e32 v[14:15], s[10:11], v[14:15]
	global_load_b32 v4, v[16:17], off
	global_load_b32 v13, v[14:15], off scope:SCOPE_DEV
	s_wait_loadcnt 0x0
	s_wait_xcnt 0x0
	v_cmpx_eq_u32_e32 0, v13
	s_cbranch_execz .LBB50_14
; %bb.12:                               ;   in Loop: Header=BB50_10 Depth=2
	s_mov_b32 s6, 0
.LBB50_13:                              ;   Parent Loop BB50_4 Depth=1
                                        ;     Parent Loop BB50_10 Depth=2
                                        ; =>    This Inner Loop Header: Depth=3
	global_load_b32 v13, v[14:15], off scope:SCOPE_DEV
	s_wait_loadcnt 0x0
	v_cmp_ne_u32_e32 vcc_lo, 0, v13
	s_or_b32 s6, vcc_lo, s6
	s_wait_xcnt 0x0
	s_and_not1_b32 exec_lo, exec_lo, s6
	s_cbranch_execnz .LBB50_13
.LBB50_14:                              ;   in Loop: Header=BB50_10 Depth=2
	s_or_b32 exec_lo, exec_lo, s5
	v_mul_lo_u32 v14, v27, s23
	v_subrev_nc_u32_e32 v13, s7, v4
	v_mul_lo_u32 v30, v12, s21
	v_mul_lo_u32 v31, v29, s23
	s_mov_b32 s30, 0
	global_inv scope:SCOPE_DEV
	v_mul_lo_u32 v32, s23, v13
	v_cmp_le_i32_e64 s5, v13, v29
	v_dual_add_nc_u32 v33, v14, v7 :: v_dual_add_nc_u32 v34, v14, v26
	s_branch .LBB50_17
.LBB50_15:                              ;   in Loop: Header=BB50_17 Depth=3
	s_or_b32 exec_lo, exec_lo, s33
.LBB50_16:                              ;   in Loop: Header=BB50_17 Depth=3
	s_delay_alu instid0(SALU_CYCLE_1)
	s_or_b32 exec_lo, exec_lo, s6
	v_dual_ashrrev_i32 v19, 31, v18 :: v_dual_mul_f32 v35, v12, v12
	s_wait_loadcnt 0x0
	v_pk_add_f32 v[14:15], v[14:15], v[16:17] neg_lo:[0,1] neg_hi:[0,1]
	s_add_co_i32 s30, s30, 1
	v_add_nc_u32_e32 v32, 1, v32
	v_lshl_add_u64 v[18:19], v[18:19], 3, s[12:13]
	v_fmac_f32_e32 v35, v4, v4
	v_pk_mul_f32 v[16:17], v[12:13], v[14:15] op_sel:[0,1] op_sel_hi:[0,0] neg_hi:[0,1]
	s_cmp_eq_u32 s30, s21
	s_delay_alu instid0(VALU_DEP_2) | instskip(NEXT) | instid1(VALU_DEP_2)
	v_div_scale_f32 v36, null, v35, v35, 1.0
	v_pk_fma_f32 v[14:15], v[14:15], v[4:5], v[16:17] op_sel_hi:[1,0,1]
	s_delay_alu instid0(VALU_DEP_2) | instskip(SKIP_1) | instid1(TRANS32_DEP_1)
	v_rcp_f32_e32 v37, v36
	v_nop
	v_fma_f32 v38, -v36, v37, 1.0
	s_delay_alu instid0(VALU_DEP_1) | instskip(SKIP_1) | instid1(VALU_DEP_1)
	v_fmac_f32_e32 v37, v38, v37
	v_div_scale_f32 v39, vcc_lo, 1.0, v35, 1.0
	v_mul_f32_e32 v38, v39, v37
	s_delay_alu instid0(VALU_DEP_1) | instskip(NEXT) | instid1(VALU_DEP_1)
	v_fma_f32 v40, -v36, v38, v39
	v_fmac_f32_e32 v38, v40, v37
	s_delay_alu instid0(VALU_DEP_1) | instskip(NEXT) | instid1(VALU_DEP_1)
	v_fma_f32 v36, -v36, v38, v39
	v_div_fmas_f32 v12, v36, v37, v38
	s_delay_alu instid0(VALU_DEP_1) | instskip(NEXT) | instid1(VALU_DEP_1)
	v_div_fixup_f32 v4, v12, v35, 1.0
	v_pk_mul_f32 v[14:15], v[4:5], v[14:15] op_sel_hi:[0,1]
	s_delay_alu instid0(VALU_DEP_1) | instskip(NEXT) | instid1(VALU_DEP_2)
	v_xor_b32_e32 v16, 0x80000000, v15
	v_pk_fma_f32 v[10:11], v[14:15], v[14:15], v[10:11] op_sel:[1,0,0] op_sel_hi:[0,0,1]
	v_mov_b32_e32 v17, v15
	global_store_b64 v[18:19], v[14:15], off
	v_pk_fma_f32 v[10:11], v[14:15], v[16:17], v[10:11]
	s_cbranch_scc1 .LBB50_8
.LBB50_17:                              ;   Parent Loop BB50_4 Depth=1
                                        ;     Parent Loop BB50_10 Depth=2
                                        ; =>    This Loop Header: Depth=3
                                        ;         Child Loop BB50_19 Depth 4
                                        ;         Child Loop BB50_26 Depth 4
                                        ;           Child Loop BB50_28 Depth 5
                                        ;           Child Loop BB50_34 Depth 5
	s_mul_i32 s31, s30, s21
	s_delay_alu instid0(SALU_CYCLE_1)
	v_add3_u32 v4, s31, s30, v31
	global_load_b64 v[14:15], v4, s[12:13] scale_offset
	s_wait_loadcnt 0x0
	v_cmp_neq_f32_e32 vcc_lo, 0, v14
	v_cmp_neq_f32_e64 s6, 0, v15
	s_or_b32 vcc_lo, vcc_lo, s6
	s_wait_xcnt 0x0
	v_dual_cndmask_b32 v4, 1.0, v14, vcc_lo :: v_dual_cndmask_b32 v12, 0, v15, vcc_lo
	s_nor_b32 s33, vcc_lo, s0
	s_delay_alu instid0(SALU_CYCLE_1)
	s_and_saveexec_b32 s6, s33
	s_cbranch_execz .LBB50_23
; %bb.18:                               ;   in Loop: Header=BB50_17 Depth=3
	s_mov_b32 s34, exec_lo
	s_brev_b32 s33, -2
.LBB50_19:                              ;   Parent Loop BB50_4 Depth=1
                                        ;     Parent Loop BB50_10 Depth=2
                                        ;       Parent Loop BB50_17 Depth=3
                                        ; =>      This Inner Loop Header: Depth=4
	s_ctz_i32_b32 s35, s34
	s_delay_alu instid0(SALU_CYCLE_1) | instskip(SKIP_1) | instid1(SALU_CYCLE_1)
	v_readlane_b32 s36, v28, s35
	s_lshl_b32 s35, 1, s35
	s_and_not1_b32 s34, s34, s35
	s_min_i32 s33, s33, s36
	s_cmp_lg_u32 s34, 0
	s_cbranch_scc1 .LBB50_19
; %bb.20:                               ;   in Loop: Header=BB50_17 Depth=3
	v_mbcnt_lo_u32_b32 v4, exec_lo, 0
	s_mov_b32 s34, exec_lo
	s_delay_alu instid0(VALU_DEP_1)
	v_cmpx_eq_u32_e32 0, v4
	s_xor_b32 s34, exec_lo, s34
	s_cbranch_execz .LBB50_22
; %bb.21:                               ;   in Loop: Header=BB50_17 Depth=3
	v_mov_b32_e32 v4, s33
	global_atomic_min_i32 v5, v4, s[14:15] scope:SCOPE_DEV
.LBB50_22:                              ;   in Loop: Header=BB50_17 Depth=3
	s_wait_xcnt 0x0
	s_or_b32 exec_lo, exec_lo, s34
	v_dual_mov_b32 v4, 1.0 :: v_dual_mov_b32 v12, 0
.LBB50_23:                              ;   in Loop: Header=BB50_17 Depth=3
	s_or_b32 exec_lo, exec_lo, s6
	v_dual_add_nc_u32 v14, s30, v34 :: v_dual_add_nc_u32 v15, s31, v33
	v_mov_b64_e32 v[16:17], 0
	s_delay_alu instid0(VALU_DEP_2)
	v_cndmask_b32_e64 v18, v15, v14, s1
	global_load_b64 v[14:15], v18, s[12:13] scale_offset
	s_wait_xcnt 0x0
	s_and_saveexec_b32 s6, s5
	s_cbranch_execz .LBB50_16
; %bb.24:                               ;   in Loop: Header=BB50_17 Depth=3
	global_load_b32 v19, v[8:9], off
	v_mov_b64_e32 v[16:17], 0
	v_dual_mov_b32 v36, v32 :: v_dual_add_nc_u32 v35, s30, v30
	v_mov_b32_e32 v37, v13
	s_mov_b32 s33, 0
	s_branch .LBB50_26
.LBB50_25:                              ;   in Loop: Header=BB50_26 Depth=4
	s_or_b32 exec_lo, exec_lo, s34
	v_dual_add_nc_u32 v38, 1, v37 :: v_dual_add_nc_u32 v36, s23, v36
	v_cmp_ge_i32_e32 vcc_lo, v37, v29
	s_delay_alu instid0(VALU_DEP_2) | instskip(SKIP_1) | instid1(SALU_CYCLE_1)
	v_mov_b32_e32 v37, v38
	s_or_b32 s33, vcc_lo, s33
	s_and_not1_b32 exec_lo, exec_lo, s33
	s_cbranch_execz .LBB50_15
.LBB50_26:                              ;   Parent Loop BB50_4 Depth=1
                                        ;     Parent Loop BB50_10 Depth=2
                                        ;       Parent Loop BB50_17 Depth=3
                                        ; =>      This Loop Header: Depth=4
                                        ;           Child Loop BB50_28 Depth 5
                                        ;           Child Loop BB50_34 Depth 5
	global_load_b32 v38, v37, s[18:19] scale_offset
	s_wait_loadcnt 0x1
	v_dual_mov_b32 v40, v19 :: v_dual_mov_b32 v39, v6
	s_wait_xcnt 0x0
	s_and_saveexec_b32 s34, s4
	s_cbranch_execz .LBB50_30
; %bb.27:                               ;   in Loop: Header=BB50_26 Depth=4
	v_dual_mov_b32 v40, v19 :: v_dual_mov_b32 v39, v6
	v_dual_mov_b32 v41, v20 :: v_dual_mov_b32 v42, v21
	s_mov_b32 s35, 0
.LBB50_28:                              ;   Parent Loop BB50_4 Depth=1
                                        ;     Parent Loop BB50_10 Depth=2
                                        ;       Parent Loop BB50_17 Depth=3
                                        ;         Parent Loop BB50_26 Depth=4
                                        ; =>        This Inner Loop Header: Depth=5
	s_wait_loadcnt 0x0
	s_delay_alu instid0(VALU_DEP_2) | instskip(NEXT) | instid1(VALU_DEP_2)
	v_cmp_lt_i32_e32 vcc_lo, v40, v38
	v_dual_cndmask_b32 v42, v39, v42 :: v_dual_add_nc_u32 v43, 1, v39
	s_delay_alu instid0(VALU_DEP_1) | instskip(NEXT) | instid1(VALU_DEP_1)
	v_cndmask_b32_e32 v41, v41, v43, vcc_lo
	v_add_nc_u32_e32 v39, v42, v41
	v_cmp_ge_i32_e32 vcc_lo, v41, v42
	s_delay_alu instid0(VALU_DEP_2)
	v_ashrrev_i32_e32 v39, 1, v39
	s_or_b32 s35, vcc_lo, s35
	global_load_b32 v40, v39, s[18:19] scale_offset
	s_wait_xcnt 0x0
	s_and_not1_b32 exec_lo, exec_lo, s35
	s_cbranch_execnz .LBB50_28
; %bb.29:                               ;   in Loop: Header=BB50_26 Depth=4
	s_or_b32 exec_lo, exec_lo, s35
.LBB50_30:                              ;   in Loop: Header=BB50_26 Depth=4
	s_delay_alu instid0(SALU_CYCLE_1) | instskip(NEXT) | instid1(SALU_CYCLE_1)
	s_or_b32 exec_lo, exec_lo, s34
	s_mov_b32 s34, exec_lo
	s_wait_loadcnt 0x0
	v_cmpx_eq_u32_e64 v40, v38
	s_cbranch_execz .LBB50_25
; %bb.31:                               ;   in Loop: Header=BB50_26 Depth=4
	v_mul_lo_u32 v41, v39, s23
	v_subrev_nc_u32_e32 v39, s7, v38
	v_mad_u32 v38, v37, s23, s31
	v_mov_b32_e32 v42, v36
	s_mov_b32 s35, 0
	s_delay_alu instid0(VALU_DEP_3)
	v_mul_lo_u32 v39, v39, s21
	v_dual_add_nc_u32 v40, v41, v26 :: v_dual_add_nc_u32 v41, v7, v41
	s_branch .LBB50_34
.LBB50_32:                              ;   in Loop: Header=BB50_34 Depth=5
	s_clause 0x1
	global_load_b64 v[46:47], v44, s[12:13] scale_offset
	global_load_b64 v[48:49], v43, s[12:13] scale_offset
	s_wait_loadcnt 0x0
	v_pk_fma_f32 v[16:17], v[48:49], v[46:47], v[16:17] op_sel_hi:[1,0,1]
	s_delay_alu instid0(VALU_DEP_1)
	v_pk_fma_f32 v[16:17], v[48:49], v[46:47], v[16:17] op_sel:[1,1,0] op_sel_hi:[0,1,1] neg_hi:[0,1,0]
.LBB50_33:                              ;   in Loop: Header=BB50_34 Depth=5
	s_wait_xcnt 0x0
	s_or_b32 exec_lo, exec_lo, s36
	v_dual_add_nc_u32 v41, s21, v41 :: v_dual_add_nc_u32 v42, s21, v42
	s_add_co_i32 s35, s35, 1
	s_delay_alu instid0(SALU_CYCLE_1)
	s_cmp_lg_u32 s21, s35
	s_cbranch_scc0 .LBB50_25
.LBB50_34:                              ;   Parent Loop BB50_4 Depth=1
                                        ;     Parent Loop BB50_10 Depth=2
                                        ;       Parent Loop BB50_17 Depth=3
                                        ;         Parent Loop BB50_26 Depth=4
                                        ; =>        This Inner Loop Header: Depth=5
	s_delay_alu instid0(VALU_DEP_2) | instskip(SKIP_1) | instid1(VALU_DEP_1)
	v_add_nc_u32_e32 v43, s35, v39
	s_mov_b32 s36, exec_lo
	v_cmpx_lt_i32_e64 v43, v35
	s_cbranch_execz .LBB50_33
; %bb.35:                               ;   in Loop: Header=BB50_34 Depth=5
	v_dual_mov_b32 v43, v42 :: v_dual_mov_b32 v44, v41
	s_and_not1_b32 vcc_lo, exec_lo, s1
	s_cbranch_vccnz .LBB50_32
; %bb.36:                               ;   in Loop: Header=BB50_34 Depth=5
	v_dual_add_nc_u32 v43, s35, v38 :: v_dual_add_nc_u32 v44, s35, v40
	s_branch .LBB50_32
.LBB50_37:                              ;   in Loop: Header=BB50_4 Depth=1
	s_or_b32 exec_lo, exec_lo, s27
.LBB50_38:                              ;   in Loop: Header=BB50_4 Depth=1
	s_delay_alu instid0(SALU_CYCLE_1) | instskip(NEXT) | instid1(VALU_DEP_2)
	s_or_b32 exec_lo, exec_lo, s26
	v_dual_mov_b32 v28, v23 :: v_dual_add_nc_u32 v27, v26, v24
	s_mov_b32 s6, 0
	s_branch .LBB50_41
.LBB50_39:                              ;   in Loop: Header=BB50_41 Depth=2
	v_mul_f32_e32 v29, v12, v12
	s_wait_loadcnt 0x0
	s_delay_alu instid0(VALU_DEP_2) | instskip(NEXT) | instid1(VALU_DEP_2)
	v_pk_add_f32 v[14:15], v[14:15], v[16:17] neg_lo:[0,1] neg_hi:[0,1]
	v_fmac_f32_e32 v29, v4, v4
	s_delay_alu instid0(VALU_DEP_1) | instskip(SKIP_2) | instid1(VALU_DEP_2)
	v_div_scale_f32 v13, null, v29, v29, 1.0
	v_div_scale_f32 v32, vcc_lo, 1.0, v29, 1.0
	s_wait_xcnt 0x0
	v_rcp_f32_e32 v30, v13
	v_nop
	s_delay_alu instid0(TRANS32_DEP_1) | instskip(NEXT) | instid1(VALU_DEP_1)
	v_fma_f32 v31, -v13, v30, 1.0
	v_fmac_f32_e32 v30, v31, v30
	s_delay_alu instid0(VALU_DEP_1) | instskip(NEXT) | instid1(VALU_DEP_1)
	v_mul_f32_e32 v31, v32, v30
	v_fma_f32 v33, -v13, v31, v32
	s_delay_alu instid0(VALU_DEP_1) | instskip(NEXT) | instid1(VALU_DEP_1)
	v_fmac_f32_e32 v31, v33, v30
	v_fma_f32 v16, -v13, v31, v32
	v_pk_mul_f32 v[12:13], v[12:13], v[14:15] op_sel:[0,1] op_sel_hi:[0,0] neg_hi:[0,1]
	s_delay_alu instid0(VALU_DEP_2) | instskip(NEXT) | instid1(VALU_DEP_2)
	v_div_fmas_f32 v16, v16, v30, v31
	v_pk_fma_f32 v[12:13], v[14:15], v[4:5], v[12:13] op_sel_hi:[1,0,1]
	s_delay_alu instid0(VALU_DEP_2) | instskip(NEXT) | instid1(VALU_DEP_1)
	v_div_fixup_f32 v4, v16, v29, 1.0
	v_pk_mul_f32 v[12:13], v[4:5], v[12:13] op_sel_hi:[0,1]
	s_delay_alu instid0(VALU_DEP_1) | instskip(NEXT) | instid1(VALU_DEP_2)
	v_xor_b32_e32 v14, 0x80000000, v13
	v_pk_fma_f32 v[10:11], v[12:13], v[12:13], v[10:11] op_sel:[1,0,0] op_sel_hi:[0,0,1]
	v_mov_b32_e32 v15, v13
	global_store_b64 v[18:19], v[12:13], off
	v_pk_fma_f32 v[10:11], v[12:13], v[14:15], v[10:11]
.LBB50_40:                              ;   in Loop: Header=BB50_41 Depth=2
	s_wait_xcnt 0x0
	s_or_b32 exec_lo, exec_lo, s5
	v_add_nc_u32_e32 v28, 1, v28
	s_add_co_i32 s6, s6, 1
	global_wb scope:SCOPE_DEV
	s_wait_storecnt 0x0
	global_inv scope:SCOPE_DEV
	s_cmp_eq_u32 s6, s21
	s_cbranch_scc1 .LBB50_3
.LBB50_41:                              ;   Parent Loop BB50_4 Depth=1
                                        ; =>  This Loop Header: Depth=2
                                        ;       Child Loop BB50_51 Depth 3
                                        ;       Child Loop BB50_59 Depth 3
                                        ;         Child Loop BB50_61 Depth 4
                                        ;       Child Loop BB50_69 Depth 3
	s_mul_i32 s26, s6, s21
	s_mov_b32 s27, exec_lo
	v_add_nc_u32_e32 v29, s26, v24
	s_delay_alu instid0(VALU_DEP_1) | instskip(NEXT) | instid1(VALU_DEP_1)
	v_add_nc_u32_e32 v12, s6, v29
	v_ashrrev_i32_e32 v13, 31, v12
	s_delay_alu instid0(VALU_DEP_1)
	v_lshl_add_u64 v[12:13], v[12:13], 3, s[12:13]
	v_cmpx_eq_u32_e64 s6, v7
	s_cbranch_execz .LBB50_49
; %bb.42:                               ;   in Loop: Header=BB50_41 Depth=2
	global_load_b64 v[14:15], v[12:13], off
	s_mov_b32 s5, exec_lo
	s_wait_loadcnt 0x0
	v_dual_sub_f32 v4, v14, v11 :: v_dual_sub_f32 v16, v15, v10
                                        ; implicit-def: $vgpr15
	s_delay_alu instid0(VALU_DEP_1) | instskip(SKIP_1) | instid1(VALU_DEP_3)
	v_cmp_gt_f32_e32 vcc_lo, 0, v4
	v_cndmask_b32_e64 v4, v4, -v4, vcc_lo
	v_cmp_gt_f32_e32 vcc_lo, 0, v16
	v_cndmask_b32_e64 v14, v16, -v16, vcc_lo
	s_wait_xcnt 0x0
	s_delay_alu instid0(VALU_DEP_1)
	v_cmpx_ngt_f32_e32 v4, v14
	s_xor_b32 s28, exec_lo, s5
	s_cbranch_execz .LBB50_46
; %bb.43:                               ;   in Loop: Header=BB50_41 Depth=2
	v_mov_b32_e32 v15, 0
	s_mov_b32 s29, exec_lo
	v_cmpx_neq_f32_e32 0, v16
	s_cbranch_execz .LBB50_45
; %bb.44:                               ;   in Loop: Header=BB50_41 Depth=2
	v_div_scale_f32 v15, null, v14, v14, v4
	v_div_scale_f32 v18, vcc_lo, v4, v14, v4
	s_delay_alu instid0(VALU_DEP_2) | instskip(SKIP_1) | instid1(TRANS32_DEP_1)
	v_rcp_f32_e32 v16, v15
	v_nop
	v_fma_f32 v17, -v15, v16, 1.0
	s_delay_alu instid0(VALU_DEP_1) | instskip(NEXT) | instid1(VALU_DEP_1)
	v_fmac_f32_e32 v16, v17, v16
	v_mul_f32_e32 v17, v18, v16
	s_delay_alu instid0(VALU_DEP_1) | instskip(NEXT) | instid1(VALU_DEP_1)
	v_fma_f32 v19, -v15, v17, v18
	v_fmac_f32_e32 v17, v19, v16
	s_delay_alu instid0(VALU_DEP_1) | instskip(NEXT) | instid1(VALU_DEP_1)
	v_fma_f32 v15, -v15, v17, v18
	v_div_fmas_f32 v15, v15, v16, v17
	s_delay_alu instid0(VALU_DEP_1) | instskip(NEXT) | instid1(VALU_DEP_1)
	v_div_fixup_f32 v4, v15, v14, v4
	v_fma_f32 v4, v4, v4, 1.0
	s_delay_alu instid0(VALU_DEP_1) | instskip(SKIP_1) | instid1(VALU_DEP_2)
	v_mul_f32_e32 v15, 0x4f800000, v4
	v_cmp_gt_f32_e32 vcc_lo, 0xf800000, v4
	v_cndmask_b32_e32 v4, v4, v15, vcc_lo
	s_delay_alu instid0(VALU_DEP_1) | instskip(SKIP_1) | instid1(TRANS32_DEP_1)
	v_sqrt_f32_e32 v15, v4
	v_nop
	v_dual_add_nc_u32 v16, -1, v15 :: v_dual_add_nc_u32 v17, 1, v15
	s_delay_alu instid0(VALU_DEP_1) | instskip(NEXT) | instid1(VALU_DEP_1)
	v_fma_f32 v18, -v16, v15, v4
	v_cmp_ge_f32_e64 s5, 0, v18
	s_delay_alu instid0(VALU_DEP_1) | instskip(NEXT) | instid1(VALU_DEP_1)
	v_dual_fma_f32 v19, -v17, v15, v4 :: v_dual_cndmask_b32 v15, v15, v16, s5
	v_cmp_lt_f32_e64 s5, 0, v19
	s_delay_alu instid0(VALU_DEP_1) | instskip(NEXT) | instid1(VALU_DEP_1)
	v_cndmask_b32_e64 v15, v15, v17, s5
	v_mul_f32_e32 v16, 0x37800000, v15
	s_delay_alu instid0(VALU_DEP_1) | instskip(SKIP_1) | instid1(VALU_DEP_2)
	v_cndmask_b32_e32 v15, v15, v16, vcc_lo
	v_cmp_class_f32_e64 vcc_lo, v4, 0x260
	v_cndmask_b32_e32 v4, v15, v4, vcc_lo
	s_delay_alu instid0(VALU_DEP_1)
	v_mul_f32_e32 v15, v14, v4
.LBB50_45:                              ;   in Loop: Header=BB50_41 Depth=2
	s_or_b32 exec_lo, exec_lo, s29
                                        ; implicit-def: $vgpr4
                                        ; implicit-def: $vgpr14
.LBB50_46:                              ;   in Loop: Header=BB50_41 Depth=2
	s_and_not1_saveexec_b32 s28, s28
	s_cbranch_execz .LBB50_48
; %bb.47:                               ;   in Loop: Header=BB50_41 Depth=2
	v_div_scale_f32 v15, null, v4, v4, v14
	v_div_scale_f32 v18, vcc_lo, v14, v4, v14
	s_delay_alu instid0(VALU_DEP_2) | instskip(SKIP_1) | instid1(TRANS32_DEP_1)
	v_rcp_f32_e32 v16, v15
	v_nop
	v_fma_f32 v17, -v15, v16, 1.0
	s_delay_alu instid0(VALU_DEP_1) | instskip(NEXT) | instid1(VALU_DEP_1)
	v_fmac_f32_e32 v16, v17, v16
	v_mul_f32_e32 v17, v18, v16
	s_delay_alu instid0(VALU_DEP_1) | instskip(NEXT) | instid1(VALU_DEP_1)
	v_fma_f32 v19, -v15, v17, v18
	v_fmac_f32_e32 v17, v19, v16
	s_delay_alu instid0(VALU_DEP_1) | instskip(NEXT) | instid1(VALU_DEP_1)
	v_fma_f32 v15, -v15, v17, v18
	v_div_fmas_f32 v15, v15, v16, v17
	s_delay_alu instid0(VALU_DEP_1) | instskip(NEXT) | instid1(VALU_DEP_1)
	v_div_fixup_f32 v14, v15, v4, v14
	v_fma_f32 v14, v14, v14, 1.0
	s_delay_alu instid0(VALU_DEP_1) | instskip(SKIP_1) | instid1(VALU_DEP_2)
	v_mul_f32_e32 v15, 0x4f800000, v14
	v_cmp_gt_f32_e32 vcc_lo, 0xf800000, v14
	v_cndmask_b32_e32 v14, v14, v15, vcc_lo
	s_delay_alu instid0(VALU_DEP_1) | instskip(SKIP_1) | instid1(TRANS32_DEP_1)
	v_sqrt_f32_e32 v15, v14
	v_nop
	v_dual_add_nc_u32 v16, -1, v15 :: v_dual_add_nc_u32 v17, 1, v15
	s_delay_alu instid0(VALU_DEP_1) | instskip(NEXT) | instid1(VALU_DEP_1)
	v_fma_f32 v18, -v16, v15, v14
	v_cmp_ge_f32_e64 s5, 0, v18
	s_delay_alu instid0(VALU_DEP_1) | instskip(NEXT) | instid1(VALU_DEP_1)
	v_dual_fma_f32 v19, -v17, v15, v14 :: v_dual_cndmask_b32 v15, v15, v16, s5
	v_cmp_lt_f32_e64 s5, 0, v19
	s_delay_alu instid0(VALU_DEP_1) | instskip(NEXT) | instid1(VALU_DEP_1)
	v_cndmask_b32_e64 v15, v15, v17, s5
	v_mul_f32_e32 v16, 0x37800000, v15
	s_delay_alu instid0(VALU_DEP_1) | instskip(SKIP_1) | instid1(VALU_DEP_2)
	v_cndmask_b32_e32 v15, v15, v16, vcc_lo
	v_cmp_class_f32_e64 vcc_lo, v14, 0x260
	v_cndmask_b32_e32 v14, v15, v14, vcc_lo
	s_delay_alu instid0(VALU_DEP_1)
	v_mul_f32_e32 v15, v4, v14
.LBB50_48:                              ;   in Loop: Header=BB50_41 Depth=2
	s_or_b32 exec_lo, exec_lo, s28
	s_delay_alu instid0(VALU_DEP_1) | instskip(SKIP_1) | instid1(VALU_DEP_2)
	v_mul_f32_e32 v4, 0x4f800000, v15
	v_cmp_gt_f32_e32 vcc_lo, 0xf800000, v15
	v_cndmask_b32_e32 v4, v15, v4, vcc_lo
	s_delay_alu instid0(VALU_DEP_1) | instskip(SKIP_1) | instid1(TRANS32_DEP_1)
	v_sqrt_f32_e32 v14, v4
	v_nop
	v_dual_add_nc_u32 v15, -1, v14 :: v_dual_add_nc_u32 v16, 1, v14
	s_delay_alu instid0(VALU_DEP_1) | instskip(NEXT) | instid1(VALU_DEP_1)
	v_dual_fma_f32 v17, -v15, v14, v4 :: v_dual_fma_f32 v18, -v16, v14, v4
	v_cmp_ge_f32_e64 s5, 0, v17
	s_delay_alu instid0(VALU_DEP_1) | instskip(NEXT) | instid1(VALU_DEP_3)
	v_cndmask_b32_e64 v14, v14, v15, s5
	v_cmp_lt_f32_e64 s5, 0, v18
	s_delay_alu instid0(VALU_DEP_1) | instskip(NEXT) | instid1(VALU_DEP_1)
	v_cndmask_b32_e64 v14, v14, v16, s5
	v_mul_f32_e32 v15, 0x37800000, v14
	s_delay_alu instid0(VALU_DEP_1) | instskip(SKIP_1) | instid1(VALU_DEP_2)
	v_cndmask_b32_e32 v14, v14, v15, vcc_lo
	v_cmp_class_f32_e64 vcc_lo, v4, 0x260
	v_cndmask_b32_e32 v4, v14, v4, vcc_lo
	global_store_b64 v[12:13], v[4:5], off
.LBB50_49:                              ;   in Loop: Header=BB50_41 Depth=2
	s_wait_xcnt 0x0
	s_or_b32 exec_lo, exec_lo, s27
	global_wb scope:SCOPE_DEV
	s_wait_storecnt 0x0
	global_inv scope:SCOPE_DEV
	global_load_b64 v[14:15], v[12:13], off
	s_wait_loadcnt 0x0
	v_cmp_neq_f32_e32 vcc_lo, 0, v14
	v_cmp_neq_f32_e64 s5, 0, v15
	s_or_b32 vcc_lo, vcc_lo, s5
	s_wait_xcnt 0x0
	v_dual_cndmask_b32 v12, 0, v15, vcc_lo :: v_dual_cndmask_b32 v4, 1.0, v14, vcc_lo
	s_nor_b32 s27, vcc_lo, s0
	s_delay_alu instid0(SALU_CYCLE_1)
	s_and_saveexec_b32 s5, s27
	s_cbranch_execz .LBB50_55
; %bb.50:                               ;   in Loop: Header=BB50_41 Depth=2
	s_mov_b32 s28, exec_lo
	s_brev_b32 s27, -2
.LBB50_51:                              ;   Parent Loop BB50_4 Depth=1
                                        ;     Parent Loop BB50_41 Depth=2
                                        ; =>    This Inner Loop Header: Depth=3
	s_ctz_i32_b32 s29, s28
	s_delay_alu instid0(SALU_CYCLE_1) | instskip(SKIP_1) | instid1(SALU_CYCLE_1)
	v_readlane_b32 s30, v22, s29
	s_lshl_b32 s29, 1, s29
	s_and_not1_b32 s28, s28, s29
	s_min_i32 s27, s27, s30
	s_cmp_lg_u32 s28, 0
	s_cbranch_scc1 .LBB50_51
; %bb.52:                               ;   in Loop: Header=BB50_41 Depth=2
	v_mbcnt_lo_u32_b32 v4, exec_lo, 0
	s_mov_b32 s28, exec_lo
	s_delay_alu instid0(VALU_DEP_1)
	v_cmpx_eq_u32_e32 0, v4
	s_xor_b32 s28, exec_lo, s28
	s_cbranch_execz .LBB50_54
; %bb.53:                               ;   in Loop: Header=BB50_41 Depth=2
	v_mov_b32_e32 v4, s27
	global_atomic_min_i32 v5, v4, s[14:15] scope:SCOPE_DEV
.LBB50_54:                              ;   in Loop: Header=BB50_41 Depth=2
	s_wait_xcnt 0x0
	s_or_b32 exec_lo, exec_lo, s28
	v_dual_mov_b32 v12, 0 :: v_dual_mov_b32 v4, 1.0
.LBB50_55:                              ;   in Loop: Header=BB50_41 Depth=2
	s_or_b32 exec_lo, exec_lo, s5
	s_delay_alu instid0(SALU_CYCLE_1)
	s_mov_b32 s5, exec_lo
	v_cmpx_lt_i32_e64 s6, v7
	s_cbranch_execz .LBB50_40
; %bb.56:                               ;   in Loop: Header=BB50_41 Depth=2
	v_add_nc_u32_e32 v13, s6, v27
	v_add_nc_u32_e32 v14, v29, v7
	v_mov_b64_e32 v[16:17], 0
	s_delay_alu instid0(VALU_DEP_2)
	v_cndmask_b32_e64 v18, v14, v13, s1
	global_load_b64 v[14:15], v18, s[12:13] scale_offset
	s_wait_xcnt 0x0
	s_and_saveexec_b32 s27, s2
	s_cbranch_execz .LBB50_66
; %bb.57:                               ;   in Loop: Header=BB50_41 Depth=2
	v_dual_mov_b32 v16, 0 :: v_dual_mov_b32 v13, v28
	v_dual_mov_b32 v19, v25 :: v_dual_mov_b32 v30, v20
	s_mov_b32 s28, 0
	s_delay_alu instid0(VALU_DEP_2)
	v_mov_b32_e32 v17, v16
	s_branch .LBB50_59
.LBB50_58:                              ;   in Loop: Header=BB50_59 Depth=3
	v_dual_add_nc_u32 v30, 1, v30 :: v_dual_add_nc_u32 v19, s23, v19
	v_add_nc_u32_e32 v13, s23, v13
	s_delay_alu instid0(VALU_DEP_2)
	v_cmp_ge_i32_e32 vcc_lo, v30, v1
	s_or_b32 s28, vcc_lo, s28
	s_wait_xcnt 0x0
	s_and_not1_b32 exec_lo, exec_lo, s28
	s_cbranch_execz .LBB50_65
.LBB50_59:                              ;   Parent Loop BB50_4 Depth=1
                                        ;     Parent Loop BB50_41 Depth=2
                                        ; =>    This Loop Header: Depth=3
                                        ;         Child Loop BB50_61 Depth 4
	s_delay_alu instid0(VALU_DEP_2) | instskip(SKIP_3) | instid1(VALU_DEP_1)
	v_mul_lo_u32 v32, v30, s23
	s_mov_b32 s29, s21
	s_mov_b32 s30, 0
	;; [unrolled: 1-line block ×3, first 2 shown]
	v_dual_add_nc_u32 v31, s26, v32 :: v_dual_add_nc_u32 v32, v32, v26
	s_branch .LBB50_61
.LBB50_60:                              ;   in Loop: Header=BB50_61 Depth=4
	s_clause 0x1
	global_load_b64 v[36:37], v34, s[12:13] scale_offset
	global_load_b64 v[38:39], v33, s[12:13] scale_offset
	s_add_co_i32 s29, s29, -1
	s_add_co_i32 s31, s31, 1
	s_add_co_i32 s30, s30, s21
	s_cmp_eq_u32 s29, 0
	s_wait_loadcnt 0x0
	v_pk_fma_f32 v[16:17], v[38:39], v[36:37], v[16:17] op_sel_hi:[1,0,1]
	s_delay_alu instid0(VALU_DEP_1)
	v_pk_fma_f32 v[16:17], v[38:39], v[36:37], v[16:17] op_sel:[1,1,0] op_sel_hi:[0,1,1] neg_hi:[0,1,0]
	s_cbranch_scc1 .LBB50_58
.LBB50_61:                              ;   Parent Loop BB50_4 Depth=1
                                        ;     Parent Loop BB50_41 Depth=2
                                        ;       Parent Loop BB50_59 Depth=3
                                        ; =>      This Inner Loop Header: Depth=4
	s_and_b32 vcc_lo, exec_lo, s25
	s_mov_b32 s33, -1
                                        ; implicit-def: $vgpr34
                                        ; implicit-def: $vgpr33
	s_cbranch_vccz .LBB50_63
; %bb.62:                               ;   in Loop: Header=BB50_61 Depth=4
	s_wait_xcnt 0x0
	v_dual_add_nc_u32 v33, s30, v13 :: v_dual_add_nc_u32 v34, s30, v19
	s_mov_b32 s33, 0
.LBB50_63:                              ;   in Loop: Header=BB50_61 Depth=4
	s_delay_alu instid0(SALU_CYCLE_1)
	s_and_not1_b32 vcc_lo, exec_lo, s33
	s_cbranch_vccnz .LBB50_60
; %bb.64:                               ;   in Loop: Header=BB50_61 Depth=4
	s_wait_xcnt 0x0
	v_dual_add_nc_u32 v33, s31, v31 :: v_dual_add_nc_u32 v34, s31, v32
	s_branch .LBB50_60
.LBB50_65:                              ;   in Loop: Header=BB50_41 Depth=2
	s_or_b32 exec_lo, exec_lo, s28
.LBB50_66:                              ;   in Loop: Header=BB50_41 Depth=2
	s_delay_alu instid0(SALU_CYCLE_1) | instskip(SKIP_2) | instid1(VALU_DEP_1)
	s_or_b32 exec_lo, exec_lo, s27
	v_ashrrev_i32_e32 v19, 31, v18
	s_cmp_eq_u32 s6, 0
	v_lshl_add_u64 v[18:19], v[18:19], 3, s[12:13]
	s_cbranch_scc1 .LBB50_39
; %bb.67:                               ;   in Loop: Header=BB50_41 Depth=2
	v_mov_b32_e32 v13, v24
	s_mov_b32 s26, 0
	s_branch .LBB50_69
.LBB50_68:                              ;   in Loop: Header=BB50_69 Depth=3
	s_clause 0x1
	global_load_b64 v[32:33], v31, s[12:13] scale_offset
	global_load_b64 v[34:35], v30, s[12:13] scale_offset
	v_add_nc_u32_e32 v13, s21, v13
	s_add_co_i32 s26, s26, 1
	s_delay_alu instid0(SALU_CYCLE_1) | instskip(SKIP_2) | instid1(VALU_DEP_1)
	s_cmp_eq_u32 s6, s26
	s_wait_loadcnt 0x0
	v_pk_fma_f32 v[16:17], v[34:35], v[32:33], v[16:17] op_sel_hi:[1,0,1]
	v_pk_fma_f32 v[16:17], v[34:35], v[32:33], v[16:17] op_sel:[1,1,0] op_sel_hi:[0,1,1] neg_hi:[0,1,0]
	s_cbranch_scc1 .LBB50_39
.LBB50_69:                              ;   Parent Loop BB50_4 Depth=1
                                        ;     Parent Loop BB50_41 Depth=2
                                        ; =>    This Inner Loop Header: Depth=3
	s_and_b32 vcc_lo, exec_lo, s25
	s_mov_b32 s27, -1
                                        ; implicit-def: $vgpr31
                                        ; implicit-def: $vgpr30
	s_cbranch_vccz .LBB50_71
; %bb.70:                               ;   in Loop: Header=BB50_69 Depth=3
	s_wait_xcnt 0x0
	v_dual_add_nc_u32 v30, s6, v13 :: v_dual_add_nc_u32 v31, v7, v13
	s_mov_b32 s27, 0
.LBB50_71:                              ;   in Loop: Header=BB50_69 Depth=3
	s_delay_alu instid0(SALU_CYCLE_1)
	s_and_not1_b32 vcc_lo, exec_lo, s27
	s_cbranch_vccnz .LBB50_68
; %bb.72:                               ;   in Loop: Header=BB50_69 Depth=3
	s_wait_xcnt 0x0
	v_dual_add_nc_u32 v30, s26, v29 :: v_dual_add_nc_u32 v31, s26, v27
	s_branch .LBB50_68
.LBB50_73:
	s_or_b32 exec_lo, exec_lo, s22
	s_delay_alu instid0(SALU_CYCLE_1)
	s_mov_b32 s0, exec_lo
	v_cmpx_eq_u32_e32 63, v0
	s_cbranch_execz .LBB50_75
; %bb.74:
	v_lshl_add_u64 v[0:1], v[2:3], 2, s[10:11]
	v_mov_b32_e32 v2, 1
	global_wb scope:SCOPE_DEV
	s_wait_loadcnt 0x0
	s_wait_storecnt 0x0
	global_store_b32 v[0:1], v2, off scope:SCOPE_DEV
.LBB50_75:
	s_wait_xcnt 0x0
	s_or_b32 exec_lo, exec_lo, s0
                                        ; implicit-def: $vgpr0
                                        ; implicit-def: $vgpr2_vgpr3
.LBB50_76:
	s_and_not1_saveexec_b32 s0, s20
	s_cbranch_execz .LBB50_83
; %bb.77:
	s_mov_b32 s0, exec_lo
	v_cmpx_eq_u32_e32 63, v0
	s_cbranch_execz .LBB50_83
; %bb.78:
	v_add_nc_u32_e32 v0, s7, v2
	s_mov_b32 s1, exec_lo
	s_brev_b32 s0, -2
.LBB50_79:                              ; =>This Inner Loop Header: Depth=1
	s_ctz_i32_b32 s2, s1
	s_delay_alu instid0(VALU_DEP_1) | instid1(SALU_CYCLE_1)
	v_readlane_b32 s3, v0, s2
	s_lshl_b32 s2, 1, s2
	s_delay_alu instid0(SALU_CYCLE_1)
	s_and_not1_b32 s1, s1, s2
	s_min_i32 s0, s0, s3
	s_cmp_lg_u32 s1, 0
	s_cbranch_scc1 .LBB50_79
; %bb.80:
	v_mbcnt_lo_u32_b32 v0, exec_lo, 0
	s_mov_b32 s1, exec_lo
	s_delay_alu instid0(VALU_DEP_1)
	v_cmpx_eq_u32_e32 0, v0
	s_xor_b32 s1, exec_lo, s1
	s_cbranch_execz .LBB50_82
; %bb.81:
	v_dual_mov_b32 v0, 0 :: v_dual_mov_b32 v1, s0
	global_atomic_min_i32 v0, v1, s[14:15] scope:SCOPE_DEV
.LBB50_82:
	s_wait_xcnt 0x0
	s_or_b32 exec_lo, exec_lo, s1
	v_lshl_add_u64 v[0:1], v[2:3], 2, s[10:11]
	v_mov_b32_e32 v2, 1
	global_wb scope:SCOPE_DEV
	s_wait_loadcnt 0x0
	s_wait_storecnt 0x0
	global_store_b32 v[0:1], v2, off scope:SCOPE_DEV
.LBB50_83:
	s_endpgm
	.section	.rodata,"a",@progbits
	.p2align	6, 0x0
	.amdhsa_kernel _ZN9rocsparseL23bsric0_binsearch_kernelILj64ELj64ELb0E21rocsparse_complex_numIfEEEv20rocsparse_direction_iiPKiS5_PT2_S5_PiS5_S8_21rocsparse_index_base_
		.amdhsa_group_segment_fixed_size 0
		.amdhsa_private_segment_fixed_size 0
		.amdhsa_kernarg_size 76
		.amdhsa_user_sgpr_count 2
		.amdhsa_user_sgpr_dispatch_ptr 0
		.amdhsa_user_sgpr_queue_ptr 0
		.amdhsa_user_sgpr_kernarg_segment_ptr 1
		.amdhsa_user_sgpr_dispatch_id 0
		.amdhsa_user_sgpr_kernarg_preload_length 0
		.amdhsa_user_sgpr_kernarg_preload_offset 0
		.amdhsa_user_sgpr_private_segment_size 0
		.amdhsa_wavefront_size32 1
		.amdhsa_uses_dynamic_stack 0
		.amdhsa_enable_private_segment 0
		.amdhsa_system_sgpr_workgroup_id_x 1
		.amdhsa_system_sgpr_workgroup_id_y 0
		.amdhsa_system_sgpr_workgroup_id_z 0
		.amdhsa_system_sgpr_workgroup_info 0
		.amdhsa_system_vgpr_workitem_id 0
		.amdhsa_next_free_vgpr 50
		.amdhsa_next_free_sgpr 37
		.amdhsa_named_barrier_count 0
		.amdhsa_reserve_vcc 1
		.amdhsa_float_round_mode_32 0
		.amdhsa_float_round_mode_16_64 0
		.amdhsa_float_denorm_mode_32 3
		.amdhsa_float_denorm_mode_16_64 3
		.amdhsa_fp16_overflow 0
		.amdhsa_memory_ordered 1
		.amdhsa_forward_progress 1
		.amdhsa_inst_pref_size 29
		.amdhsa_round_robin_scheduling 0
		.amdhsa_exception_fp_ieee_invalid_op 0
		.amdhsa_exception_fp_denorm_src 0
		.amdhsa_exception_fp_ieee_div_zero 0
		.amdhsa_exception_fp_ieee_overflow 0
		.amdhsa_exception_fp_ieee_underflow 0
		.amdhsa_exception_fp_ieee_inexact 0
		.amdhsa_exception_int_div_zero 0
	.end_amdhsa_kernel
	.section	.text._ZN9rocsparseL23bsric0_binsearch_kernelILj64ELj64ELb0E21rocsparse_complex_numIfEEEv20rocsparse_direction_iiPKiS5_PT2_S5_PiS5_S8_21rocsparse_index_base_,"axG",@progbits,_ZN9rocsparseL23bsric0_binsearch_kernelILj64ELj64ELb0E21rocsparse_complex_numIfEEEv20rocsparse_direction_iiPKiS5_PT2_S5_PiS5_S8_21rocsparse_index_base_,comdat
.Lfunc_end50:
	.size	_ZN9rocsparseL23bsric0_binsearch_kernelILj64ELj64ELb0E21rocsparse_complex_numIfEEEv20rocsparse_direction_iiPKiS5_PT2_S5_PiS5_S8_21rocsparse_index_base_, .Lfunc_end50-_ZN9rocsparseL23bsric0_binsearch_kernelILj64ELj64ELb0E21rocsparse_complex_numIfEEEv20rocsparse_direction_iiPKiS5_PT2_S5_PiS5_S8_21rocsparse_index_base_
                                        ; -- End function
	.set _ZN9rocsparseL23bsric0_binsearch_kernelILj64ELj64ELb0E21rocsparse_complex_numIfEEEv20rocsparse_direction_iiPKiS5_PT2_S5_PiS5_S8_21rocsparse_index_base_.num_vgpr, 50
	.set _ZN9rocsparseL23bsric0_binsearch_kernelILj64ELj64ELb0E21rocsparse_complex_numIfEEEv20rocsparse_direction_iiPKiS5_PT2_S5_PiS5_S8_21rocsparse_index_base_.num_agpr, 0
	.set _ZN9rocsparseL23bsric0_binsearch_kernelILj64ELj64ELb0E21rocsparse_complex_numIfEEEv20rocsparse_direction_iiPKiS5_PT2_S5_PiS5_S8_21rocsparse_index_base_.numbered_sgpr, 37
	.set _ZN9rocsparseL23bsric0_binsearch_kernelILj64ELj64ELb0E21rocsparse_complex_numIfEEEv20rocsparse_direction_iiPKiS5_PT2_S5_PiS5_S8_21rocsparse_index_base_.num_named_barrier, 0
	.set _ZN9rocsparseL23bsric0_binsearch_kernelILj64ELj64ELb0E21rocsparse_complex_numIfEEEv20rocsparse_direction_iiPKiS5_PT2_S5_PiS5_S8_21rocsparse_index_base_.private_seg_size, 0
	.set _ZN9rocsparseL23bsric0_binsearch_kernelILj64ELj64ELb0E21rocsparse_complex_numIfEEEv20rocsparse_direction_iiPKiS5_PT2_S5_PiS5_S8_21rocsparse_index_base_.uses_vcc, 1
	.set _ZN9rocsparseL23bsric0_binsearch_kernelILj64ELj64ELb0E21rocsparse_complex_numIfEEEv20rocsparse_direction_iiPKiS5_PT2_S5_PiS5_S8_21rocsparse_index_base_.uses_flat_scratch, 0
	.set _ZN9rocsparseL23bsric0_binsearch_kernelILj64ELj64ELb0E21rocsparse_complex_numIfEEEv20rocsparse_direction_iiPKiS5_PT2_S5_PiS5_S8_21rocsparse_index_base_.has_dyn_sized_stack, 0
	.set _ZN9rocsparseL23bsric0_binsearch_kernelILj64ELj64ELb0E21rocsparse_complex_numIfEEEv20rocsparse_direction_iiPKiS5_PT2_S5_PiS5_S8_21rocsparse_index_base_.has_recursion, 0
	.set _ZN9rocsparseL23bsric0_binsearch_kernelILj64ELj64ELb0E21rocsparse_complex_numIfEEEv20rocsparse_direction_iiPKiS5_PT2_S5_PiS5_S8_21rocsparse_index_base_.has_indirect_call, 0
	.section	.AMDGPU.csdata,"",@progbits
; Kernel info:
; codeLenInByte = 3688
; TotalNumSgprs: 39
; NumVgprs: 50
; ScratchSize: 0
; MemoryBound: 0
; FloatMode: 240
; IeeeMode: 1
; LDSByteSize: 0 bytes/workgroup (compile time only)
; SGPRBlocks: 0
; VGPRBlocks: 3
; NumSGPRsForWavesPerEU: 39
; NumVGPRsForWavesPerEU: 50
; NamedBarCnt: 0
; Occupancy: 16
; WaveLimiterHint : 1
; COMPUTE_PGM_RSRC2:SCRATCH_EN: 0
; COMPUTE_PGM_RSRC2:USER_SGPR: 2
; COMPUTE_PGM_RSRC2:TRAP_HANDLER: 0
; COMPUTE_PGM_RSRC2:TGID_X_EN: 1
; COMPUTE_PGM_RSRC2:TGID_Y_EN: 0
; COMPUTE_PGM_RSRC2:TGID_Z_EN: 0
; COMPUTE_PGM_RSRC2:TIDIG_COMP_CNT: 0
	.section	.text._ZN9rocsparseL17bsric0_2_8_kernelILi64ELi64ELi8E21rocsparse_complex_numIfEEEv20rocsparse_direction_iiPKiS5_PT2_S5_PiS5_S8_21rocsparse_index_base_,"axG",@progbits,_ZN9rocsparseL17bsric0_2_8_kernelILi64ELi64ELi8E21rocsparse_complex_numIfEEEv20rocsparse_direction_iiPKiS5_PT2_S5_PiS5_S8_21rocsparse_index_base_,comdat
	.globl	_ZN9rocsparseL17bsric0_2_8_kernelILi64ELi64ELi8E21rocsparse_complex_numIfEEEv20rocsparse_direction_iiPKiS5_PT2_S5_PiS5_S8_21rocsparse_index_base_ ; -- Begin function _ZN9rocsparseL17bsric0_2_8_kernelILi64ELi64ELi8E21rocsparse_complex_numIfEEEv20rocsparse_direction_iiPKiS5_PT2_S5_PiS5_S8_21rocsparse_index_base_
	.p2align	8
	.type	_ZN9rocsparseL17bsric0_2_8_kernelILi64ELi64ELi8E21rocsparse_complex_numIfEEEv20rocsparse_direction_iiPKiS5_PT2_S5_PiS5_S8_21rocsparse_index_base_,@function
_ZN9rocsparseL17bsric0_2_8_kernelILi64ELi64ELi8E21rocsparse_complex_numIfEEEv20rocsparse_direction_iiPKiS5_PT2_S5_PiS5_S8_21rocsparse_index_base_: ; @_ZN9rocsparseL17bsric0_2_8_kernelILi64ELi64ELi8E21rocsparse_complex_numIfEEEv20rocsparse_direction_iiPKiS5_PT2_S5_PiS5_S8_21rocsparse_index_base_
; %bb.0:
	s_load_b256 s[4:11], s[0:1], 0x28
	s_bfe_u32 s2, ttmp6, 0x4000c
	s_and_b32 s3, ttmp6, 15
	s_add_co_i32 s2, s2, 1
	s_getreg_b32 s12, hwreg(HW_REG_IB_STS2, 6, 4)
	s_mul_i32 s2, ttmp9, s2
	v_and_b32_e32 v8, 0x3ff, v0
	s_add_co_i32 s3, s3, s2
	s_cmp_eq_u32 s12, 0
	v_bfe_u32 v9, v0, 10, 10
	s_cselect_b32 s2, ttmp9, s3
	s_wait_kmcnt 0x0
	s_load_b32 s16, s[8:9], s2 offset:0x0 scale_offset
	s_wait_kmcnt 0x0
	s_ashr_i32 s17, s16, 31
	s_delay_alu instid0(SALU_CYCLE_1) | instskip(NEXT) | instid1(SALU_CYCLE_1)
	s_lshl_b64 s[8:9], s[16:17], 2
	s_add_nc_u64 s[12:13], s[4:5], s[8:9]
	s_load_b32 s17, s[12:13], 0x0
	s_load_b32 s3, s[0:1], 0x48
	s_wait_kmcnt 0x0
	s_cmp_lg_u32 s17, -1
	s_cbranch_scc0 .LBB51_92
; %bb.1:
	s_clause 0x1
	s_load_b128 s[12:15], s[0:1], 0x10
	s_load_b64 s[18:19], s[0:1], 0x20
	v_lshlrev_b32_e32 v10, 3, v9
	s_mov_b32 s2, exec_lo
	s_delay_alu instid0(VALU_DEP_1)
	v_add_nc_u32_e32 v1, v10, v8
	s_wait_kmcnt 0x0
	s_add_nc_u64 s[20:21], s[12:13], s[8:9]
	s_load_b32 s20, s[20:21], 0x0
	s_wait_kmcnt 0x0
	s_sub_co_i32 s28, s20, s3
	s_delay_alu instid0(SALU_CYCLE_1) | instskip(NEXT) | instid1(VALU_DEP_1)
	v_add_nc_u32_e32 v0, s28, v1
	v_cmpx_ge_i32_e64 s17, v0
	s_cbranch_execz .LBB51_13
; %bb.2:
	v_add_nc_u32_e32 v1, s20, v1
	s_add_co_i32 s21, s17, 1
	v_not_b32_e32 v2, v8
	s_mov_b32 s22, -1
	s_delay_alu instid0(VALU_DEP_2) | instskip(NEXT) | instid1(VALU_DEP_1)
	v_subrev_nc_u32_e32 v1, s3, v1
	v_add_max_i32_e64 v1, v1, 64, s21
	s_mov_b32 s21, exec_lo
	s_delay_alu instid0(VALU_DEP_1) | instskip(SKIP_1) | instid1(VALU_DEP_1)
	v_add3_u32 v1, s3, v1, v2
	v_add_nc_u32_e32 v2, s20, v10
	v_sub_nc_u32_e32 v1, v1, v2
	s_delay_alu instid0(VALU_DEP_1)
	v_cmpx_lt_u32_e32 63, v1
	s_cbranch_execz .LBB51_10
; %bb.3:
	v_dual_lshrrev_b32 v4, 6, v1 :: v_dual_add_nc_u32 v1, 64, v0
	s_delay_alu instid0(VALU_DEP_1) | instskip(NEXT) | instid1(VALU_DEP_1)
	v_add_nc_u32_e32 v2, -1, v4
	v_lshrrev_b32_e32 v3, 1, v2
	s_delay_alu instid0(VALU_DEP_1)
	v_add_nc_u32_e32 v5, 1, v3
	v_cmp_lt_u32_e32 vcc_lo, 13, v2
	v_mov_b64_e32 v[2:3], v[0:1]
	s_and_saveexec_b32 s22, vcc_lo
	s_cbranch_execz .LBB51_7
; %bb.4:
	v_mov_b64_e32 v[2:3], v[0:1]
	v_and_b32_e32 v6, -8, v5
	s_mov_b32 s23, 0
.LBB51_5:                               ; =>This Inner Loop Header: Depth=1
	s_clause 0x1
	global_load_b32 v1, v2, s[14:15] scale_offset
	global_load_b32 v7, v3, s[14:15] scale_offset
	v_add_nc_u32_e32 v17, 0x200, v3
	v_add_nc_u32_e32 v15, 0x180, v3
	;; [unrolled: 1-line block ×14, first 2 shown]
	s_clause 0xd
	global_load_b32 v25, v17, s[14:15] scale_offset
	global_load_b32 v26, v15, s[14:15] scale_offset
	;; [unrolled: 1-line block ×14, first 2 shown]
	v_subrev_nc_u32_e32 v39, s28, v2
	v_subrev_nc_u32_e32 v40, s28, v3
	v_add_nc_u32_e32 v6, -8, v6
	s_wait_xcnt 0xa
	v_subrev_nc_u32_e32 v11, s28, v11
	s_wait_xcnt 0x9
	v_subrev_nc_u32_e32 v12, s28, v12
	v_dual_lshlrev_b32 v39, 2, v39 :: v_dual_lshlrev_b32 v40, 2, v40
	s_wait_xcnt 0x8
	v_subrev_nc_u32_e32 v14, s28, v14
	v_subrev_nc_u32_e32 v13, s28, v13
	v_cmp_eq_u32_e32 vcc_lo, 0, v6
	s_wait_xcnt 0x7
	v_subrev_nc_u32_e32 v16, s28, v16
	v_add_nc_u32_e32 v3, 0x400, v3
	v_subrev_nc_u32_e32 v15, s28, v15
	v_subrev_nc_u32_e32 v17, s28, v17
	s_wait_xcnt 0x6
	v_subrev_nc_u32_e32 v18, s28, v18
	s_wait_xcnt 0x3
	;; [unrolled: 2-line block ×3, first 2 shown]
	v_subrev_nc_u32_e32 v20, s28, v20
	v_subrev_nc_u32_e32 v21, s28, v21
	s_wait_xcnt 0x1
	v_subrev_nc_u32_e32 v22, s28, v22
	v_subrev_nc_u32_e32 v23, s28, v23
	s_wait_xcnt 0x0
	v_subrev_nc_u32_e32 v24, s28, v24
	v_add_nc_u32_e32 v2, 0x400, v2
	v_dual_lshlrev_b32 v12, 2, v12 :: v_dual_lshlrev_b32 v14, 2, v14
	v_dual_lshlrev_b32 v11, 2, v11 :: v_dual_lshlrev_b32 v13, 2, v13
	v_lshlrev_b32_e32 v16, 2, v16
	s_or_b32 s23, vcc_lo, s23
	v_dual_lshlrev_b32 v15, 2, v15 :: v_dual_lshlrev_b32 v18, 2, v18
	v_dual_lshlrev_b32 v17, 2, v17 :: v_dual_lshlrev_b32 v20, 2, v20
	;; [unrolled: 1-line block ×4, first 2 shown]
	v_lshlrev_b32_e32 v23, 2, v23
	s_wait_loadcnt 0xf
	v_subrev_nc_u32_e32 v1, s3, v1
	s_wait_loadcnt 0xe
	v_subrev_nc_u32_e32 v7, s3, v7
	ds_store_b32 v39, v1 offset:2816
	ds_store_b32 v40, v7 offset:2816
	s_wait_loadcnt 0xa
	v_subrev_nc_u32_e32 v1, s3, v28
	s_wait_loadcnt 0x9
	v_subrev_nc_u32_e32 v7, s3, v29
	;; [unrolled: 2-line block ×3, first 2 shown]
	v_subrev_nc_u32_e32 v27, s3, v27
	s_wait_loadcnt 0x7
	v_subrev_nc_u32_e32 v29, s3, v31
	v_subrev_nc_u32_e32 v26, s3, v26
	;; [unrolled: 1-line block ×3, first 2 shown]
	s_wait_loadcnt 0x6
	v_subrev_nc_u32_e32 v30, s3, v32
	s_wait_loadcnt 0x3
	v_subrev_nc_u32_e32 v31, s3, v35
	;; [unrolled: 2-line block ×3, first 2 shown]
	v_subrev_nc_u32_e32 v34, s3, v34
	s_wait_loadcnt 0x1
	v_subrev_nc_u32_e32 v35, s3, v37
	v_subrev_nc_u32_e32 v33, s3, v33
	s_wait_loadcnt 0x0
	v_subrev_nc_u32_e32 v36, s3, v38
	ds_store_b32 v12, v7 offset:2816
	ds_store_b32 v11, v1 offset:2816
	;; [unrolled: 1-line block ×14, first 2 shown]
	s_and_not1_b32 exec_lo, exec_lo, s23
	s_cbranch_execnz .LBB51_5
; %bb.6:
	s_or_b32 exec_lo, exec_lo, s23
.LBB51_7:
	s_delay_alu instid0(SALU_CYCLE_1) | instskip(SKIP_3) | instid1(VALU_DEP_1)
	s_or_b32 exec_lo, exec_lo, s22
	v_and_b32_e32 v1, 7, v5
	s_mov_b32 s23, 0
	s_mov_b32 s22, exec_lo
	v_cmpx_ne_u32_e32 0, v1
	s_cbranch_execz .LBB51_9
.LBB51_8:                               ; =>This Inner Loop Header: Depth=1
	s_clause 0x1
	global_load_b32 v5, v2, s[14:15] scale_offset
	global_load_b32 v6, v3, s[14:15] scale_offset
	v_subrev_nc_u32_e32 v7, s28, v2
	v_add_nc_u32_e32 v1, -1, v1
	v_subrev_nc_u32_e32 v11, s28, v3
	s_wait_xcnt 0x0
	v_add_nc_u32_e32 v3, 0x80, v3
	v_add_nc_u32_e32 v2, 0x80, v2
	v_lshlrev_b32_e32 v7, 2, v7
	v_cmp_eq_u32_e32 vcc_lo, 0, v1
	v_lshlrev_b32_e32 v11, 2, v11
	s_or_b32 s23, vcc_lo, s23
	s_wait_loadcnt 0x1
	v_subrev_nc_u32_e32 v5, s3, v5
	s_wait_loadcnt 0x0
	v_subrev_nc_u32_e32 v6, s3, v6
	ds_store_b32 v7, v5 offset:2816
	ds_store_b32 v11, v6 offset:2816
	s_and_not1_b32 exec_lo, exec_lo, s23
	s_cbranch_execnz .LBB51_8
.LBB51_9:
	s_or_b32 exec_lo, exec_lo, s22
	v_add_nc_u32_e32 v1, 1, v4
	s_delay_alu instid0(VALU_DEP_1) | instskip(NEXT) | instid1(VALU_DEP_1)
	v_and_b32_e32 v2, 0x7fffffe, v1
	v_cmp_ne_u32_e32 vcc_lo, v1, v2
	v_lshl_add_u32 v0, v2, 6, v0
	s_or_not1_b32 s22, vcc_lo, exec_lo
.LBB51_10:
	s_or_b32 exec_lo, exec_lo, s21
	s_delay_alu instid0(SALU_CYCLE_1)
	s_and_b32 exec_lo, exec_lo, s22
	s_cbranch_execz .LBB51_13
; %bb.11:
	v_add_nc_u32_e32 v1, s3, v0
	s_delay_alu instid0(VALU_DEP_1) | instskip(SKIP_2) | instid1(VALU_DEP_2)
	v_subrev_nc_u32_e32 v2, s20, v1
	v_ashrrev_i32_e32 v1, 31, v0
	s_mov_b32 s20, 0
	v_lshl_add_u32 v4, v2, 2, 0xb00
	s_delay_alu instid0(VALU_DEP_2)
	v_lshl_add_u64 v[2:3], v[0:1], 2, s[14:15]
.LBB51_12:                              ; =>This Inner Loop Header: Depth=1
	global_load_b32 v1, v[2:3], off
	v_add_nc_u32_e32 v0, 64, v0
	s_wait_xcnt 0x0
	v_add_nc_u64_e32 v[2:3], 0x100, v[2:3]
	s_delay_alu instid0(VALU_DEP_2)
	v_cmp_lt_i32_e32 vcc_lo, s17, v0
	s_or_b32 s20, vcc_lo, s20
	s_wait_loadcnt 0x0
	v_subrev_nc_u32_e32 v1, s3, v1
	ds_store_b32 v4, v1
	v_add_nc_u32_e32 v4, 0x100, v4
	s_and_not1_b32 exec_lo, exec_lo, s20
	s_cbranch_execnz .LBB51_12
.LBB51_13:
	s_or_b32 exec_lo, exec_lo, s2
	s_clause 0x1
	s_load_b32 s30, s[0:1], 0x0
	s_load_b32 s29, s[0:1], 0x8
	s_wait_xcnt 0x0
	s_movk_i32 s0, 0x48
	v_mov_b64_e32 v[0:1], 0
	v_mad_u32_u24 v12, v9, s0, 0x6c0
	s_cmp_ge_i32 s28, s17
	s_delay_alu instid0(VALU_DEP_1)
	v_lshl_add_u32 v11, v8, 3, v12
	ds_store_b64 v11, v[0:1]
	s_wait_dscnt 0x0
	s_cbranch_scc1 .LBB51_67
; %bb.14:
	s_movk_i32 s20, 0x480
	s_movk_i32 s2, 0x240
	s_wait_kmcnt 0x0
	s_cmp_lg_u32 s30, 0
	v_mul_lo_u32 v17, s29, v8
	v_mul_lo_u32 v18, s29, v9
	v_cmp_gt_i32_e64 s0, s29, v8
	v_cmp_gt_i32_e64 s1, s29, v9
	v_mad_u32_u24 v13, 0x48, v9, s20
	v_dual_lshlrev_b32 v0, 3, v8 :: v_dual_bitop2_b32 v1, v8, v9 bitop3:0x54
	v_mad_u32_u24 v16, 0x48, v9, s2
	s_cselect_b32 s31, -1, 0
	s_cmp_eq_u32 s30, 0
	s_delay_alu instid0(VALU_DEP_2)
	v_add_nc_u32_e32 v14, v13, v0
	s_cselect_b32 vcc_lo, -1, 0
	s_and_b32 s33, s0, s1
	v_mad_u32_u24 v15, 0x48, v9, v0
	v_add_nc_u32_e32 v19, v16, v0
	v_cmp_ne_u32_e64 s2, 0, v1
	v_mad_u32_u24 v20, 0x48, v8, s20
	v_dual_cndmask_b32 v21, v9, v8 :: v_dual_cndmask_b32 v22, v8, v9
	v_mov_b32_e32 v23, 0
	s_cmp_gt_i32 s29, 0
	s_mul_i32 s35, s29, s29
	s_cselect_b32 s34, -1, 0
	s_mov_b32 s20, s28
	s_branch .LBB51_17
.LBB51_15:                              ;   in Loop: Header=BB51_17 Depth=1
	s_wait_xcnt 0x0
	s_or_b32 exec_lo, exec_lo, s21
	s_add_co_i32 s20, s20, 1
	global_wb scope:SCOPE_DEV
	s_wait_storecnt 0x0
	global_inv scope:SCOPE_DEV
	s_cmp_ge_i32 s20, s17
	s_cselect_b32 s26, -1, 0
.LBB51_16:                              ;   in Loop: Header=BB51_17 Depth=1
	s_delay_alu instid0(SALU_CYCLE_1)
	s_and_b32 vcc_lo, exec_lo, s26
	s_cbranch_vccnz .LBB51_67
.LBB51_17:                              ; =>This Loop Header: Depth=1
                                        ;     Child Loop BB51_22 Depth 2
                                        ;     Child Loop BB51_33 Depth 2
	;; [unrolled: 1-line block ×4, first 2 shown]
                                        ;       Child Loop BB51_64 Depth 3
	s_ashr_i32 s21, s20, 31
	s_delay_alu instid0(SALU_CYCLE_1) | instskip(NEXT) | instid1(SALU_CYCLE_1)
	s_lshl_b64 s[22:23], s[20:21], 2
	s_add_nc_u64 s[22:23], s[14:15], s[22:23]
	s_load_b32 s21, s[22:23], 0x0
	s_wait_kmcnt 0x0
	s_sub_co_i32 s24, s21, s3
	s_delay_alu instid0(SALU_CYCLE_1) | instskip(SKIP_2) | instid1(SALU_CYCLE_1)
	s_ashr_i32 s25, s24, 31
	s_wait_xcnt 0x0
	s_lshl_b64 s[22:23], s[24:25], 2
	s_add_nc_u64 s[26:27], s[4:5], s[22:23]
	s_load_b32 s25, s[26:27], 0x0
	s_wait_xcnt 0x0
	s_mov_b32 s26, -1
	s_wait_kmcnt 0x0
	s_cmp_eq_u32 s25, -1
	s_cbranch_scc1 .LBB51_16
; %bb.18:                               ;   in Loop: Header=BB51_17 Depth=1
	v_mad_u32 v0, s20, s29, v22
	s_delay_alu instid0(VALU_DEP_1) | instskip(SKIP_1) | instid1(VALU_DEP_1)
	v_mad_u32 v24, v0, s29, v21
	v_mov_b32_e32 v0, 0
	v_mov_b32_e32 v1, v0
	s_and_saveexec_b32 s26, s33
	s_cbranch_execz .LBB51_20
; %bb.19:                               ;   in Loop: Header=BB51_17 Depth=1
	global_load_b64 v[0:1], v24, s[18:19] scale_offset
.LBB51_20:                              ;   in Loop: Header=BB51_17 Depth=1
	s_wait_xcnt 0x0
	s_or_b32 exec_lo, exec_lo, s26
	s_add_nc_u64 s[26:27], s[12:13], s[22:23]
	ds_load_b32 v2, v23 offset:2816
	s_load_b32 s26, s[26:27], 0x0
	s_wait_loadcnt 0x0
	ds_store_b64 v14, v[0:1]
	s_wait_dscnt 0x1
	v_cmp_ge_i32_e32 vcc_lo, s24, v2
	s_wait_kmcnt 0x0
	s_sub_co_i32 s26, s26, s3
	s_delay_alu instid0(SALU_CYCLE_1) | instskip(SKIP_1) | instid1(SALU_CYCLE_1)
	s_cmp_le_i32 s26, s25
	s_cselect_b32 s27, -1, 0
	s_and_b32 s27, s27, vcc_lo
	s_delay_alu instid0(SALU_CYCLE_1)
	s_and_not1_b32 vcc_lo, exec_lo, s27
	s_mov_b32 s27, 0
	s_cbranch_vccnz .LBB51_32
; %bb.21:                               ;   in Loop: Header=BB51_17 Depth=1
	s_mov_b32 s36, 0
	s_mov_b32 s37, 0
.LBB51_22:                              ;   Parent Loop BB51_17 Depth=1
                                        ; =>  This Inner Loop Header: Depth=2
	s_ashr_i32 s27, s26, 31
	s_lshl_b32 s40, s37, 2
	s_lshl_b64 s[38:39], s[26:27], 2
	v_mov_b32_e32 v0, s40
	s_add_nc_u64 s[38:39], s[14:15], s[38:39]
	s_mov_b32 s41, -1
	s_load_b32 s27, s[38:39], 0x0
                                        ; implicit-def: $sgpr40
                                        ; implicit-def: $sgpr39
	ds_load_b32 v0, v0 offset:2816
	s_wait_kmcnt 0x0
	s_sub_co_i32 s42, s27, s3
                                        ; implicit-def: $sgpr27
	s_wait_dscnt 0x0
	v_readfirstlane_b32 s38, v0
	v_cmp_ge_i32_e32 vcc_lo, s42, v0
	s_cbranch_vccz .LBB51_28
; %bb.23:                               ;   in Loop: Header=BB51_22 Depth=2
	s_cmp_le_i32 s42, s38
                                        ; implicit-def: $sgpr27
                                        ; implicit-def: $sgpr40
                                        ; implicit-def: $sgpr39
	s_cbranch_scc0 .LBB51_25
; %bb.24:                               ;   in Loop: Header=BB51_22 Depth=2
	s_add_co_i32 s27, s37, s28
	s_lshl_b32 s39, s36, 2
	s_mul_i32 s27, s27, s35
	s_delay_alu instid0(SALU_CYCLE_1)
	v_dual_mov_b32 v0, s39 :: v_dual_mov_b32 v1, s27
	s_mul_i32 s39, s26, s35
	s_add_co_i32 s40, s26, 1
	v_mov_b32_e32 v2, s39
	s_add_co_i32 s39, s37, 1
	s_add_co_i32 s27, s36, 1
	s_mov_b32 s41, 0
	ds_store_2addr_stride64_b32 v0, v2, v1 offset0:9 offset1:10
.LBB51_25:                              ;   in Loop: Header=BB51_22 Depth=2
	s_and_not1_b32 vcc_lo, exec_lo, s41
	s_cbranch_vccnz .LBB51_27
; %bb.26:                               ;   in Loop: Header=BB51_22 Depth=2
	s_add_co_i32 s39, s37, 1
	s_mov_b32 s27, s36
	s_mov_b32 s40, s26
.LBB51_27:                              ;   in Loop: Header=BB51_22 Depth=2
	s_mov_b32 s41, 0
.LBB51_28:                              ;   in Loop: Header=BB51_22 Depth=2
	s_delay_alu instid0(SALU_CYCLE_1)
	s_and_not1_b32 vcc_lo, exec_lo, s41
	s_cbranch_vccnz .LBB51_30
; %bb.29:                               ;   in Loop: Header=BB51_22 Depth=2
	s_add_co_i32 s40, s26, 1
	s_mov_b32 s39, s37
	s_mov_b32 s27, s36
.LBB51_30:                              ;   in Loop: Header=BB51_22 Depth=2
	s_cmp_le_i32 s40, s25
	s_cselect_b32 s26, -1, 0
	s_cmp_le_i32 s38, s24
	s_cselect_b32 s36, -1, 0
	s_delay_alu instid0(SALU_CYCLE_1) | instskip(NEXT) | instid1(SALU_CYCLE_1)
	s_and_b32 s26, s26, s36
	s_and_b32 vcc_lo, exec_lo, s26
	s_cbranch_vccz .LBB51_32
; %bb.31:                               ;   in Loop: Header=BB51_22 Depth=2
	s_mov_b32 s36, s27
	s_mov_b32 s26, s40
	;; [unrolled: 1-line block ×3, first 2 shown]
	s_branch .LBB51_22
.LBB51_32:                              ;   in Loop: Header=BB51_17 Depth=1
	s_add_nc_u64 s[22:23], s[6:7], s[22:23]
	s_wait_dscnt 0x0
.LBB51_33:                              ;   Parent Loop BB51_17 Depth=1
                                        ; =>  This Inner Loop Header: Depth=2
	global_load_b32 v0, v23, s[22:23] scope:SCOPE_DEV
	s_wait_loadcnt 0x0
	v_cmp_eq_u32_e32 vcc_lo, 0, v0
	s_cbranch_vccnz .LBB51_33
; %bb.34:                               ;   in Loop: Header=BB51_17 Depth=1
	v_dual_mov_b32 v1, 0 :: v_dual_mov_b32 v2, 0
	v_mov_b32_e32 v3, 0
	global_inv scope:SCOPE_DEV
	s_and_saveexec_b32 s22, s33
	s_cbranch_execz .LBB51_36
; %bb.35:                               ;   in Loop: Header=BB51_17 Depth=1
	v_mad_u32 v0, s25, s29, v22
	s_delay_alu instid0(VALU_DEP_1)
	v_mad_u32 v0, v0, s29, v21
	global_load_b64 v[2:3], v0, s[18:19] scale_offset
.LBB51_36:                              ;   in Loop: Header=BB51_17 Depth=1
	s_wait_xcnt 0x0
	s_or_b32 exec_lo, exec_lo, s22
	v_mov_b32_e32 v0, 0
	s_cmp_lt_i32 s27, 2
	s_wait_loadcnt 0x0
	ds_store_b64 v15, v[2:3]
	s_wait_dscnt 0x0
	s_cbranch_scc1 .LBB51_56
; %bb.37:                               ;   in Loop: Header=BB51_17 Depth=1
	v_mov_b64_e32 v[0:1], 0
	s_add_co_i32 s22, s27, -2
	s_mov_b32 s23, 0
	s_and_not1_b32 vcc_lo, exec_lo, s34
	s_cbranch_vccz .LBB51_40
	s_branch .LBB51_39
.LBB51_38:                              ;   in Loop: Header=BB51_17 Depth=1
	s_delay_alu instid0(VALU_DEP_1)
	v_mov_b64_e32 v[0:1], v[2:3]
	s_mov_b32 s23, s24
	s_and_not1_b32 vcc_lo, exec_lo, s34
	s_cbranch_vccz .LBB51_40
.LBB51_39:                              ;   in Loop: Header=BB51_17 Depth=1
	s_delay_alu instid0(VALU_DEP_1)
	v_mov_b64_e32 v[2:3], v[0:1]
	s_branch .LBB51_54
.LBB51_40:                              ;   in Loop: Header=BB51_17 Depth=1
	s_lshl_b32 s24, s23, 2
	s_delay_alu instid0(SALU_CYCLE_1)
	v_mov_b32_e32 v2, s24
	s_mov_b32 s24, 0
	ds_load_2addr_stride64_b32 v[2:3], v2 offset0:9 offset1:10
	s_wait_dscnt 0x0
	v_dual_add_nc_u32 v7, v2, v17 :: v_dual_add_nc_u32 v26, v9, v3
	v_add_nc_u32_e32 v25, v3, v18
	v_add_nc_u32_e32 v27, v8, v2
	s_and_b32 vcc_lo, exec_lo, s31
	s_mov_b32 s25, -1
                                        ; implicit-def: $vgpr2_vgpr3
	s_cbranch_vccz .LBB51_47
	s_branch .LBB51_42
.LBB51_41:                              ;   in Loop: Header=BB51_47 Depth=2
	v_mov_b64_e32 v[0:1], v[2:3]
	s_and_b32 vcc_lo, exec_lo, s31
	s_mov_b32 s25, -1
                                        ; implicit-def: $vgpr2_vgpr3
	s_cbranch_vccz .LBB51_47
.LBB51_42:                              ;   in Loop: Header=BB51_17 Depth=1
	v_dual_mov_b32 v4, 0 :: v_dual_mov_b32 v2, 0
	v_mov_b32_e32 v3, 0
	s_and_saveexec_b32 s25, s0
	s_cbranch_execz .LBB51_44
; %bb.43:                               ;   in Loop: Header=BB51_17 Depth=1
	global_load_b64 v[2:3], v27, s[18:19] scale_offset
.LBB51_44:                              ;   in Loop: Header=BB51_17 Depth=1
	s_wait_xcnt 0x0
	s_or_b32 exec_lo, exec_lo, s25
	v_mov_b32_e32 v6, 0
	s_and_saveexec_b32 s25, s1
	s_cbranch_execz .LBB51_46
; %bb.45:                               ;   in Loop: Header=BB51_17 Depth=1
	global_load_b64 v[4:5], v26, s[18:19] scale_offset
	s_wait_loadcnt 0x0
	v_mov_b32_e32 v6, v5
.LBB51_46:                              ;   in Loop: Header=BB51_17 Depth=1
	s_or_b32 exec_lo, exec_lo, s25
	s_wait_loadcnt 0x0
	v_dual_mov_b32 v28, v3 :: v_dual_mov_b32 v29, v2
	s_mov_b32 s25, 0
	s_delay_alu instid0(VALU_DEP_1) | instskip(NEXT) | instid1(VALU_DEP_1)
	v_pk_fma_f32 v[4:5], v[28:29], v[4:5], v[0:1] op_sel_hi:[1,0,1]
	v_pk_fma_f32 v[2:3], v[2:3], v[6:7], v[4:5] op_sel_hi:[1,0,1] neg_lo:[0,1,0]
.LBB51_47:                              ;   Parent Loop BB51_17 Depth=1
                                        ; =>  This Inner Loop Header: Depth=2
	s_and_b32 vcc_lo, exec_lo, s25
	s_cbranch_vccz .LBB51_53
; %bb.48:                               ;   in Loop: Header=BB51_47 Depth=2
	v_dual_mov_b32 v4, 0 :: v_dual_mov_b32 v2, 0
	v_mov_b32_e32 v3, 0
	s_and_saveexec_b32 s25, s0
	s_cbranch_execz .LBB51_50
; %bb.49:                               ;   in Loop: Header=BB51_47 Depth=2
	v_add_nc_u32_e32 v2, s24, v7
	global_load_b64 v[2:3], v2, s[18:19] scale_offset
.LBB51_50:                              ;   in Loop: Header=BB51_47 Depth=2
	s_wait_xcnt 0x0
	s_or_b32 exec_lo, exec_lo, s25
	v_mov_b32_e32 v6, 0
	s_and_saveexec_b32 s25, s1
	s_cbranch_execz .LBB51_52
; %bb.51:                               ;   in Loop: Header=BB51_47 Depth=2
	v_add_nc_u32_e32 v4, s24, v25
	global_load_b64 v[4:5], v4, s[18:19] scale_offset
	s_wait_loadcnt 0x0
	v_mov_b32_e32 v6, v5
.LBB51_52:                              ;   in Loop: Header=BB51_47 Depth=2
	s_or_b32 exec_lo, exec_lo, s25
	s_wait_loadcnt 0x0
	v_dual_mov_b32 v28, v3 :: v_dual_mov_b32 v29, v2
	s_delay_alu instid0(VALU_DEP_1) | instskip(NEXT) | instid1(VALU_DEP_1)
	v_pk_fma_f32 v[0:1], v[28:29], v[4:5], v[0:1] op_sel_hi:[1,0,1]
	v_pk_fma_f32 v[2:3], v[2:3], v[6:7], v[0:1] op_sel_hi:[1,0,1] neg_lo:[0,1,0]
.LBB51_53:                              ;   in Loop: Header=BB51_47 Depth=2
	v_dual_add_nc_u32 v26, s29, v26 :: v_dual_add_nc_u32 v27, s29, v27
	s_add_co_i32 s24, s24, 1
	s_delay_alu instid0(SALU_CYCLE_1)
	s_cmp_eq_u32 s29, s24
	s_cbranch_scc0 .LBB51_41
.LBB51_54:                              ;   in Loop: Header=BB51_17 Depth=1
	s_add_co_i32 s24, s23, 1
	s_cmp_eq_u32 s23, s22
	s_cbranch_scc0 .LBB51_38
; %bb.55:                               ;   in Loop: Header=BB51_17 Depth=1
	s_delay_alu instid0(VALU_DEP_1)
	v_dual_mov_b32 v1, v2 :: v_dual_mov_b32 v0, v3
.LBB51_56:                              ;   in Loop: Header=BB51_17 Depth=1
	s_and_not1_b32 vcc_lo, exec_lo, s34
	ds_store_b64 v19, v[0:1]
	s_wait_dscnt 0x0
	s_cbranch_vccnz .LBB51_65
; %bb.57:                               ;   in Loop: Header=BB51_17 Depth=1
	s_mov_b32 s22, 0
	s_mov_b32 s23, 0
	s_branch .LBB51_59
.LBB51_58:                              ;   in Loop: Header=BB51_59 Depth=2
	v_mul_f32_e32 v25, v4, v4
	s_wait_dscnt 0x0
	v_pk_add_f32 v[0:1], v[0:1], v[6:7] neg_lo:[0,1] neg_hi:[0,1]
	s_addk_co_i32 s22, 0x48
	s_delay_alu instid0(VALU_DEP_2) | instskip(NEXT) | instid1(VALU_DEP_1)
	v_fmac_f32_e32 v25, v2, v2
	v_div_scale_f32 v5, null, v25, v25, 1.0
	v_div_scale_f32 v28, vcc_lo, 1.0, v25, 1.0
	s_delay_alu instid0(VALU_DEP_2) | instskip(SKIP_1) | instid1(TRANS32_DEP_1)
	v_rcp_f32_e32 v26, v5
	v_nop
	v_fma_f32 v27, -v5, v26, 1.0
	s_delay_alu instid0(VALU_DEP_1) | instskip(NEXT) | instid1(VALU_DEP_1)
	v_fmac_f32_e32 v26, v27, v26
	v_mul_f32_e32 v27, v28, v26
	s_delay_alu instid0(VALU_DEP_1) | instskip(NEXT) | instid1(VALU_DEP_1)
	v_fma_f32 v29, -v5, v27, v28
	v_fmac_f32_e32 v27, v29, v26
	s_delay_alu instid0(VALU_DEP_1) | instskip(SKIP_1) | instid1(VALU_DEP_2)
	v_fma_f32 v6, -v5, v27, v28
	v_pk_mul_f32 v[4:5], v[4:5], v[0:1] op_sel:[0,1] op_sel_hi:[0,0] neg_hi:[0,1]
	v_div_fmas_f32 v6, v6, v26, v27
	s_delay_alu instid0(VALU_DEP_2) | instskip(NEXT) | instid1(VALU_DEP_2)
	v_pk_fma_f32 v[0:1], v[0:1], v[2:3], v[4:5] op_sel_hi:[1,0,1]
	v_div_fixup_f32 v2, v6, v25, 1.0
	s_delay_alu instid0(VALU_DEP_1) | instskip(SKIP_2) | instid1(SALU_CYCLE_1)
	v_pk_mul_f32 v[0:1], v[2:3], v[0:1] op_sel_hi:[0,1]
	v_lshl_add_u32 v2, s23, 3, v20
	s_add_co_i32 s23, s23, 1
	s_cmp_eq_u32 s23, s29
	ds_store_b64 v3, v[0:1]
	s_wait_storecnt_dscnt 0x0
	ds_load_b64 v[2:3], v2
	ds_load_b64 v[4:5], v11
	s_wait_dscnt 0x0
	v_pk_fma_f32 v[4:5], v[0:1], v[2:3], v[4:5] op_sel_hi:[1,0,1]
	s_delay_alu instid0(VALU_DEP_1) | instskip(NEXT) | instid1(VALU_DEP_1)
	v_pk_fma_f32 v[0:1], v[0:1], v[2:3], v[4:5] op_sel:[0,1,1] op_sel_hi:[1,1,0] neg_lo:[0,1,0]
	v_dual_mov_b32 v2, v1 :: v_dual_mov_b32 v3, v0
	ds_store_b64 v11, v[2:3]
	s_wait_dscnt 0x0
	s_cbranch_scc1 .LBB51_65
.LBB51_59:                              ;   Parent Loop BB51_17 Depth=1
                                        ; =>  This Loop Header: Depth=2
                                        ;       Child Loop BB51_64 Depth 3
	s_lshl_b32 s24, s23, 3
	s_mul_i32 s25, s23, 0x48
	v_add_nc_u32_e32 v3, s24, v13
	s_add_co_i32 s25, s25, s24
	s_delay_alu instid0(SALU_CYCLE_1)
	v_mov_b32_e32 v0, s25
	ds_load_b64 v[0:1], v0
	s_wait_dscnt 0x0
	v_readfirstlane_b32 s25, v0
	v_readfirstlane_b32 s24, v1
	ds_load_b64 v[0:1], v3
	s_cmp_neq_f32 s25, 0
	s_cselect_b32 s26, -1, 0
	s_cmp_neq_f32 s24, 0
	s_cselect_b32 s27, -1, 0
	s_delay_alu instid0(SALU_CYCLE_1) | instskip(NEXT) | instid1(SALU_CYCLE_1)
	s_or_b32 s26, s26, s27
	s_nor_b32 s27, s26, s2
	s_and_b32 s26, s26, exec_lo
	s_cselect_b32 s24, s24, 0
	s_cselect_b32 s25, s25, 1.0
	s_delay_alu instid0(SALU_CYCLE_1)
	v_dual_mov_b32 v4, s24 :: v_dual_mov_b32 v2, s25
	s_and_saveexec_b32 s24, s27
	s_cbranch_execz .LBB51_63
; %bb.60:                               ;   in Loop: Header=BB51_59 Depth=2
	v_mbcnt_lo_u32_b32 v2, exec_lo, 0
	s_mov_b32 s25, exec_lo
	s_delay_alu instid0(VALU_DEP_1)
	v_cmpx_eq_u32_e32 0, v2
	s_cbranch_execz .LBB51_62
; %bb.61:                               ;   in Loop: Header=BB51_59 Depth=2
	v_mov_b32_e32 v2, s21
	global_atomic_min_i32 v23, v2, s[10:11] scope:SCOPE_DEV
.LBB51_62:                              ;   in Loop: Header=BB51_59 Depth=2
	s_wait_xcnt 0x0
	s_or_b32 exec_lo, exec_lo, s25
	v_dual_mov_b32 v2, 1.0 :: v_dual_mov_b32 v4, 0
.LBB51_63:                              ;   in Loop: Header=BB51_59 Depth=2
	s_or_b32 exec_lo, exec_lo, s24
	v_lshl_add_u32 v5, s23, 3, v16
	s_cmp_eq_u32 s23, 0
	s_mov_b32 s24, s22
	s_mov_b32 s25, s23
	ds_load_b64 v[6:7], v5
	v_mov_b32_e32 v5, v13
	s_cbranch_scc1 .LBB51_58
.LBB51_64:                              ;   Parent Loop BB51_17 Depth=1
                                        ;     Parent Loop BB51_59 Depth=2
                                        ; =>    This Inner Loop Header: Depth=3
	v_mov_b32_e32 v25, s24
	s_add_co_i32 s25, s25, -1
	s_add_co_i32 s24, s24, 8
	s_cmp_eq_u32 s25, 0
	ds_load_b64 v[26:27], v5
	ds_load_b64 v[28:29], v25
	v_add_nc_u32_e32 v5, 8, v5
	s_wait_dscnt 0x0
	v_pk_fma_f32 v[6:7], v[28:29], v[26:27], v[6:7] op_sel_hi:[1,0,1]
	s_delay_alu instid0(VALU_DEP_1)
	v_pk_fma_f32 v[6:7], v[28:29], v[26:27], v[6:7] op_sel:[1,1,0] op_sel_hi:[0,1,1] neg_hi:[0,1,0]
	s_cbranch_scc0 .LBB51_64
	s_branch .LBB51_58
.LBB51_65:                              ;   in Loop: Header=BB51_17 Depth=1
	s_and_saveexec_b32 s21, s33
	s_cbranch_execz .LBB51_15
; %bb.66:                               ;   in Loop: Header=BB51_17 Depth=1
	ds_load_b64 v[0:1], v14
	s_wait_dscnt 0x0
	global_store_b64 v24, v[0:1], s[18:19] scale_offset
	s_branch .LBB51_15
.LBB51_67:
	s_wait_kmcnt 0x0
	s_cmp_eq_u32 s30, 0
	v_max_i32_e32 v1, v8, v9
	s_cselect_b32 vcc_lo, -1, 0
	v_dual_cndmask_b32 v3, v9, v8 :: v_dual_cndmask_b32 v0, v8, v9
	s_delay_alu instid0(VALU_DEP_1)
	v_mad_u32 v4, s17, s29, v0
	v_mov_b32_e32 v0, 0
	v_cmp_gt_i32_e64 s0, s29, v1
	v_mov_b32_e32 v1, 0
	s_and_saveexec_b32 s1, s0
	s_cbranch_execz .LBB51_69
; %bb.68:
	v_mad_u32 v0, v4, s29, v3
	global_load_b64 v[0:1], v0, s[18:19] scale_offset
.LBB51_69:
	s_wait_xcnt 0x0
	s_or_b32 exec_lo, exec_lo, s1
	s_movk_i32 s1, 0x48
	s_movk_i32 s4, 0x480
	v_mad_u32_u24 v6, v9, s1, 0x480
	s_cmp_lt_i32 s29, 1
	s_delay_alu instid0(VALU_DEP_1)
	v_lshl_add_u32 v5, v8, 3, v6
	s_wait_loadcnt 0x0
	ds_store_b64 v5, v[0:1]
	s_wait_dscnt 0x0
	s_cbranch_scc1 .LBB51_86
; %bb.70:
	v_dual_add_nc_u32 v7, v6, v10 :: v_dual_bitop2_b32 v0, v8, v9 bitop3:0x54
	v_dual_mov_b32 v1, 0 :: v_dual_add_nc_u32 v10, v12, v10
	v_mad_u32_u24 v12, v8, s1, 0x480
	s_delay_alu instid0(VALU_DEP_3)
	v_cmp_ne_u32_e64 s1, 0, v0
	s_mov_b32 s5, 0
	s_add_co_i32 s12, s16, s3
	s_branch .LBB51_72
.LBB51_71:                              ;   in Loop: Header=BB51_72 Depth=1
	s_or_b32 exec_lo, exec_lo, s2
	v_dual_add_nc_u32 v6, 8, v6 :: v_dual_add_nc_u32 v12, 8, v12
	s_add_co_i32 s5, s5, 1
	s_addk_co_i32 s4, 0x50
	s_cmp_eq_u32 s29, s5
	s_wait_storecnt_dscnt 0x0
	s_cbranch_scc1 .LBB51_86
.LBB51_72:                              ; =>This Inner Loop Header: Depth=1
	s_mov_b32 s13, exec_lo
	v_cmpx_eq_u32_e64 s5, v9
	s_cbranch_execz .LBB51_80
; %bb.73:                               ;   in Loop: Header=BB51_72 Depth=1
	ds_load_b64 v[14:15], v7
	ds_load_b64 v[16:17], v10
                                        ; implicit-def: $vgpr13
	s_mov_b32 s2, exec_lo
	s_wait_dscnt 0x0
	v_dual_sub_f32 v0, v14, v16 :: v_dual_sub_f32 v14, v15, v17
	s_delay_alu instid0(VALU_DEP_1) | instskip(SKIP_1) | instid1(VALU_DEP_3)
	v_cmp_gt_f32_e32 vcc_lo, 0, v0
	v_cndmask_b32_e64 v0, v0, -v0, vcc_lo
	v_cmp_gt_f32_e32 vcc_lo, 0, v14
	v_cndmask_b32_e64 v2, v14, -v14, vcc_lo
	s_delay_alu instid0(VALU_DEP_1)
	v_cmpx_ngt_f32_e32 v0, v2
	s_xor_b32 s14, exec_lo, s2
	s_cbranch_execz .LBB51_77
; %bb.74:                               ;   in Loop: Header=BB51_72 Depth=1
	v_mov_b32_e32 v13, 0
	s_mov_b32 s15, exec_lo
	v_cmpx_neq_f32_e32 0, v14
	s_cbranch_execz .LBB51_76
; %bb.75:                               ;   in Loop: Header=BB51_72 Depth=1
	v_div_scale_f32 v13, null, v2, v2, v0
	v_div_scale_f32 v16, vcc_lo, v0, v2, v0
	s_delay_alu instid0(VALU_DEP_2) | instskip(SKIP_1) | instid1(TRANS32_DEP_1)
	v_rcp_f32_e32 v14, v13
	v_nop
	v_fma_f32 v15, -v13, v14, 1.0
	s_delay_alu instid0(VALU_DEP_1) | instskip(NEXT) | instid1(VALU_DEP_1)
	v_fmac_f32_e32 v14, v15, v14
	v_mul_f32_e32 v15, v16, v14
	s_delay_alu instid0(VALU_DEP_1) | instskip(NEXT) | instid1(VALU_DEP_1)
	v_fma_f32 v17, -v13, v15, v16
	v_fmac_f32_e32 v15, v17, v14
	s_delay_alu instid0(VALU_DEP_1) | instskip(NEXT) | instid1(VALU_DEP_1)
	v_fma_f32 v13, -v13, v15, v16
	v_div_fmas_f32 v13, v13, v14, v15
	s_delay_alu instid0(VALU_DEP_1) | instskip(NEXT) | instid1(VALU_DEP_1)
	v_div_fixup_f32 v0, v13, v2, v0
	v_fma_f32 v0, v0, v0, 1.0
	s_delay_alu instid0(VALU_DEP_1) | instskip(SKIP_1) | instid1(VALU_DEP_2)
	v_mul_f32_e32 v13, 0x4f800000, v0
	v_cmp_gt_f32_e32 vcc_lo, 0xf800000, v0
	v_cndmask_b32_e32 v0, v0, v13, vcc_lo
	s_delay_alu instid0(VALU_DEP_1) | instskip(SKIP_1) | instid1(TRANS32_DEP_1)
	v_sqrt_f32_e32 v13, v0
	v_nop
	v_dual_add_nc_u32 v14, -1, v13 :: v_dual_add_nc_u32 v15, 1, v13
	s_delay_alu instid0(VALU_DEP_1) | instskip(NEXT) | instid1(VALU_DEP_1)
	v_fma_f32 v16, -v14, v13, v0
	v_cmp_ge_f32_e64 s2, 0, v16
	s_delay_alu instid0(VALU_DEP_1) | instskip(NEXT) | instid1(VALU_DEP_1)
	v_dual_fma_f32 v17, -v15, v13, v0 :: v_dual_cndmask_b32 v13, v13, v14, s2
	v_cmp_lt_f32_e64 s2, 0, v17
	s_delay_alu instid0(VALU_DEP_1) | instskip(NEXT) | instid1(VALU_DEP_1)
	v_cndmask_b32_e64 v13, v13, v15, s2
	v_mul_f32_e32 v14, 0x37800000, v13
	s_delay_alu instid0(VALU_DEP_1) | instskip(SKIP_1) | instid1(VALU_DEP_2)
	v_cndmask_b32_e32 v13, v13, v14, vcc_lo
	v_cmp_class_f32_e64 vcc_lo, v0, 0x260
	v_cndmask_b32_e32 v0, v13, v0, vcc_lo
	s_delay_alu instid0(VALU_DEP_1)
	v_mul_f32_e32 v13, v2, v0
.LBB51_76:                              ;   in Loop: Header=BB51_72 Depth=1
	s_or_b32 exec_lo, exec_lo, s15
                                        ; implicit-def: $vgpr0
                                        ; implicit-def: $vgpr2
.LBB51_77:                              ;   in Loop: Header=BB51_72 Depth=1
	s_and_not1_saveexec_b32 s14, s14
	s_cbranch_execz .LBB51_79
; %bb.78:                               ;   in Loop: Header=BB51_72 Depth=1
	v_div_scale_f32 v13, null, v0, v0, v2
	v_div_scale_f32 v16, vcc_lo, v2, v0, v2
	s_delay_alu instid0(VALU_DEP_2) | instskip(SKIP_1) | instid1(TRANS32_DEP_1)
	v_rcp_f32_e32 v14, v13
	v_nop
	v_fma_f32 v15, -v13, v14, 1.0
	s_delay_alu instid0(VALU_DEP_1) | instskip(NEXT) | instid1(VALU_DEP_1)
	v_fmac_f32_e32 v14, v15, v14
	v_mul_f32_e32 v15, v16, v14
	s_delay_alu instid0(VALU_DEP_1) | instskip(NEXT) | instid1(VALU_DEP_1)
	v_fma_f32 v17, -v13, v15, v16
	v_fmac_f32_e32 v15, v17, v14
	s_delay_alu instid0(VALU_DEP_1) | instskip(NEXT) | instid1(VALU_DEP_1)
	v_fma_f32 v13, -v13, v15, v16
	v_div_fmas_f32 v13, v13, v14, v15
	s_delay_alu instid0(VALU_DEP_1) | instskip(NEXT) | instid1(VALU_DEP_1)
	v_div_fixup_f32 v2, v13, v0, v2
	v_fma_f32 v2, v2, v2, 1.0
	s_delay_alu instid0(VALU_DEP_1) | instskip(SKIP_1) | instid1(VALU_DEP_2)
	v_mul_f32_e32 v13, 0x4f800000, v2
	v_cmp_gt_f32_e32 vcc_lo, 0xf800000, v2
	v_cndmask_b32_e32 v2, v2, v13, vcc_lo
	s_delay_alu instid0(VALU_DEP_1) | instskip(SKIP_1) | instid1(TRANS32_DEP_1)
	v_sqrt_f32_e32 v13, v2
	v_nop
	v_dual_add_nc_u32 v14, -1, v13 :: v_dual_add_nc_u32 v15, 1, v13
	s_delay_alu instid0(VALU_DEP_1) | instskip(NEXT) | instid1(VALU_DEP_1)
	v_fma_f32 v16, -v14, v13, v2
	v_cmp_ge_f32_e64 s2, 0, v16
	s_delay_alu instid0(VALU_DEP_1) | instskip(NEXT) | instid1(VALU_DEP_1)
	v_dual_fma_f32 v17, -v15, v13, v2 :: v_dual_cndmask_b32 v13, v13, v14, s2
	v_cmp_lt_f32_e64 s2, 0, v17
	s_delay_alu instid0(VALU_DEP_1) | instskip(NEXT) | instid1(VALU_DEP_1)
	v_cndmask_b32_e64 v13, v13, v15, s2
	v_mul_f32_e32 v14, 0x37800000, v13
	s_delay_alu instid0(VALU_DEP_1) | instskip(SKIP_1) | instid1(VALU_DEP_2)
	v_cndmask_b32_e32 v13, v13, v14, vcc_lo
	v_cmp_class_f32_e64 vcc_lo, v2, 0x260
	v_cndmask_b32_e32 v2, v13, v2, vcc_lo
	s_delay_alu instid0(VALU_DEP_1)
	v_mul_f32_e32 v13, v0, v2
.LBB51_79:                              ;   in Loop: Header=BB51_72 Depth=1
	s_or_b32 exec_lo, exec_lo, s14
	s_delay_alu instid0(VALU_DEP_1) | instskip(SKIP_1) | instid1(VALU_DEP_2)
	v_mul_f32_e32 v0, 0x4f800000, v13
	v_cmp_gt_f32_e32 vcc_lo, 0xf800000, v13
	v_cndmask_b32_e32 v0, v13, v0, vcc_lo
	s_delay_alu instid0(VALU_DEP_1) | instskip(SKIP_1) | instid1(TRANS32_DEP_1)
	v_sqrt_f32_e32 v2, v0
	v_nop
	v_dual_add_nc_u32 v13, -1, v2 :: v_dual_add_nc_u32 v14, 1, v2
	s_delay_alu instid0(VALU_DEP_1) | instskip(NEXT) | instid1(VALU_DEP_1)
	v_dual_fma_f32 v15, -v13, v2, v0 :: v_dual_fma_f32 v16, -v14, v2, v0
	v_cmp_ge_f32_e64 s2, 0, v15
	s_delay_alu instid0(VALU_DEP_1) | instskip(NEXT) | instid1(VALU_DEP_3)
	v_cndmask_b32_e64 v2, v2, v13, s2
	v_cmp_lt_f32_e64 s2, 0, v16
	s_delay_alu instid0(VALU_DEP_1) | instskip(NEXT) | instid1(VALU_DEP_1)
	v_cndmask_b32_e64 v2, v2, v14, s2
	v_mul_f32_e32 v13, 0x37800000, v2
	s_delay_alu instid0(VALU_DEP_1) | instskip(SKIP_1) | instid1(VALU_DEP_2)
	v_cndmask_b32_e32 v2, v2, v13, vcc_lo
	v_cmp_class_f32_e64 vcc_lo, v0, 0x260
	v_cndmask_b32_e32 v0, v2, v0, vcc_lo
	ds_store_b64 v7, v[0:1]
.LBB51_80:                              ;   in Loop: Header=BB51_72 Depth=1
	s_or_b32 exec_lo, exec_lo, s13
	v_mov_b32_e32 v0, s4
	s_wait_dscnt 0x0
	ds_load_b64 v[14:15], v0
	s_wait_dscnt 0x0
	v_readfirstlane_b32 s2, v14
	v_readfirstlane_b32 s13, v15
	s_cmp_neq_f32 s2, 0
	s_cselect_b32 s14, -1, 0
	s_cmp_neq_f32 s13, 0
	s_cselect_b32 s15, -1, 0
	s_delay_alu instid0(SALU_CYCLE_1) | instskip(NEXT) | instid1(SALU_CYCLE_1)
	s_or_b32 s14, s14, s15
	s_nor_b32 s15, s14, s1
	s_and_b32 s14, s14, exec_lo
	s_cselect_b32 s13, s13, 0
	s_cselect_b32 s2, s2, 1.0
	s_delay_alu instid0(SALU_CYCLE_1)
	v_dual_mov_b32 v2, s13 :: v_dual_mov_b32 v0, s2
	s_and_saveexec_b32 s2, s15
	s_cbranch_execz .LBB51_84
; %bb.81:                               ;   in Loop: Header=BB51_72 Depth=1
	v_mbcnt_lo_u32_b32 v0, exec_lo, 0
	s_mov_b32 s13, exec_lo
	s_delay_alu instid0(VALU_DEP_1)
	v_cmpx_eq_u32_e32 0, v0
	s_cbranch_execz .LBB51_83
; %bb.82:                               ;   in Loop: Header=BB51_72 Depth=1
	v_mov_b32_e32 v0, s12
	global_atomic_min_i32 v1, v0, s[10:11] scope:SCOPE_DEV
.LBB51_83:                              ;   in Loop: Header=BB51_72 Depth=1
	s_wait_xcnt 0x0
	s_or_b32 exec_lo, exec_lo, s13
	v_dual_mov_b32 v0, 1.0 :: v_dual_mov_b32 v2, 0
.LBB51_84:                              ;   in Loop: Header=BB51_72 Depth=1
	s_or_b32 exec_lo, exec_lo, s2
	s_delay_alu instid0(SALU_CYCLE_1)
	s_mov_b32 s2, exec_lo
	v_cmpx_lt_u32_e64 s5, v9
	s_cbranch_execz .LBB51_71
; %bb.85:                               ;   in Loop: Header=BB51_72 Depth=1
	v_mul_f32_e32 v13, v2, v2
	ds_load_2addr_b64 v[14:17], v6 offset1:72
	v_fmac_f32_e32 v13, v0, v0
	s_delay_alu instid0(VALU_DEP_1) | instskip(SKIP_1) | instid1(VALU_DEP_2)
	v_div_scale_f32 v18, null, v13, v13, 1.0
	v_div_scale_f32 v21, vcc_lo, 1.0, v13, 1.0
	v_rcp_f32_e32 v19, v18
	s_wait_dscnt 0x0
	v_pk_add_f32 v[14:15], v[14:15], v[16:17] op_sel:[1,1] op_sel_hi:[0,0] neg_lo:[0,1] neg_hi:[0,1]
	s_delay_alu instid0(TRANS32_DEP_1) | instskip(NEXT) | instid1(VALU_DEP_2)
	v_fma_f32 v20, -v18, v19, 1.0
	v_pk_mul_f32 v[16:17], v[2:3], v[14:15] op_sel:[0,1] op_sel_hi:[0,0] neg_lo:[0,1]
	s_delay_alu instid0(VALU_DEP_2) | instskip(NEXT) | instid1(VALU_DEP_2)
	v_fmac_f32_e32 v19, v20, v19
	v_pk_fma_f32 v[14:15], v[14:15], v[0:1], v[16:17] op_sel_hi:[1,0,1]
	s_delay_alu instid0(VALU_DEP_2) | instskip(NEXT) | instid1(VALU_DEP_1)
	v_mul_f32_e32 v20, v21, v19
	v_fma_f32 v22, -v18, v20, v21
	s_delay_alu instid0(VALU_DEP_1) | instskip(NEXT) | instid1(VALU_DEP_1)
	v_fmac_f32_e32 v20, v22, v19
	v_fma_f32 v18, -v18, v20, v21
	s_delay_alu instid0(VALU_DEP_1) | instskip(NEXT) | instid1(VALU_DEP_1)
	v_div_fmas_f32 v2, v18, v19, v20
	v_div_fixup_f32 v0, v2, v13, 1.0
	s_delay_alu instid0(VALU_DEP_1) | instskip(NEXT) | instid1(VALU_DEP_1)
	v_pk_mul_f32 v[14:15], v[0:1], v[14:15] op_sel_hi:[0,1]
	v_dual_mov_b32 v16, v15 :: v_dual_mov_b32 v17, v14
	ds_store_b64 v6, v[16:17]
	s_wait_storecnt_dscnt 0x0
	ds_load_b64 v[16:17], v12
	ds_load_b64 v[18:19], v11
	s_wait_dscnt 0x0
	v_pk_fma_f32 v[18:19], v[14:15], v[16:17], v[18:19] op_sel:[1,0,0] op_sel_hi:[0,0,1]
	s_delay_alu instid0(VALU_DEP_1)
	v_pk_fma_f32 v[14:15], v[14:15], v[16:17], v[18:19] op_sel:[0,1,0] neg_hi:[0,1,0]
	ds_store_b64 v11, v[14:15]
	s_branch .LBB51_71
.LBB51_86:
	s_and_saveexec_b32 s1, s0
	s_cbranch_execz .LBB51_88
; %bb.87:
	ds_load_b64 v[0:1], v5
	v_mad_u32 v2, v4, s29, v3
	s_wait_dscnt 0x0
	global_store_b64 v2, v[0:1], s[18:19] scale_offset
.LBB51_88:
	s_wait_xcnt 0x0
	s_or_b32 exec_lo, exec_lo, s1
	v_or_b32_e32 v0, v8, v9
	s_mov_b32 s0, 0
	s_mov_b32 s1, exec_lo
	s_delay_alu instid0(VALU_DEP_1)
	v_cmpx_eq_u32_e32 0, v0
	s_cbranch_execz .LBB51_90
; %bb.89:
	v_dual_mov_b32 v0, 0 :: v_dual_mov_b32 v1, 1
	s_add_nc_u64 s[4:5], s[6:7], s[8:9]
	global_wb scope:SCOPE_DEV
	s_wait_storecnt 0x0
	global_store_b32 v0, v1, s[4:5] scope:SCOPE_DEV
.LBB51_90:
	s_wait_xcnt 0x0
	s_or_b32 exec_lo, exec_lo, s1
	s_delay_alu instid0(SALU_CYCLE_1)
	s_and_b32 vcc_lo, exec_lo, s0
	s_cbranch_vccnz .LBB51_93
.LBB51_91:
	s_endpgm
.LBB51_92:
	s_cbranch_execz .LBB51_91
.LBB51_93:
	v_or_b32_e32 v0, v8, v9
	s_mov_b32 s0, exec_lo
	s_delay_alu instid0(VALU_DEP_1)
	v_cmpx_eq_u32_e32 0, v0
	s_cbranch_execz .LBB51_91
; %bb.94:
	v_mbcnt_lo_u32_b32 v0, exec_lo, 0
	s_mov_b32 s0, exec_lo
	s_delay_alu instid0(VALU_DEP_1)
	v_cmpx_eq_u32_e32 0, v0
	s_cbranch_execz .LBB51_96
; %bb.95:
	s_add_co_i32 s1, s16, s3
	s_delay_alu instid0(SALU_CYCLE_1)
	v_dual_mov_b32 v0, 0 :: v_dual_mov_b32 v1, s1
	global_atomic_min_i32 v0, v1, s[10:11] scope:SCOPE_DEV
.LBB51_96:
	s_wait_xcnt 0x0
	s_or_b32 exec_lo, exec_lo, s0
	v_dual_mov_b32 v0, 0 :: v_dual_mov_b32 v1, 1
	s_add_nc_u64 s[0:1], s[6:7], s[8:9]
	global_wb scope:SCOPE_DEV
	s_wait_storecnt 0x0
	global_store_b32 v0, v1, s[0:1] scope:SCOPE_DEV
	s_endpgm
	.section	.rodata,"a",@progbits
	.p2align	6, 0x0
	.amdhsa_kernel _ZN9rocsparseL17bsric0_2_8_kernelILi64ELi64ELi8E21rocsparse_complex_numIfEEEv20rocsparse_direction_iiPKiS5_PT2_S5_PiS5_S8_21rocsparse_index_base_
		.amdhsa_group_segment_fixed_size 3072
		.amdhsa_private_segment_fixed_size 0
		.amdhsa_kernarg_size 76
		.amdhsa_user_sgpr_count 2
		.amdhsa_user_sgpr_dispatch_ptr 0
		.amdhsa_user_sgpr_queue_ptr 0
		.amdhsa_user_sgpr_kernarg_segment_ptr 1
		.amdhsa_user_sgpr_dispatch_id 0
		.amdhsa_user_sgpr_kernarg_preload_length 0
		.amdhsa_user_sgpr_kernarg_preload_offset 0
		.amdhsa_user_sgpr_private_segment_size 0
		.amdhsa_wavefront_size32 1
		.amdhsa_uses_dynamic_stack 0
		.amdhsa_enable_private_segment 0
		.amdhsa_system_sgpr_workgroup_id_x 1
		.amdhsa_system_sgpr_workgroup_id_y 0
		.amdhsa_system_sgpr_workgroup_id_z 0
		.amdhsa_system_sgpr_workgroup_info 0
		.amdhsa_system_vgpr_workitem_id 1
		.amdhsa_next_free_vgpr 41
		.amdhsa_next_free_sgpr 43
		.amdhsa_named_barrier_count 0
		.amdhsa_reserve_vcc 1
		.amdhsa_float_round_mode_32 0
		.amdhsa_float_round_mode_16_64 0
		.amdhsa_float_denorm_mode_32 3
		.amdhsa_float_denorm_mode_16_64 3
		.amdhsa_fp16_overflow 0
		.amdhsa_memory_ordered 1
		.amdhsa_forward_progress 1
		.amdhsa_inst_pref_size 40
		.amdhsa_round_robin_scheduling 0
		.amdhsa_exception_fp_ieee_invalid_op 0
		.amdhsa_exception_fp_denorm_src 0
		.amdhsa_exception_fp_ieee_div_zero 0
		.amdhsa_exception_fp_ieee_overflow 0
		.amdhsa_exception_fp_ieee_underflow 0
		.amdhsa_exception_fp_ieee_inexact 0
		.amdhsa_exception_int_div_zero 0
	.end_amdhsa_kernel
	.section	.text._ZN9rocsparseL17bsric0_2_8_kernelILi64ELi64ELi8E21rocsparse_complex_numIfEEEv20rocsparse_direction_iiPKiS5_PT2_S5_PiS5_S8_21rocsparse_index_base_,"axG",@progbits,_ZN9rocsparseL17bsric0_2_8_kernelILi64ELi64ELi8E21rocsparse_complex_numIfEEEv20rocsparse_direction_iiPKiS5_PT2_S5_PiS5_S8_21rocsparse_index_base_,comdat
.Lfunc_end51:
	.size	_ZN9rocsparseL17bsric0_2_8_kernelILi64ELi64ELi8E21rocsparse_complex_numIfEEEv20rocsparse_direction_iiPKiS5_PT2_S5_PiS5_S8_21rocsparse_index_base_, .Lfunc_end51-_ZN9rocsparseL17bsric0_2_8_kernelILi64ELi64ELi8E21rocsparse_complex_numIfEEEv20rocsparse_direction_iiPKiS5_PT2_S5_PiS5_S8_21rocsparse_index_base_
                                        ; -- End function
	.set _ZN9rocsparseL17bsric0_2_8_kernelILi64ELi64ELi8E21rocsparse_complex_numIfEEEv20rocsparse_direction_iiPKiS5_PT2_S5_PiS5_S8_21rocsparse_index_base_.num_vgpr, 41
	.set _ZN9rocsparseL17bsric0_2_8_kernelILi64ELi64ELi8E21rocsparse_complex_numIfEEEv20rocsparse_direction_iiPKiS5_PT2_S5_PiS5_S8_21rocsparse_index_base_.num_agpr, 0
	.set _ZN9rocsparseL17bsric0_2_8_kernelILi64ELi64ELi8E21rocsparse_complex_numIfEEEv20rocsparse_direction_iiPKiS5_PT2_S5_PiS5_S8_21rocsparse_index_base_.numbered_sgpr, 43
	.set _ZN9rocsparseL17bsric0_2_8_kernelILi64ELi64ELi8E21rocsparse_complex_numIfEEEv20rocsparse_direction_iiPKiS5_PT2_S5_PiS5_S8_21rocsparse_index_base_.num_named_barrier, 0
	.set _ZN9rocsparseL17bsric0_2_8_kernelILi64ELi64ELi8E21rocsparse_complex_numIfEEEv20rocsparse_direction_iiPKiS5_PT2_S5_PiS5_S8_21rocsparse_index_base_.private_seg_size, 0
	.set _ZN9rocsparseL17bsric0_2_8_kernelILi64ELi64ELi8E21rocsparse_complex_numIfEEEv20rocsparse_direction_iiPKiS5_PT2_S5_PiS5_S8_21rocsparse_index_base_.uses_vcc, 1
	.set _ZN9rocsparseL17bsric0_2_8_kernelILi64ELi64ELi8E21rocsparse_complex_numIfEEEv20rocsparse_direction_iiPKiS5_PT2_S5_PiS5_S8_21rocsparse_index_base_.uses_flat_scratch, 0
	.set _ZN9rocsparseL17bsric0_2_8_kernelILi64ELi64ELi8E21rocsparse_complex_numIfEEEv20rocsparse_direction_iiPKiS5_PT2_S5_PiS5_S8_21rocsparse_index_base_.has_dyn_sized_stack, 0
	.set _ZN9rocsparseL17bsric0_2_8_kernelILi64ELi64ELi8E21rocsparse_complex_numIfEEEv20rocsparse_direction_iiPKiS5_PT2_S5_PiS5_S8_21rocsparse_index_base_.has_recursion, 0
	.set _ZN9rocsparseL17bsric0_2_8_kernelILi64ELi64ELi8E21rocsparse_complex_numIfEEEv20rocsparse_direction_iiPKiS5_PT2_S5_PiS5_S8_21rocsparse_index_base_.has_indirect_call, 0
	.section	.AMDGPU.csdata,"",@progbits
; Kernel info:
; codeLenInByte = 5020
; TotalNumSgprs: 45
; NumVgprs: 41
; ScratchSize: 0
; MemoryBound: 0
; FloatMode: 240
; IeeeMode: 1
; LDSByteSize: 3072 bytes/workgroup (compile time only)
; SGPRBlocks: 0
; VGPRBlocks: 2
; NumSGPRsForWavesPerEU: 45
; NumVGPRsForWavesPerEU: 41
; NamedBarCnt: 0
; Occupancy: 16
; WaveLimiterHint : 1
; COMPUTE_PGM_RSRC2:SCRATCH_EN: 0
; COMPUTE_PGM_RSRC2:USER_SGPR: 2
; COMPUTE_PGM_RSRC2:TRAP_HANDLER: 0
; COMPUTE_PGM_RSRC2:TGID_X_EN: 1
; COMPUTE_PGM_RSRC2:TGID_Y_EN: 0
; COMPUTE_PGM_RSRC2:TGID_Z_EN: 0
; COMPUTE_PGM_RSRC2:TIDIG_COMP_CNT: 1
	.section	.text._ZN9rocsparseL18bsric0_9_16_kernelILi64ELi64ELi16E21rocsparse_complex_numIfEEEv20rocsparse_direction_iiPKiS5_PT2_S5_PiS5_S8_21rocsparse_index_base_,"axG",@progbits,_ZN9rocsparseL18bsric0_9_16_kernelILi64ELi64ELi16E21rocsparse_complex_numIfEEEv20rocsparse_direction_iiPKiS5_PT2_S5_PiS5_S8_21rocsparse_index_base_,comdat
	.globl	_ZN9rocsparseL18bsric0_9_16_kernelILi64ELi64ELi16E21rocsparse_complex_numIfEEEv20rocsparse_direction_iiPKiS5_PT2_S5_PiS5_S8_21rocsparse_index_base_ ; -- Begin function _ZN9rocsparseL18bsric0_9_16_kernelILi64ELi64ELi16E21rocsparse_complex_numIfEEEv20rocsparse_direction_iiPKiS5_PT2_S5_PiS5_S8_21rocsparse_index_base_
	.p2align	8
	.type	_ZN9rocsparseL18bsric0_9_16_kernelILi64ELi64ELi16E21rocsparse_complex_numIfEEEv20rocsparse_direction_iiPKiS5_PT2_S5_PiS5_S8_21rocsparse_index_base_,@function
_ZN9rocsparseL18bsric0_9_16_kernelILi64ELi64ELi16E21rocsparse_complex_numIfEEEv20rocsparse_direction_iiPKiS5_PT2_S5_PiS5_S8_21rocsparse_index_base_: ; @_ZN9rocsparseL18bsric0_9_16_kernelILi64ELi64ELi16E21rocsparse_complex_numIfEEEv20rocsparse_direction_iiPKiS5_PT2_S5_PiS5_S8_21rocsparse_index_base_
; %bb.0:
	s_load_b256 s[8:15], s[0:1], 0x28
	s_bfe_u32 s2, ttmp6, 0x4000c
	s_and_b32 s3, ttmp6, 15
	s_add_co_i32 s2, s2, 1
	s_getreg_b32 s4, hwreg(HW_REG_IB_STS2, 6, 4)
	s_mul_i32 s2, ttmp9, s2
	v_and_b32_e32 v10, 0x3ff, v0
	s_add_co_i32 s3, s3, s2
	s_cmp_eq_u32 s4, 0
	v_bfe_u32 v11, v0, 10, 10
	s_cselect_b32 s2, ttmp9, s3
	s_wait_kmcnt 0x0
	s_load_b32 s12, s[12:13], s2 offset:0x0 scale_offset
	s_wait_kmcnt 0x0
	s_ashr_i32 s13, s12, 31
	s_delay_alu instid0(SALU_CYCLE_1) | instskip(NEXT) | instid1(SALU_CYCLE_1)
	s_lshl_b64 s[6:7], s[12:13], 2
	s_add_nc_u64 s[2:3], s[8:9], s[6:7]
	s_load_b32 s13, s[2:3], 0x0
	s_load_b32 s5, s[0:1], 0x48
	s_wait_kmcnt 0x0
	s_cmp_lg_u32 s13, -1
	s_cbranch_scc0 .LBB52_148
; %bb.1:
	s_clause 0x1
	s_load_b128 s[16:19], s[0:1], 0x10
	s_load_b64 s[20:21], s[0:1], 0x20
	v_lshlrev_b32_e32 v0, 2, v11
	s_wait_kmcnt 0x0
	s_add_nc_u64 s[2:3], s[16:17], s[6:7]
	s_load_b32 s2, s[2:3], 0x0
	s_wait_kmcnt 0x0
	s_sub_co_i32 s33, s2, s5
	s_mov_b32 s2, exec_lo
	v_add3_u32 v0, v0, v10, s33
	s_delay_alu instid0(VALU_DEP_1)
	v_cmpx_ge_i32_e64 s13, v0
	s_cbranch_execz .LBB52_4
; %bb.2:
	v_dual_lshlrev_b32 v1, 4, v11 :: v_dual_lshlrev_b32 v2, 2, v10
	s_mov_b32 s3, 0
	s_delay_alu instid0(VALU_DEP_1)
	v_add3_u32 v1, v1, v2, 0x2400
.LBB52_3:                               ; =>This Inner Loop Header: Depth=1
	global_load_b32 v2, v0, s[18:19] scale_offset
	s_wait_xcnt 0x0
	v_add_nc_u32_e32 v0, 64, v0
	s_delay_alu instid0(VALU_DEP_1)
	v_cmp_lt_i32_e32 vcc_lo, s13, v0
	s_or_b32 s3, vcc_lo, s3
	s_wait_loadcnt 0x0
	v_subrev_nc_u32_e32 v2, s5, v2
	ds_store_b32 v1, v2
	v_add_nc_u32_e32 v1, 0x100, v1
	s_and_not1_b32 exec_lo, exec_lo, s3
	s_cbranch_execnz .LBB52_3
.LBB52_4:
	s_or_b32 exec_lo, exec_lo, s2
	v_mul_u32_u24_e32 v12, 0x88, v11
	v_lshlrev_b32_e32 v13, 3, v10
	s_mov_b32 s2, exec_lo
	v_cmpx_gt_u32_e32 16, v10
	s_cbranch_execz .LBB52_7
; %bb.5:
	v_dual_lshlrev_b32 v3, 3, v10 :: v_dual_add_nc_u32 v2, -4, v10
	v_mov_b64_e32 v[0:1], 0
	s_mov_b32 s3, 0
	s_delay_alu instid0(VALU_DEP_2)
	v_add3_u32 v3, v12, v3, 0x1980
.LBB52_6:                               ; =>This Inner Loop Header: Depth=1
	s_delay_alu instid0(VALU_DEP_3) | instskip(SKIP_4) | instid1(SALU_CYCLE_1)
	v_add_nc_u32_e32 v2, 4, v2
	ds_store_b64 v3, v[0:1]
	v_add_nc_u32_e32 v3, 32, v3
	v_cmp_lt_u32_e32 vcc_lo, 11, v2
	s_or_b32 s3, vcc_lo, s3
	s_and_not1_b32 exec_lo, exec_lo, s3
	s_cbranch_execnz .LBB52_6
.LBB52_7:
	s_or_b32 exec_lo, exec_lo, s2
	s_clause 0x1
	s_load_b32 s30, s[0:1], 0x8
	s_load_b32 s31, s[0:1], 0x0
	v_mul_u32_u24_e32 v14, 0x88, v10
	s_cmp_ge_i32 s33, s13
	s_wait_dscnt 0x0
	s_wait_kmcnt 0x0
	v_cmp_gt_i32_e64 s0, s30, v10
	v_xad_u32 v15, v10, -1, s30
	s_cbranch_scc1 .LBB52_96
; %bb.8:
	s_delay_alu instid0(VALU_DEP_1) | instskip(SKIP_3) | instid1(VALU_DEP_4)
	v_dual_lshrrev_b32 v0, 2, v15 :: v_dual_lshlrev_b32 v18, 3, v10
	v_mad_u32 v1, s30, s33, v11
	v_mul_lo_u32 v19, s30, v11
	v_mul_lo_u32 v24, v10, s30
	v_dual_add_nc_u32 v0, 1, v0 :: v_dual_bitop2_b32 v2, v10, v11 bitop3:0x54
	v_mad_u32_u24 v21, 0x88, v11, v18
	s_movk_i32 s22, 0x88
	s_movk_i32 s2, 0x880
	s_delay_alu instid0(VALU_DEP_2)
	v_and_b32_e32 v20, 0x7ffffffe, v0
	v_mad_u32_u24 v16, v11, s22, 0x1100
	v_mad_u32_u24 v26, v10, s22, 0x1100
	v_mul_lo_u32 v27, s30, v1
	s_movk_i32 s22, 0x1980
	v_cmp_ne_u32_e64 s4, v0, v20
	v_mov_b64_e32 v[0:1], 0
	s_cmp_lg_u32 s31, 0
	v_cmp_gt_i32_e64 s1, s30, v11
	v_mad_u32_u24 v17, 0x88, v11, s2
	v_cmp_ne_u32_e64 s2, 0, v2
	v_cmp_lt_u32_e64 s3, 3, v15
	v_lshl_add_u32 v22, v20, 2, v10
	v_add_nc_u32_e32 v23, 0x880, v21
	v_mul_u32_u24_e32 v25, 0x88, v10
	v_dual_mov_b32 v31, 0 :: v_dual_add_nc_u32 v28, 0x1980, v21
	v_mad_u32_u24 v29, 0x88, v11, s22
	v_add_nc_u32_e32 v30, 0x1100, v21
	s_cselect_b32 s34, -1, 0
	s_cmp_gt_i32 s30, 0
	s_mul_i32 s36, s30, s30
	s_cselect_b32 s35, -1, 0
	s_lshl_b32 s37, s30, 2
	s_mov_b32 s22, s33
	s_branch .LBB52_10
.LBB52_9:                               ;   in Loop: Header=BB52_10 Depth=1
	s_or_b32 exec_lo, exec_lo, s24
	s_add_co_i32 s22, s22, 1
	v_add_nc_u32_e32 v27, s36, v27
	s_cmp_ge_i32 s22, s13
	global_wb scope:SCOPE_DEV
	s_wait_storecnt 0x0
	global_inv scope:SCOPE_DEV
	s_cselect_b32 s23, -1, 0
	s_delay_alu instid0(SALU_CYCLE_1)
	s_and_b32 vcc_lo, exec_lo, s23
	s_cbranch_vccnz .LBB52_96
.LBB52_10:                              ; =>This Loop Header: Depth=1
                                        ;     Child Loop BB52_14 Depth 2
                                        ;     Child Loop BB52_26 Depth 2
                                        ;     Child Loop BB52_37 Depth 2
                                        ;     Child Loop BB52_41 Depth 2
                                        ;     Child Loop BB52_54 Depth 2
                                        ;       Child Loop BB52_56 Depth 3
                                        ;     Child Loop BB52_70 Depth 2
                                        ;       Child Loop BB52_75 Depth 3
                                        ;       Child Loop BB52_79 Depth 3
	;; [unrolled: 1-line block ×3, first 2 shown]
                                        ;     Child Loop BB52_91 Depth 2
	s_ashr_i32 s23, s22, 31
	s_delay_alu instid0(SALU_CYCLE_1) | instskip(NEXT) | instid1(SALU_CYCLE_1)
	s_lshl_b64 s[24:25], s[22:23], 2
	s_add_nc_u64 s[24:25], s[18:19], s[24:25]
	s_load_b32 s38, s[24:25], 0x0
	s_wait_kmcnt 0x0
	s_sub_co_i32 s26, s38, s5
	s_delay_alu instid0(SALU_CYCLE_1) | instskip(SKIP_2) | instid1(SALU_CYCLE_1)
	s_ashr_i32 s27, s26, 31
	s_wait_xcnt 0x0
	s_lshl_b64 s[24:25], s[26:27], 2
	s_add_nc_u64 s[28:29], s[8:9], s[24:25]
	s_load_b32 s27, s[28:29], 0x0
	s_wait_kmcnt 0x0
	s_cmp_eq_u32 s27, -1
	s_cbranch_scc1 .LBB52_95
; %bb.11:                               ;   in Loop: Header=BB52_10 Depth=1
	s_wait_xcnt 0x0
	s_add_nc_u64 s[28:29], s[16:17], s[24:25]
	s_mul_i32 s23, s22, s30
	s_load_b32 s28, s[28:29], 0x0
	s_wait_xcnt 0x0
	s_and_saveexec_b32 s29, s0
	s_cbranch_execz .LBB52_24
; %bb.12:                               ;   in Loop: Header=BB52_10 Depth=1
	v_dual_mov_b32 v4, v23 :: v_dual_mov_b32 v5, v10
	s_mov_b32 s39, 0
	s_branch .LBB52_14
.LBB52_13:                              ;   in Loop: Header=BB52_14 Depth=2
	s_wait_xcnt 0x0
	s_or_b32 exec_lo, exec_lo, s41
	v_add_nc_u32_e32 v5, 4, v5
	s_wait_loadcnt 0x0
	ds_store_b64 v4, v[2:3] offset:2176
	ds_store_b64 v4, v[0:1]
	v_add_nc_u32_e32 v4, 32, v4
	v_cmp_le_i32_e32 vcc_lo, s30, v5
	s_or_b32 s39, vcc_lo, s39
	s_delay_alu instid0(SALU_CYCLE_1)
	s_and_not1_b32 exec_lo, exec_lo, s39
	s_cbranch_execz .LBB52_24
.LBB52_14:                              ;   Parent Loop BB52_10 Depth=1
                                        ; =>  This Inner Loop Header: Depth=2
	s_and_b32 vcc_lo, exec_lo, s34
	s_cbranch_vccz .LBB52_21
; %bb.15:                               ;   in Loop: Header=BB52_14 Depth=2
	s_mov_b32 s41, 0
	s_mov_b32 s40, 0
                                        ; implicit-def: $vgpr6
	s_and_saveexec_b32 s42, s1
	s_delay_alu instid0(SALU_CYCLE_1)
	s_xor_b32 s42, exec_lo, s42
; %bb.16:                               ;   in Loop: Header=BB52_14 Depth=2
	v_add_nc_u32_e32 v2, s23, v5
	s_mov_b32 s40, exec_lo
	s_delay_alu instid0(VALU_DEP_1)
	v_mad_u32 v6, v2, s30, v11
; %bb.17:                               ;   in Loop: Header=BB52_14 Depth=2
	s_or_b32 exec_lo, exec_lo, s42
	s_delay_alu instid0(SALU_CYCLE_1)
	s_and_b32 vcc_lo, exec_lo, s41
	s_cbranch_vccz .LBB52_22
.LBB52_18:                              ;   in Loop: Header=BB52_14 Depth=2
                                        ; implicit-def: $vgpr6
	s_and_saveexec_b32 s41, s1
; %bb.19:                               ;   in Loop: Header=BB52_14 Depth=2
	v_add_nc_u32_e32 v6, v27, v5
	s_or_b32 s40, s40, exec_lo
; %bb.20:                               ;   in Loop: Header=BB52_14 Depth=2
	s_or_b32 exec_lo, exec_lo, s41
	v_dual_mov_b32 v2, 0 :: v_dual_mov_b32 v3, 0
	s_and_saveexec_b32 s41, s40
	s_cbranch_execz .LBB52_13
	s_branch .LBB52_23
.LBB52_21:                              ;   in Loop: Header=BB52_14 Depth=2
	s_mov_b32 s40, 0
                                        ; implicit-def: $vgpr6
	s_cbranch_execnz .LBB52_18
.LBB52_22:                              ;   in Loop: Header=BB52_14 Depth=2
	v_dual_mov_b32 v2, 0 :: v_dual_mov_b32 v3, 0
	s_and_saveexec_b32 s41, s40
	s_cbranch_execz .LBB52_13
.LBB52_23:                              ;   in Loop: Header=BB52_14 Depth=2
	global_load_b64 v[2:3], v6, s[20:21] scale_offset
	s_branch .LBB52_13
.LBB52_24:                              ;   in Loop: Header=BB52_10 Depth=1
	s_or_b32 exec_lo, exec_lo, s29
	ds_load_b32 v2, v31 offset:9216
	s_wait_kmcnt 0x0
	s_sub_co_i32 s28, s28, s5
	s_delay_alu instid0(SALU_CYCLE_1) | instskip(SKIP_4) | instid1(SALU_CYCLE_1)
	s_cmp_le_i32 s28, s27
	s_cselect_b32 s29, -1, 0
	s_wait_dscnt 0x0
	v_cmp_ge_i32_e32 vcc_lo, s26, v2
	s_and_b32 s29, s29, vcc_lo
	s_and_not1_b32 vcc_lo, exec_lo, s29
	s_mov_b32 s29, 0
	s_cbranch_vccnz .LBB52_36
; %bb.25:                               ;   in Loop: Header=BB52_10 Depth=1
	s_mov_b32 s39, 0
	s_mov_b32 s40, 0
.LBB52_26:                              ;   Parent Loop BB52_10 Depth=1
                                        ; =>  This Inner Loop Header: Depth=2
	s_ashr_i32 s29, s28, 31
	s_lshl_b32 s41, s40, 2
	s_wait_xcnt 0x0
	s_lshl_b64 s[42:43], s[28:29], 2
	v_mov_b32_e32 v2, s41
	s_add_nc_u64 s[42:43], s[18:19], s[42:43]
	s_mov_b32 s44, -1
	s_load_b32 s29, s[42:43], 0x0
                                        ; implicit-def: $sgpr43
                                        ; implicit-def: $sgpr42
	ds_load_b32 v2, v2 offset:9216
	s_wait_kmcnt 0x0
	s_sub_co_i32 s45, s29, s5
                                        ; implicit-def: $sgpr29
	s_wait_dscnt 0x0
	v_readfirstlane_b32 s41, v2
	v_cmp_ge_i32_e32 vcc_lo, s45, v2
	s_cbranch_vccz .LBB52_32
; %bb.27:                               ;   in Loop: Header=BB52_26 Depth=2
	s_cmp_le_i32 s45, s41
                                        ; implicit-def: $sgpr29
                                        ; implicit-def: $sgpr43
                                        ; implicit-def: $sgpr42
	s_cbranch_scc0 .LBB52_29
; %bb.28:                               ;   in Loop: Header=BB52_26 Depth=2
	s_add_co_i32 s29, s40, s33
	s_wait_xcnt 0x0
	s_lshl_b32 s42, s39, 2
	s_mul_i32 s29, s29, s36
	s_delay_alu instid0(SALU_CYCLE_1)
	v_dual_mov_b32 v2, s42 :: v_dual_mov_b32 v3, s29
	s_mul_i32 s42, s28, s36
	s_add_co_i32 s43, s28, 1
	v_mov_b32_e32 v4, s42
	s_add_co_i32 s42, s40, 1
	s_add_co_i32 s29, s39, 1
	s_mov_b32 s44, 0
	ds_store_2addr_stride64_b32 v2, v4, v3 offset0:34 offset1:35
.LBB52_29:                              ;   in Loop: Header=BB52_26 Depth=2
	s_and_not1_b32 vcc_lo, exec_lo, s44
	s_cbranch_vccnz .LBB52_31
; %bb.30:                               ;   in Loop: Header=BB52_26 Depth=2
	s_wait_xcnt 0x0
	s_add_co_i32 s42, s40, 1
	s_mov_b32 s29, s39
	s_mov_b32 s43, s28
.LBB52_31:                              ;   in Loop: Header=BB52_26 Depth=2
	s_mov_b32 s44, 0
.LBB52_32:                              ;   in Loop: Header=BB52_26 Depth=2
	s_delay_alu instid0(SALU_CYCLE_1)
	s_and_not1_b32 vcc_lo, exec_lo, s44
	s_cbranch_vccnz .LBB52_34
; %bb.33:                               ;   in Loop: Header=BB52_26 Depth=2
	s_wait_xcnt 0x0
	s_add_co_i32 s43, s28, 1
	s_mov_b32 s42, s40
	s_mov_b32 s29, s39
.LBB52_34:                              ;   in Loop: Header=BB52_26 Depth=2
	s_cmp_le_i32 s43, s27
	s_cselect_b32 s28, -1, 0
	s_cmp_le_i32 s41, s26
	s_cselect_b32 s39, -1, 0
	s_delay_alu instid0(SALU_CYCLE_1) | instskip(NEXT) | instid1(SALU_CYCLE_1)
	s_and_b32 s28, s28, s39
	s_and_b32 vcc_lo, exec_lo, s28
	s_cbranch_vccz .LBB52_36
; %bb.35:                               ;   in Loop: Header=BB52_26 Depth=2
	s_mov_b32 s39, s29
	s_mov_b32 s28, s43
	;; [unrolled: 1-line block ×3, first 2 shown]
	s_branch .LBB52_26
.LBB52_36:                              ;   in Loop: Header=BB52_10 Depth=1
	s_add_nc_u64 s[24:25], s[10:11], s[24:25]
	s_wait_dscnt 0x0
.LBB52_37:                              ;   Parent Loop BB52_10 Depth=1
                                        ; =>  This Inner Loop Header: Depth=2
	global_load_b32 v2, v31, s[24:25] scope:SCOPE_DEV
	s_wait_loadcnt 0x0
	v_cmp_eq_u32_e32 vcc_lo, 0, v2
	s_cbranch_vccnz .LBB52_37
; %bb.38:                               ;   in Loop: Header=BB52_10 Depth=1
	global_inv scope:SCOPE_DEV
	s_wait_xcnt 0x0
	s_and_saveexec_b32 s24, s0
	s_cbranch_execz .LBB52_51
; %bb.39:                               ;   in Loop: Header=BB52_10 Depth=1
	s_mul_i32 s27, s27, s30
	s_delay_alu instid0(SALU_CYCLE_1) | instskip(SKIP_2) | instid1(VALU_DEP_2)
	v_dual_mov_b32 v6, v10 :: v_dual_add_nc_u32 v2, s27, v11
	v_mov_b32_e32 v5, v21
	s_mov_b32 s25, 0
	v_mul_lo_u32 v4, v2, s30
	s_branch .LBB52_41
.LBB52_40:                              ;   in Loop: Header=BB52_41 Depth=2
	s_wait_xcnt 0x0
	s_or_b32 exec_lo, exec_lo, s28
	v_add_nc_u32_e32 v6, 4, v6
	s_wait_loadcnt 0x0
	ds_store_b64 v5, v[2:3]
	v_add_nc_u32_e32 v5, 32, v5
	v_cmp_le_i32_e32 vcc_lo, s30, v6
	s_or_b32 s25, vcc_lo, s25
	s_delay_alu instid0(SALU_CYCLE_1)
	s_and_not1_b32 exec_lo, exec_lo, s25
	s_cbranch_execz .LBB52_51
.LBB52_41:                              ;   Parent Loop BB52_10 Depth=1
                                        ; =>  This Inner Loop Header: Depth=2
	s_and_b32 vcc_lo, exec_lo, s34
	s_cbranch_vccz .LBB52_48
; %bb.42:                               ;   in Loop: Header=BB52_41 Depth=2
	s_mov_b32 s28, 0
	s_mov_b32 s26, 0
                                        ; implicit-def: $vgpr7
	s_and_saveexec_b32 s39, s1
	s_delay_alu instid0(SALU_CYCLE_1)
	s_xor_b32 s39, exec_lo, s39
; %bb.43:                               ;   in Loop: Header=BB52_41 Depth=2
	v_add_nc_u32_e32 v2, s27, v6
	s_mov_b32 s26, exec_lo
	s_delay_alu instid0(VALU_DEP_1)
	v_mad_u32 v7, v2, s30, v11
; %bb.44:                               ;   in Loop: Header=BB52_41 Depth=2
	s_or_b32 exec_lo, exec_lo, s39
	s_delay_alu instid0(SALU_CYCLE_1)
	s_and_b32 vcc_lo, exec_lo, s28
	s_cbranch_vccz .LBB52_49
.LBB52_45:                              ;   in Loop: Header=BB52_41 Depth=2
                                        ; implicit-def: $vgpr7
	s_and_saveexec_b32 s28, s1
; %bb.46:                               ;   in Loop: Header=BB52_41 Depth=2
	s_delay_alu instid0(VALU_DEP_1)
	v_add_nc_u32_e32 v7, v4, v6
	s_or_b32 s26, s26, exec_lo
; %bb.47:                               ;   in Loop: Header=BB52_41 Depth=2
	s_or_b32 exec_lo, exec_lo, s28
	v_dual_mov_b32 v2, 0 :: v_dual_mov_b32 v3, 0
	s_and_saveexec_b32 s28, s26
	s_cbranch_execz .LBB52_40
	s_branch .LBB52_50
.LBB52_48:                              ;   in Loop: Header=BB52_41 Depth=2
	s_mov_b32 s26, 0
                                        ; implicit-def: $vgpr7
	s_cbranch_execnz .LBB52_45
.LBB52_49:                              ;   in Loop: Header=BB52_41 Depth=2
	v_dual_mov_b32 v2, 0 :: v_dual_mov_b32 v3, 0
	s_and_saveexec_b32 s28, s26
	s_cbranch_execz .LBB52_40
.LBB52_50:                              ;   in Loop: Header=BB52_41 Depth=2
	global_load_b64 v[2:3], v7, s[20:21] scale_offset
	s_branch .LBB52_40
.LBB52_51:                              ;   in Loop: Header=BB52_10 Depth=1
	s_or_b32 exec_lo, exec_lo, s24
	s_cmp_lt_i32 s29, 2
	s_cbranch_scc1 .LBB52_67
; %bb.52:                               ;   in Loop: Header=BB52_10 Depth=1
	s_add_co_i32 s24, s29, -2
	s_mov_b32 s25, 0
	s_branch .LBB52_54
.LBB52_53:                              ;   in Loop: Header=BB52_54 Depth=2
	s_or_b32 exec_lo, exec_lo, s26
	s_add_co_i32 s26, s25, 1
	s_cmp_eq_u32 s25, s24
	s_mov_b32 s25, s26
	s_cbranch_scc1 .LBB52_67
.LBB52_54:                              ;   Parent Loop BB52_10 Depth=1
                                        ; =>  This Loop Header: Depth=2
                                        ;       Child Loop BB52_56 Depth 3
	s_and_saveexec_b32 s26, s0
	s_cbranch_execz .LBB52_53
; %bb.55:                               ;   in Loop: Header=BB52_54 Depth=2
	s_lshl_b32 s27, s25, 2
	s_delay_alu instid0(SALU_CYCLE_1)
	v_dual_mov_b32 v34, v10 :: v_dual_mov_b32 v2, s27
	s_mov_b32 s27, 0
	ds_load_2addr_stride64_b32 v[2:3], v2 offset0:34 offset1:35
	s_wait_dscnt 0x0
	v_add_nc_u32_e32 v8, v3, v19
	v_dual_add_nc_u32 v9, v11, v3 :: v_dual_add_nc_u32 v32, v10, v2
	v_add_nc_u32_e32 v33, v24, v2
.LBB52_56:                              ;   Parent Loop BB52_10 Depth=1
                                        ;     Parent Loop BB52_54 Depth=2
                                        ; =>    This Inner Loop Header: Depth=3
	v_mov_b64_e32 v[2:3], 0
	s_delay_alu instid0(VALU_DEP_3)
	v_dual_mov_b32 v35, v32 :: v_dual_mov_b32 v36, v9
	s_mov_b32 s28, 0
	s_and_b32 vcc_lo, exec_lo, s34
	s_cbranch_vccnz .LBB52_59
	s_branch .LBB52_58
.LBB52_57:                              ;   in Loop: Header=BB52_56 Depth=3
	v_mov_b64_e32 v[2:3], v[4:5]
	s_and_b32 vcc_lo, exec_lo, s34
	s_cbranch_vccnz .LBB52_59
.LBB52_58:                              ;   in Loop: Header=BB52_56 Depth=3
                                        ; implicit-def: $vgpr4_vgpr5
	s_cbranch_execz .LBB52_65
	s_branch .LBB52_62
.LBB52_59:                              ;   in Loop: Header=BB52_56 Depth=3
	global_load_b64 v[4:5], v35, s[20:21] scale_offset
	v_dual_mov_b32 v6, 0 :: v_dual_mov_b32 v7, 0
	s_wait_xcnt 0x0
	s_and_saveexec_b32 s29, s1
	s_cbranch_execz .LBB52_61
; %bb.60:                               ;   in Loop: Header=BB52_56 Depth=3
	global_load_b64 v[6:7], v36, s[20:21] scale_offset
.LBB52_61:                              ;   in Loop: Header=BB52_56 Depth=3
	s_wait_xcnt 0x0
	s_or_b32 exec_lo, exec_lo, s29
	s_wait_loadcnt 0x0
	v_pk_add_f32 v[40:41], v[6:7], 0 neg_lo:[1,1] neg_hi:[1,1]
	v_pk_fma_f32 v[38:39], v[4:5], v[6:7], v[2:3] op_sel_hi:[1,0,1]
	v_mov_b32_e32 v40, v7
	s_delay_alu instid0(VALU_DEP_1)
	v_pk_fma_f32 v[4:5], v[4:5], v[40:41], v[38:39] op_sel:[1,0,0] op_sel_hi:[0,1,1]
	s_branch .LBB52_65
.LBB52_62:                              ;   in Loop: Header=BB52_56 Depth=3
	v_dual_add_nc_u32 v4, s28, v33 :: v_dual_mov_b32 v6, 0
	v_mov_b32_e32 v7, 0
	global_load_b64 v[4:5], v4, s[20:21] scale_offset
	s_wait_xcnt 0x0
	s_and_saveexec_b32 s29, s1
	s_cbranch_execz .LBB52_64
; %bb.63:                               ;   in Loop: Header=BB52_56 Depth=3
	v_add_nc_u32_e32 v6, s28, v8
	global_load_b64 v[6:7], v6, s[20:21] scale_offset
.LBB52_64:                              ;   in Loop: Header=BB52_56 Depth=3
	s_wait_xcnt 0x0
	s_or_b32 exec_lo, exec_lo, s29
	s_wait_loadcnt 0x0
	v_pk_add_f32 v[38:39], v[6:7], 0 neg_lo:[1,1] neg_hi:[1,1]
	v_pk_fma_f32 v[2:3], v[4:5], v[6:7], v[2:3] op_sel_hi:[1,0,1]
	v_mov_b32_e32 v38, v7
	s_delay_alu instid0(VALU_DEP_1)
	v_pk_fma_f32 v[4:5], v[4:5], v[38:39], v[2:3] op_sel:[1,0,0] op_sel_hi:[0,1,1]
.LBB52_65:                              ;   in Loop: Header=BB52_56 Depth=3
	v_dual_add_nc_u32 v36, s30, v36 :: v_dual_add_nc_u32 v35, s30, v35
	s_add_co_i32 s28, s28, 1
	s_delay_alu instid0(SALU_CYCLE_1)
	s_cmp_eq_u32 s30, s28
	s_cbranch_scc0 .LBB52_57
; %bb.66:                               ;   in Loop: Header=BB52_56 Depth=3
	v_lshl_add_u32 v6, v34, 3, v17
	v_dual_add_nc_u32 v34, 4, v34 :: v_dual_add_nc_u32 v32, 4, v32
	v_add_nc_u32_e32 v33, s37, v33
	ds_load_b64 v[2:3], v6
	v_cmp_le_i32_e32 vcc_lo, s30, v34
	s_or_b32 s27, vcc_lo, s27
	s_wait_dscnt 0x0
	v_pk_add_f32 v[2:3], v[4:5], v[2:3]
	ds_store_b64 v6, v[2:3]
	s_and_not1_b32 exec_lo, exec_lo, s27
	s_cbranch_execnz .LBB52_56
	s_branch .LBB52_53
.LBB52_67:                              ;   in Loop: Header=BB52_10 Depth=1
	s_and_not1_b32 vcc_lo, exec_lo, s35
	s_wait_loadcnt_dscnt 0x0
	s_cbranch_vccnz .LBB52_86
; %bb.68:                               ;   in Loop: Header=BB52_10 Depth=1
	v_mov_b32_e32 v32, v26
	s_mov_b32 s24, 0
	s_mov_b32 s25, 0
	;; [unrolled: 1-line block ×3, first 2 shown]
	s_branch .LBB52_70
.LBB52_69:                              ;   in Loop: Header=BB52_70 Depth=2
	s_or_b32 exec_lo, exec_lo, s27
	v_add_nc_u32_e32 v32, 8, v32
	s_add_co_i32 s26, s26, 1
	s_addk_co_i32 s25, 0x88
	s_add_co_i32 s24, s24, 8
	s_cmp_eq_u32 s26, s30
	s_wait_dscnt 0x0
	s_cbranch_scc1 .LBB52_86
.LBB52_70:                              ;   Parent Loop BB52_10 Depth=1
                                        ; =>  This Loop Header: Depth=2
                                        ;       Child Loop BB52_75 Depth 3
                                        ;       Child Loop BB52_79 Depth 3
	;; [unrolled: 1-line block ×3, first 2 shown]
	s_lshl_b32 s27, s26, 3
	s_mul_i32 s28, s26, 0x88
	v_add_nc_u32_e32 v5, s27, v16
	s_add_co_i32 s28, s28, s27
	s_delay_alu instid0(SALU_CYCLE_1)
	v_mov_b32_e32 v2, s28
	ds_load_b64 v[2:3], v2
	s_wait_dscnt 0x0
	v_readfirstlane_b32 s28, v2
	v_readfirstlane_b32 s27, v3
	ds_load_b64 v[2:3], v5
	s_cmp_neq_f32 s28, 0
	s_cselect_b32 s29, -1, 0
	s_cmp_neq_f32 s27, 0
	s_cselect_b32 s39, -1, 0
	s_delay_alu instid0(SALU_CYCLE_1) | instskip(NEXT) | instid1(SALU_CYCLE_1)
	s_or_b32 s29, s29, s39
	s_nor_b32 s39, s29, s2
	s_and_b32 s29, s29, exec_lo
	s_cselect_b32 s28, s28, 1.0
	s_cselect_b32 s27, s27, 0
	s_delay_alu instid0(SALU_CYCLE_1)
	v_dual_mov_b32 v4, s28 :: v_dual_mov_b32 v6, s27
	s_and_saveexec_b32 s27, s39
	s_cbranch_execz .LBB52_74
; %bb.71:                               ;   in Loop: Header=BB52_70 Depth=2
	v_mbcnt_lo_u32_b32 v4, exec_lo, 0
	s_mov_b32 s28, exec_lo
	s_delay_alu instid0(VALU_DEP_1)
	v_cmpx_eq_u32_e32 0, v4
	s_cbranch_execz .LBB52_73
; %bb.72:                               ;   in Loop: Header=BB52_70 Depth=2
	v_mov_b32_e32 v4, s38
	global_atomic_min_i32 v31, v4, s[14:15] scope:SCOPE_DEV
.LBB52_73:                              ;   in Loop: Header=BB52_70 Depth=2
	s_wait_xcnt 0x0
	s_or_b32 exec_lo, exec_lo, s28
	v_dual_mov_b32 v6, 0 :: v_dual_mov_b32 v4, 1.0
.LBB52_74:                              ;   in Loop: Header=BB52_70 Depth=2
	s_or_b32 exec_lo, exec_lo, s27
	v_lshl_add_u32 v7, s26, 3, v17
	s_cmp_eq_u32 s26, 0
	s_mov_b32 s27, s25
	s_mov_b32 s28, s26
	ds_load_b64 v[8:9], v7
	v_mov_b32_e32 v7, v16
	s_cbranch_scc1 .LBB52_76
.LBB52_75:                              ;   Parent Loop BB52_10 Depth=1
                                        ;     Parent Loop BB52_70 Depth=2
                                        ; =>    This Inner Loop Header: Depth=3
	v_mov_b32_e32 v33, s27
	s_add_co_i32 s28, s28, -1
	s_add_co_i32 s27, s27, 8
	s_cmp_eq_u32 s28, 0
	ds_load_b64 v[34:35], v7
	ds_load_b64 v[36:37], v33
	v_add_nc_u32_e32 v7, 8, v7
	s_wait_dscnt 0x0
	v_pk_fma_f32 v[8:9], v[36:37], v[34:35], v[8:9] op_sel_hi:[1,0,1]
	s_delay_alu instid0(VALU_DEP_1)
	v_pk_fma_f32 v[8:9], v[36:37], v[34:35], v[8:9] op_sel:[1,1,0] op_sel_hi:[0,1,1] neg_hi:[0,1,0]
	s_cbranch_scc0 .LBB52_75
.LBB52_76:                              ;   in Loop: Header=BB52_70 Depth=2
	v_mul_f32_e32 v33, v6, v6
	s_wait_dscnt 0x0
	s_delay_alu instid0(VALU_DEP_2) | instskip(NEXT) | instid1(VALU_DEP_2)
	v_pk_add_f32 v[2:3], v[2:3], v[8:9] neg_lo:[0,1] neg_hi:[0,1]
	v_fmac_f32_e32 v33, v4, v4
	s_delay_alu instid0(VALU_DEP_1) | instskip(NEXT) | instid1(VALU_DEP_1)
	v_div_scale_f32 v7, null, v33, v33, 1.0
	v_rcp_f32_e32 v34, v7
	v_nop
	s_delay_alu instid0(TRANS32_DEP_1) | instskip(NEXT) | instid1(VALU_DEP_1)
	v_fma_f32 v35, -v7, v34, 1.0
	v_fmac_f32_e32 v34, v35, v34
	v_div_scale_f32 v36, vcc_lo, 1.0, v33, 1.0
	s_delay_alu instid0(VALU_DEP_1) | instskip(NEXT) | instid1(VALU_DEP_1)
	v_mul_f32_e32 v35, v36, v34
	v_fma_f32 v37, -v7, v35, v36
	s_delay_alu instid0(VALU_DEP_1) | instskip(NEXT) | instid1(VALU_DEP_1)
	v_fmac_f32_e32 v35, v37, v34
	v_fma_f32 v8, -v7, v35, v36
	v_pk_mul_f32 v[6:7], v[6:7], v[2:3] op_sel:[0,1] op_sel_hi:[0,0] neg_hi:[0,1]
	s_delay_alu instid0(VALU_DEP_2) | instskip(NEXT) | instid1(VALU_DEP_2)
	v_div_fmas_f32 v8, v8, v34, v35
	v_pk_fma_f32 v[2:3], v[2:3], v[4:5], v[6:7] op_sel_hi:[1,0,1]
	s_delay_alu instid0(VALU_DEP_2) | instskip(NEXT) | instid1(VALU_DEP_1)
	v_div_fixup_f32 v4, v8, v33, 1.0
	v_pk_mul_f32 v[2:3], v[4:5], v[2:3] op_sel_hi:[0,1]
	ds_store_b64 v5, v[2:3]
	s_wait_storecnt_dscnt 0x0
	s_and_saveexec_b32 s27, s0
	s_cbranch_execz .LBB52_69
; %bb.77:                               ;   in Loop: Header=BB52_70 Depth=2
	v_dual_mov_b32 v4, v10 :: v_dual_mov_b32 v5, v18
	v_mov_b32_e32 v6, v25
	s_mov_b32 s29, -1
	s_and_saveexec_b32 s28, s3
	s_cbranch_execz .LBB52_83
; %bb.78:                               ;   in Loop: Header=BB52_70 Depth=2
	v_dual_mov_b32 v4, v2 :: v_dual_mov_b32 v5, v2
	v_dual_mov_b32 v6, v3 :: v_dual_mov_b32 v7, v3
	;; [unrolled: 1-line block ×3, first 2 shown]
	v_mov_b32_e32 v33, v32
	s_mov_b32 s29, 0
.LBB52_79:                              ;   Parent Loop BB52_10 Depth=1
                                        ;     Parent Loop BB52_70 Depth=2
                                        ; =>    This Inner Loop Header: Depth=3
	ds_load_2addr_b64 v[34:37], v33 offset1:68
	ds_load_2addr_b64 v[38:41], v9 offset1:4
	s_wait_dscnt 0x1
	v_dual_mov_b32 v42, v34 :: v_dual_add_nc_u32 v33, 0x440, v33
	s_wait_dscnt 0x0
	v_dual_mov_b32 v43, v36 :: v_dual_mov_b32 v44, v38
	v_dual_mov_b32 v45, v40 :: v_dual_mov_b32 v40, v39
	v_mov_b32_e32 v36, v35
	s_delay_alu instid0(VALU_DEP_2) | instskip(NEXT) | instid1(VALU_DEP_3)
	v_pk_fma_f32 v[34:35], v[4:5], v[42:43], v[44:45]
	v_pk_fma_f32 v[38:39], v[6:7], v[42:43], v[40:41]
	s_delay_alu instid0(VALU_DEP_2) | instskip(NEXT) | instid1(VALU_DEP_2)
	v_pk_fma_f32 v[34:35], v[6:7], v[36:37], v[34:35]
	v_pk_fma_f32 v[36:37], v[4:5], v[36:37], v[38:39] neg_lo:[0,1,0] neg_hi:[0,1,0]
	s_delay_alu instid0(VALU_DEP_2) | instskip(NEXT) | instid1(VALU_DEP_2)
	v_dual_add_nc_u32 v8, -2, v8 :: v_dual_mov_b32 v38, v34
	v_dual_mov_b32 v39, v36 :: v_dual_mov_b32 v36, v35
	s_delay_alu instid0(VALU_DEP_2) | instskip(SKIP_3) | instid1(SALU_CYCLE_1)
	v_cmp_eq_u32_e32 vcc_lo, 0, v8
	ds_store_2addr_b64 v9, v[38:39], v[36:37] offset1:4
	v_add_nc_u32_e32 v9, 64, v9
	s_or_b32 s29, vcc_lo, s29
	s_and_not1_b32 exec_lo, exec_lo, s29
	s_cbranch_execnz .LBB52_79
; %bb.80:                               ;   in Loop: Header=BB52_70 Depth=2
	s_or_b32 exec_lo, exec_lo, s29
	s_mov_b32 s29, 0
                                        ; implicit-def: $vgpr5
                                        ; implicit-def: $vgpr6
	s_and_saveexec_b32 s39, s4
; %bb.81:                               ;   in Loop: Header=BB52_70 Depth=2
	v_mul_lo_u32 v6, 0x88, v22
	v_lshlrev_b32_e32 v5, 3, v22
	s_mov_b32 s29, exec_lo
; %bb.82:                               ;   in Loop: Header=BB52_70 Depth=2
	s_or_b32 exec_lo, exec_lo, s39
	v_mov_b32_e32 v4, v22
	s_or_not1_b32 s29, s29, exec_lo
.LBB52_83:                              ;   in Loop: Header=BB52_70 Depth=2
	s_or_b32 exec_lo, exec_lo, s28
	s_delay_alu instid0(SALU_CYCLE_1)
	s_and_b32 exec_lo, exec_lo, s29
	s_cbranch_execz .LBB52_69
; %bb.84:                               ;   in Loop: Header=BB52_70 Depth=2
	s_delay_alu instid0(VALU_DEP_1)
	v_dual_add_nc_u32 v5, v29, v5 :: v_dual_add_nc_u32 v6, s24, v6
	s_mov_b32 s28, 0
.LBB52_85:                              ;   Parent Loop BB52_10 Depth=1
                                        ;     Parent Loop BB52_70 Depth=2
                                        ; =>    This Inner Loop Header: Depth=3
	ds_load_b64 v[8:9], v6 offset:4352
	ds_load_b64 v[34:35], v5
	v_add_nc_u32_e32 v6, 0x220, v6
	s_wait_dscnt 0x0
	v_pk_fma_f32 v[34:35], v[2:3], v[8:9], v[34:35] op_sel_hi:[1,0,1]
	s_delay_alu instid0(VALU_DEP_1) | instskip(NEXT) | instid1(VALU_DEP_1)
	v_pk_fma_f32 v[8:9], v[2:3], v[8:9], v[34:35] op_sel:[0,1,1] op_sel_hi:[1,1,0] neg_lo:[0,1,0]
	v_dual_add_nc_u32 v4, 4, v4 :: v_dual_mov_b32 v34, v9
	s_delay_alu instid0(VALU_DEP_2) | instskip(NEXT) | instid1(VALU_DEP_2)
	v_mov_b32_e32 v35, v8
	v_cmp_le_i32_e32 vcc_lo, s30, v4
	ds_store_b64 v5, v[34:35]
	v_add_nc_u32_e32 v5, 32, v5
	s_or_b32 s28, vcc_lo, s28
	s_delay_alu instid0(SALU_CYCLE_1)
	s_and_not1_b32 exec_lo, exec_lo, s28
	s_cbranch_execnz .LBB52_85
	s_branch .LBB52_69
.LBB52_86:                              ;   in Loop: Header=BB52_10 Depth=1
	s_and_saveexec_b32 s24, s0
	s_cbranch_execz .LBB52_9
; %bb.87:                               ;   in Loop: Header=BB52_10 Depth=1
	v_dual_mov_b32 v2, v30 :: v_dual_mov_b32 v3, v10
	s_mov_b32 s25, 0
	s_branch .LBB52_91
.LBB52_88:                              ;   in Loop: Header=BB52_91 Depth=2
	v_add_nc_u32_e32 v4, v27, v3
.LBB52_89:                              ;   in Loop: Header=BB52_91 Depth=2
	ds_load_b64 v[6:7], v2
	s_wait_dscnt 0x0
	global_store_b64 v4, v[6:7], s[20:21] scale_offset
.LBB52_90:                              ;   in Loop: Header=BB52_91 Depth=2
	s_wait_xcnt 0x0
	s_or_b32 exec_lo, exec_lo, s26
	v_dual_add_nc_u32 v3, 4, v3 :: v_dual_add_nc_u32 v2, 32, v2
	s_delay_alu instid0(VALU_DEP_1) | instskip(SKIP_1) | instid1(SALU_CYCLE_1)
	v_cmp_le_i32_e32 vcc_lo, s30, v3
	s_or_b32 s25, vcc_lo, s25
	s_and_not1_b32 exec_lo, exec_lo, s25
	s_cbranch_execz .LBB52_9
.LBB52_91:                              ;   Parent Loop BB52_10 Depth=1
                                        ; =>  This Inner Loop Header: Depth=2
	s_and_saveexec_b32 s26, s1
	s_cbranch_execz .LBB52_90
; %bb.92:                               ;   in Loop: Header=BB52_91 Depth=2
	s_and_b32 vcc_lo, exec_lo, s34
	s_cbranch_vccz .LBB52_94
; %bb.93:                               ;   in Loop: Header=BB52_91 Depth=2
	v_add_nc_u32_e32 v4, s23, v3
	s_delay_alu instid0(VALU_DEP_1)
	v_mad_u32 v4, v4, s30, v11
	s_cbranch_execnz .LBB52_89
	s_branch .LBB52_88
.LBB52_94:                              ;   in Loop: Header=BB52_91 Depth=2
                                        ; implicit-def: $vgpr4
	s_branch .LBB52_88
.LBB52_95:                              ;   in Loop: Header=BB52_10 Depth=1
                                        ; implicit-def: $sgpr22
                                        ; implicit-def: $vgpr27
	s_cbranch_execz .LBB52_10
.LBB52_96:
	v_cmp_gt_i32_e64 s0, s30, v10
	s_and_saveexec_b32 s2, s0
	s_cbranch_execz .LBB52_109
; %bb.97:
	s_mul_i32 s3, s13, s30
	v_cmp_gt_i32_e64 s1, s30, v11
	v_dual_add_nc_u32 v0, s3, v11 :: v_dual_mov_b32 v4, v10
	s_cmp_lg_u32 s31, 0
	s_mov_b32 s4, 0
	s_cselect_b32 s8, -1, 0
	s_delay_alu instid0(VALU_DEP_1) | instskip(SKIP_1) | instid1(VALU_DEP_1)
	v_mul_lo_u32 v2, v0, s30
	v_lshlrev_b32_e32 v0, 3, v10
	v_add3_u32 v3, v12, v0, 0x1100
	s_branch .LBB52_99
.LBB52_98:                              ;   in Loop: Header=BB52_99 Depth=1
	s_wait_xcnt 0x0
	s_or_b32 exec_lo, exec_lo, s16
	v_add_nc_u32_e32 v4, 4, v4
	s_wait_loadcnt 0x0
	ds_store_b64 v3, v[0:1]
	v_add_nc_u32_e32 v3, 32, v3
	v_cmp_le_i32_e32 vcc_lo, s30, v4
	s_or_b32 s4, vcc_lo, s4
	s_delay_alu instid0(SALU_CYCLE_1)
	s_and_not1_b32 exec_lo, exec_lo, s4
	s_cbranch_execz .LBB52_109
.LBB52_99:                              ; =>This Inner Loop Header: Depth=1
	s_and_b32 vcc_lo, exec_lo, s8
	s_cbranch_vccz .LBB52_106
; %bb.100:                              ;   in Loop: Header=BB52_99 Depth=1
	s_mov_b32 s16, 0
	s_mov_b32 s9, 0
                                        ; implicit-def: $vgpr5
	s_and_saveexec_b32 s17, s1
	s_delay_alu instid0(SALU_CYCLE_1)
	s_xor_b32 s17, exec_lo, s17
; %bb.101:                              ;   in Loop: Header=BB52_99 Depth=1
	v_add_nc_u32_e32 v0, s3, v4
	s_mov_b32 s9, exec_lo
	s_delay_alu instid0(VALU_DEP_1)
	v_mad_u32 v5, v0, s30, v11
; %bb.102:                              ;   in Loop: Header=BB52_99 Depth=1
	s_or_b32 exec_lo, exec_lo, s17
	s_delay_alu instid0(SALU_CYCLE_1)
	s_and_b32 vcc_lo, exec_lo, s16
	s_cbranch_vccz .LBB52_107
.LBB52_103:                             ;   in Loop: Header=BB52_99 Depth=1
                                        ; implicit-def: $vgpr5
	s_and_saveexec_b32 s16, s1
; %bb.104:                              ;   in Loop: Header=BB52_99 Depth=1
	s_delay_alu instid0(VALU_DEP_3)
	v_add_nc_u32_e32 v5, v2, v4
	s_or_b32 s9, s9, exec_lo
; %bb.105:                              ;   in Loop: Header=BB52_99 Depth=1
	s_or_b32 exec_lo, exec_lo, s16
	v_dual_mov_b32 v0, 0 :: v_dual_mov_b32 v1, 0
	s_and_saveexec_b32 s16, s9
	s_cbranch_execz .LBB52_98
	s_branch .LBB52_108
.LBB52_106:                             ;   in Loop: Header=BB52_99 Depth=1
	s_mov_b32 s9, 0
                                        ; implicit-def: $vgpr5
	s_cbranch_execnz .LBB52_103
.LBB52_107:                             ;   in Loop: Header=BB52_99 Depth=1
	v_dual_mov_b32 v0, 0 :: v_dual_mov_b32 v1, 0
	s_and_saveexec_b32 s16, s9
	s_cbranch_execz .LBB52_98
.LBB52_108:                             ;   in Loop: Header=BB52_99 Depth=1
	global_load_b64 v[0:1], v5, s[20:21] scale_offset
	s_branch .LBB52_98
.LBB52_109:
	s_or_b32 exec_lo, exec_lo, s2
	s_cmp_lt_i32 s30, 1
	s_wait_loadcnt_dscnt 0x0
	s_cbranch_scc1 .LBB52_135
; %bb.110:
	s_movk_i32 s4, 0x88
	v_lshlrev_b32_e32 v2, 3, v11
	v_mad_u32_u24 v8, v11, s4, 0x1100
	v_lshrrev_b32_e32 v0, 2, v15
	s_movk_i32 s1, 0x1980
	v_cmp_lt_u32_e64 s2, 3, v15
	v_mad_u32_u24 v16, 0x88, v11, s1
	s_delay_alu instid0(VALU_DEP_3)
	v_dual_add_nc_u32 v18, v8, v2 :: v_dual_add_nc_u32 v0, 1, v0
	v_or_b32_e32 v1, v10, v11
	v_mad_u32_u24 v15, v10, s4, 0x1100
	v_add3_u32 v21, v12, v13, 0x1980
	s_mov_b32 s8, 0
	v_and_b32_e32 v9, 0x7ffffffe, v0
	v_cmp_ne_u32_e64 s1, 0, v1
	v_mov_b32_e32 v1, 0
	s_add_co_i32 s9, s12, s5
	s_mov_b32 s16, 0
	v_lshl_add_u32 v17, v9, 2, v10
	v_add_nc_u32_e32 v19, v16, v2
	v_cmp_ne_u32_e64 s3, v0, v9
	s_delay_alu instid0(VALU_DEP_3)
	v_mul_lo_u32 v20, 0x88, v17
	v_lshlrev_b32_e32 v22, 3, v17
	s_branch .LBB52_112
.LBB52_111:                             ;   in Loop: Header=BB52_112 Depth=1
	s_or_b32 exec_lo, exec_lo, s4
	v_add_nc_u32_e32 v15, 8, v15
	s_add_co_i32 s16, s16, 1
	s_add_co_i32 s8, s8, 8
	s_cmp_eq_u32 s16, s30
	s_wait_storecnt_dscnt 0x0
	s_cbranch_scc1 .LBB52_135
.LBB52_112:                             ; =>This Loop Header: Depth=1
                                        ;     Child Loop BB52_128 Depth 2
                                        ;     Child Loop BB52_134 Depth 2
	s_mov_b32 s17, exec_lo
	v_cmpx_eq_u32_e64 s16, v11
	s_cbranch_execz .LBB52_120
; %bb.113:                              ;   in Loop: Header=BB52_112 Depth=1
	ds_load_b64 v[2:3], v18
	ds_load_b64 v[4:5], v19
	s_mov_b32 s4, exec_lo
	s_wait_dscnt 0x0
	v_dual_sub_f32 v0, v2, v4 :: v_dual_sub_f32 v4, v3, v5
                                        ; implicit-def: $vgpr3
	s_delay_alu instid0(VALU_DEP_1) | instskip(SKIP_1) | instid1(VALU_DEP_3)
	v_cmp_gt_f32_e32 vcc_lo, 0, v0
	v_cndmask_b32_e64 v0, v0, -v0, vcc_lo
	v_cmp_gt_f32_e32 vcc_lo, 0, v4
	v_cndmask_b32_e64 v2, v4, -v4, vcc_lo
	s_delay_alu instid0(VALU_DEP_1)
	v_cmpx_ngt_f32_e32 v0, v2
	s_xor_b32 s18, exec_lo, s4
	s_cbranch_execz .LBB52_117
; %bb.114:                              ;   in Loop: Header=BB52_112 Depth=1
	v_mov_b32_e32 v3, 0
	s_mov_b32 s19, exec_lo
	v_cmpx_neq_f32_e32 0, v4
	s_cbranch_execz .LBB52_116
; %bb.115:                              ;   in Loop: Header=BB52_112 Depth=1
	v_div_scale_f32 v3, null, v2, v2, v0
	v_div_scale_f32 v6, vcc_lo, v0, v2, v0
	s_delay_alu instid0(VALU_DEP_2) | instskip(SKIP_1) | instid1(TRANS32_DEP_1)
	v_rcp_f32_e32 v4, v3
	v_nop
	v_fma_f32 v5, -v3, v4, 1.0
	s_delay_alu instid0(VALU_DEP_1) | instskip(NEXT) | instid1(VALU_DEP_1)
	v_fmac_f32_e32 v4, v5, v4
	v_mul_f32_e32 v5, v6, v4
	s_delay_alu instid0(VALU_DEP_1) | instskip(NEXT) | instid1(VALU_DEP_1)
	v_fma_f32 v7, -v3, v5, v6
	v_fmac_f32_e32 v5, v7, v4
	s_delay_alu instid0(VALU_DEP_1) | instskip(NEXT) | instid1(VALU_DEP_1)
	v_fma_f32 v3, -v3, v5, v6
	v_div_fmas_f32 v3, v3, v4, v5
	s_delay_alu instid0(VALU_DEP_1) | instskip(NEXT) | instid1(VALU_DEP_1)
	v_div_fixup_f32 v0, v3, v2, v0
	v_fma_f32 v0, v0, v0, 1.0
	s_delay_alu instid0(VALU_DEP_1) | instskip(SKIP_1) | instid1(VALU_DEP_2)
	v_mul_f32_e32 v3, 0x4f800000, v0
	v_cmp_gt_f32_e32 vcc_lo, 0xf800000, v0
	v_cndmask_b32_e32 v0, v0, v3, vcc_lo
	s_delay_alu instid0(VALU_DEP_1) | instskip(SKIP_1) | instid1(TRANS32_DEP_1)
	v_sqrt_f32_e32 v3, v0
	v_nop
	v_dual_add_nc_u32 v4, -1, v3 :: v_dual_add_nc_u32 v5, 1, v3
	s_delay_alu instid0(VALU_DEP_1) | instskip(NEXT) | instid1(VALU_DEP_1)
	v_fma_f32 v6, -v4, v3, v0
	v_cmp_ge_f32_e64 s4, 0, v6
	s_delay_alu instid0(VALU_DEP_1) | instskip(NEXT) | instid1(VALU_DEP_1)
	v_dual_fma_f32 v7, -v5, v3, v0 :: v_dual_cndmask_b32 v3, v3, v4, s4
	v_cmp_lt_f32_e64 s4, 0, v7
	s_delay_alu instid0(VALU_DEP_1) | instskip(NEXT) | instid1(VALU_DEP_1)
	v_cndmask_b32_e64 v3, v3, v5, s4
	v_mul_f32_e32 v4, 0x37800000, v3
	s_delay_alu instid0(VALU_DEP_1) | instskip(SKIP_1) | instid1(VALU_DEP_2)
	v_cndmask_b32_e32 v3, v3, v4, vcc_lo
	v_cmp_class_f32_e64 vcc_lo, v0, 0x260
	v_cndmask_b32_e32 v0, v3, v0, vcc_lo
	s_delay_alu instid0(VALU_DEP_1)
	v_mul_f32_e32 v3, v2, v0
.LBB52_116:                             ;   in Loop: Header=BB52_112 Depth=1
	s_or_b32 exec_lo, exec_lo, s19
                                        ; implicit-def: $vgpr0
                                        ; implicit-def: $vgpr2
.LBB52_117:                             ;   in Loop: Header=BB52_112 Depth=1
	s_and_not1_saveexec_b32 s18, s18
	s_cbranch_execz .LBB52_119
; %bb.118:                              ;   in Loop: Header=BB52_112 Depth=1
	v_div_scale_f32 v3, null, v0, v0, v2
	v_div_scale_f32 v6, vcc_lo, v2, v0, v2
	s_delay_alu instid0(VALU_DEP_2) | instskip(SKIP_1) | instid1(TRANS32_DEP_1)
	v_rcp_f32_e32 v4, v3
	v_nop
	v_fma_f32 v5, -v3, v4, 1.0
	s_delay_alu instid0(VALU_DEP_1) | instskip(NEXT) | instid1(VALU_DEP_1)
	v_fmac_f32_e32 v4, v5, v4
	v_mul_f32_e32 v5, v6, v4
	s_delay_alu instid0(VALU_DEP_1) | instskip(NEXT) | instid1(VALU_DEP_1)
	v_fma_f32 v7, -v3, v5, v6
	v_fmac_f32_e32 v5, v7, v4
	s_delay_alu instid0(VALU_DEP_1) | instskip(NEXT) | instid1(VALU_DEP_1)
	v_fma_f32 v3, -v3, v5, v6
	v_div_fmas_f32 v3, v3, v4, v5
	s_delay_alu instid0(VALU_DEP_1) | instskip(NEXT) | instid1(VALU_DEP_1)
	v_div_fixup_f32 v2, v3, v0, v2
	v_fma_f32 v2, v2, v2, 1.0
	s_delay_alu instid0(VALU_DEP_1) | instskip(SKIP_1) | instid1(VALU_DEP_2)
	v_mul_f32_e32 v3, 0x4f800000, v2
	v_cmp_gt_f32_e32 vcc_lo, 0xf800000, v2
	v_cndmask_b32_e32 v2, v2, v3, vcc_lo
	s_delay_alu instid0(VALU_DEP_1) | instskip(SKIP_1) | instid1(TRANS32_DEP_1)
	v_sqrt_f32_e32 v3, v2
	v_nop
	v_dual_add_nc_u32 v4, -1, v3 :: v_dual_add_nc_u32 v5, 1, v3
	s_delay_alu instid0(VALU_DEP_1) | instskip(NEXT) | instid1(VALU_DEP_1)
	v_fma_f32 v6, -v4, v3, v2
	v_cmp_ge_f32_e64 s4, 0, v6
	s_delay_alu instid0(VALU_DEP_1) | instskip(NEXT) | instid1(VALU_DEP_1)
	v_dual_fma_f32 v7, -v5, v3, v2 :: v_dual_cndmask_b32 v3, v3, v4, s4
	v_cmp_lt_f32_e64 s4, 0, v7
	s_delay_alu instid0(VALU_DEP_1) | instskip(NEXT) | instid1(VALU_DEP_1)
	v_cndmask_b32_e64 v3, v3, v5, s4
	v_mul_f32_e32 v4, 0x37800000, v3
	s_delay_alu instid0(VALU_DEP_1) | instskip(SKIP_1) | instid1(VALU_DEP_2)
	v_cndmask_b32_e32 v3, v3, v4, vcc_lo
	v_cmp_class_f32_e64 vcc_lo, v2, 0x260
	v_cndmask_b32_e32 v2, v3, v2, vcc_lo
	s_delay_alu instid0(VALU_DEP_1)
	v_mul_f32_e32 v3, v0, v2
.LBB52_119:                             ;   in Loop: Header=BB52_112 Depth=1
	s_or_b32 exec_lo, exec_lo, s18
	s_delay_alu instid0(VALU_DEP_1) | instskip(SKIP_1) | instid1(VALU_DEP_2)
	v_mul_f32_e32 v0, 0x4f800000, v3
	v_cmp_gt_f32_e32 vcc_lo, 0xf800000, v3
	v_cndmask_b32_e32 v0, v3, v0, vcc_lo
	s_delay_alu instid0(VALU_DEP_1) | instskip(SKIP_1) | instid1(TRANS32_DEP_1)
	v_sqrt_f32_e32 v2, v0
	v_nop
	v_dual_add_nc_u32 v3, -1, v2 :: v_dual_add_nc_u32 v4, 1, v2
	s_delay_alu instid0(VALU_DEP_1) | instskip(NEXT) | instid1(VALU_DEP_1)
	v_dual_fma_f32 v5, -v3, v2, v0 :: v_dual_fma_f32 v6, -v4, v2, v0
	v_cmp_ge_f32_e64 s4, 0, v5
	s_delay_alu instid0(VALU_DEP_1) | instskip(NEXT) | instid1(VALU_DEP_3)
	v_cndmask_b32_e64 v2, v2, v3, s4
	v_cmp_lt_f32_e64 s4, 0, v6
	s_delay_alu instid0(VALU_DEP_1) | instskip(NEXT) | instid1(VALU_DEP_1)
	v_cndmask_b32_e64 v2, v2, v4, s4
	v_mul_f32_e32 v3, 0x37800000, v2
	s_delay_alu instid0(VALU_DEP_1) | instskip(SKIP_1) | instid1(VALU_DEP_2)
	v_cndmask_b32_e32 v2, v2, v3, vcc_lo
	v_cmp_class_f32_e64 vcc_lo, v0, 0x260
	v_cndmask_b32_e32 v0, v2, v0, vcc_lo
	ds_store_b64 v18, v[0:1]
.LBB52_120:                             ;   in Loop: Header=BB52_112 Depth=1
	s_or_b32 exec_lo, exec_lo, s17
	s_lshl_b32 s4, s16, 3
	s_mul_i32 s17, s16, 0x88
	s_wait_dscnt 0x0
	s_add_co_i32 s17, s17, s4
	s_delay_alu instid0(SALU_CYCLE_1)
	v_dual_mov_b32 v0, s17 :: v_dual_add_nc_u32 v5, s4, v8
	ds_load_b64 v[2:3], v0 offset:4352
	s_wait_dscnt 0x0
	v_readfirstlane_b32 s17, v2
	v_readfirstlane_b32 s4, v3
	ds_load_b64 v[2:3], v5
	s_cmp_neq_f32 s17, 0
	s_cselect_b32 s18, -1, 0
	s_cmp_neq_f32 s4, 0
	s_cselect_b32 s19, -1, 0
	s_delay_alu instid0(SALU_CYCLE_1) | instskip(NEXT) | instid1(SALU_CYCLE_1)
	s_or_b32 s18, s18, s19
	s_nor_b32 s19, s18, s1
	s_and_b32 s18, s18, exec_lo
	s_cselect_b32 s4, s4, 0
	s_cselect_b32 s17, s17, 1.0
	s_delay_alu instid0(SALU_CYCLE_1)
	v_dual_mov_b32 v4, s4 :: v_dual_mov_b32 v0, s17
	s_and_saveexec_b32 s4, s19
	s_cbranch_execz .LBB52_124
; %bb.121:                              ;   in Loop: Header=BB52_112 Depth=1
	v_mbcnt_lo_u32_b32 v0, exec_lo, 0
	s_mov_b32 s17, exec_lo
	s_delay_alu instid0(VALU_DEP_1)
	v_cmpx_eq_u32_e32 0, v0
	s_cbranch_execz .LBB52_123
; %bb.122:                              ;   in Loop: Header=BB52_112 Depth=1
	v_mov_b32_e32 v0, s9
	global_atomic_min_i32 v1, v0, s[14:15] scope:SCOPE_DEV
.LBB52_123:                             ;   in Loop: Header=BB52_112 Depth=1
	s_wait_xcnt 0x0
	s_or_b32 exec_lo, exec_lo, s17
	v_dual_mov_b32 v0, 1.0 :: v_dual_mov_b32 v4, 0
.LBB52_124:                             ;   in Loop: Header=BB52_112 Depth=1
	s_or_b32 exec_lo, exec_lo, s4
	s_delay_alu instid0(SALU_CYCLE_1)
	s_mov_b32 s4, exec_lo
	v_cmpx_lt_u32_e64 s16, v11
	s_cbranch_execz .LBB52_111
; %bb.125:                              ;   in Loop: Header=BB52_112 Depth=1
	v_mul_f32_e32 v23, v4, v4
	v_lshl_add_u32 v6, s16, 3, v16
	s_wait_dscnt 0x0
	s_delay_alu instid0(VALU_DEP_2) | instskip(SKIP_2) | instid1(VALU_DEP_1)
	v_dual_mov_b32 v25, v2 :: v_dual_fmac_f32 v23, v0, v0
	ds_load_b64 v[6:7], v6
	v_div_scale_f32 v26, null, v23, v23, 1.0
	v_rcp_f32_e32 v27, v26
	v_nop
	s_delay_alu instid0(TRANS32_DEP_1) | instskip(NEXT) | instid1(VALU_DEP_1)
	v_fma_f32 v24, -v26, v27, 1.0
	v_dual_fmac_f32 v27, v24, v27 :: v_dual_mov_b32 v24, v3
	v_div_scale_f32 v28, vcc_lo, 1.0, v23, 1.0
	s_wait_dscnt 0x0
	s_delay_alu instid0(VALU_DEP_2) | instskip(NEXT) | instid1(VALU_DEP_2)
	v_pk_add_f32 v[2:3], v[24:25], v[6:7] op_sel:[0,1] op_sel_hi:[1,0] neg_lo:[0,1] neg_hi:[0,1]
	v_mul_f32_e32 v29, v28, v27
	s_delay_alu instid0(VALU_DEP_2) | instskip(NEXT) | instid1(VALU_DEP_2)
	v_pk_mul_f32 v[6:7], v[4:5], v[2:3] op_sel:[0,1] op_sel_hi:[0,0] neg_lo:[0,1]
	v_fma_f32 v30, -v26, v29, v28
	s_delay_alu instid0(VALU_DEP_2) | instskip(NEXT) | instid1(VALU_DEP_2)
	v_pk_fma_f32 v[2:3], v[2:3], v[0:1], v[6:7] op_sel_hi:[1,0,1]
	v_fmac_f32_e32 v29, v30, v27
	s_delay_alu instid0(VALU_DEP_1) | instskip(NEXT) | instid1(VALU_DEP_1)
	v_fma_f32 v24, -v26, v29, v28
	v_div_fmas_f32 v4, v24, v27, v29
	s_delay_alu instid0(VALU_DEP_1) | instskip(NEXT) | instid1(VALU_DEP_1)
	v_div_fixup_f32 v0, v4, v23, 1.0
	v_pk_mul_f32 v[2:3], v[0:1], v[2:3] op_sel_hi:[0,1]
	s_delay_alu instid0(VALU_DEP_1)
	v_dual_mov_b32 v6, v3 :: v_dual_mov_b32 v7, v2
	ds_store_b64 v5, v[6:7]
	s_wait_storecnt_dscnt 0x0
	s_and_b32 exec_lo, exec_lo, s0
	s_cbranch_execz .LBB52_111
; %bb.126:                              ;   in Loop: Header=BB52_112 Depth=1
	v_dual_mov_b32 v0, v10 :: v_dual_mov_b32 v6, v13
	v_mov_b32_e32 v7, v14
	s_mov_b32 s18, -1
	s_and_saveexec_b32 s17, s2
	s_cbranch_execz .LBB52_132
; %bb.127:                              ;   in Loop: Header=BB52_112 Depth=1
	v_dual_mov_b32 v4, v3 :: v_dual_mov_b32 v5, v3
	v_dual_mov_b32 v6, v2 :: v_dual_mov_b32 v7, v2
	;; [unrolled: 1-line block ×3, first 2 shown]
	v_mov_b32_e32 v24, v15
	s_mov_b32 s18, 0
.LBB52_128:                             ;   Parent Loop BB52_112 Depth=1
                                        ; =>  This Inner Loop Header: Depth=2
	ds_load_2addr_b64 v[26:29], v24 offset1:68
	ds_load_2addr_b64 v[30:33], v23 offset1:4
	v_add_nc_u32_e32 v24, 0x440, v24
	s_wait_dscnt 0x1
	v_dual_mov_b32 v34, v26 :: v_dual_mov_b32 v35, v28
	s_wait_dscnt 0x0
	v_dual_mov_b32 v36, v30 :: v_dual_mov_b32 v37, v32
	v_dual_mov_b32 v32, v31 :: v_dual_mov_b32 v28, v27
	s_delay_alu instid0(VALU_DEP_2) | instskip(NEXT) | instid1(VALU_DEP_2)
	v_pk_fma_f32 v[26:27], v[4:5], v[34:35], v[36:37]
	v_pk_fma_f32 v[30:31], v[6:7], v[34:35], v[32:33]
	s_delay_alu instid0(VALU_DEP_2) | instskip(NEXT) | instid1(VALU_DEP_2)
	v_pk_fma_f32 v[26:27], v[6:7], v[28:29], v[26:27]
	v_pk_fma_f32 v[28:29], v[4:5], v[28:29], v[30:31] neg_lo:[0,1,0] neg_hi:[0,1,0]
	s_delay_alu instid0(VALU_DEP_2) | instskip(NEXT) | instid1(VALU_DEP_2)
	v_dual_add_nc_u32 v0, -2, v0 :: v_dual_mov_b32 v30, v26
	v_dual_mov_b32 v31, v28 :: v_dual_mov_b32 v28, v27
	s_delay_alu instid0(VALU_DEP_2) | instskip(SKIP_3) | instid1(SALU_CYCLE_1)
	v_cmp_eq_u32_e32 vcc_lo, 0, v0
	ds_store_2addr_b64 v23, v[30:31], v[28:29] offset1:4
	v_add_nc_u32_e32 v23, 64, v23
	s_or_b32 s18, vcc_lo, s18
	s_and_not1_b32 exec_lo, exec_lo, s18
	s_cbranch_execnz .LBB52_128
; %bb.129:                              ;   in Loop: Header=BB52_112 Depth=1
	s_or_b32 exec_lo, exec_lo, s18
	s_mov_b32 s18, 0
	s_and_saveexec_b32 s19, s3
; %bb.130:                              ;   in Loop: Header=BB52_112 Depth=1
	s_mov_b32 s18, exec_lo
; %bb.131:                              ;   in Loop: Header=BB52_112 Depth=1
	s_or_b32 exec_lo, exec_lo, s19
	v_dual_mov_b32 v0, v17 :: v_dual_mov_b32 v6, v22
	v_mov_b32_e32 v7, v20
	s_or_not1_b32 s18, s18, exec_lo
.LBB52_132:                             ;   in Loop: Header=BB52_112 Depth=1
	s_or_b32 exec_lo, exec_lo, s17
	s_delay_alu instid0(SALU_CYCLE_1)
	s_and_b32 exec_lo, exec_lo, s18
	s_cbranch_execz .LBB52_111
; %bb.133:                              ;   in Loop: Header=BB52_112 Depth=1
	v_dual_mov_b32 v4, v3 :: v_dual_mov_b32 v5, v2
	v_dual_add_nc_u32 v6, v16, v6 :: v_dual_add_nc_u32 v7, s8, v7
	s_mov_b32 s17, 0
.LBB52_134:                             ;   Parent Loop BB52_112 Depth=1
                                        ; =>  This Inner Loop Header: Depth=2
	ds_load_b64 v[24:25], v7 offset:4352
	ds_load_b64 v[26:27], v6
	v_add_nc_u32_e32 v0, 4, v0
	v_add_nc_u32_e32 v7, 0x220, v7
	s_wait_dscnt 0x0
	v_pk_fma_f32 v[26:27], v[4:5], v[24:25], v[26:27] op_sel_hi:[1,0,1]
	s_delay_alu instid0(VALU_DEP_1) | instskip(SKIP_4) | instid1(SALU_CYCLE_1)
	v_pk_fma_f32 v[24:25], v[2:3], v[24:25], v[26:27] op_sel:[0,1,0] neg_hi:[0,1,0]
	ds_store_b64 v6, v[24:25]
	v_add_nc_u32_e32 v6, 32, v6
	v_cmp_le_i32_e32 vcc_lo, s30, v0
	s_or_b32 s17, vcc_lo, s17
	s_and_not1_b32 exec_lo, exec_lo, s17
	s_cbranch_execnz .LBB52_134
	s_branch .LBB52_111
.LBB52_135:
	s_and_saveexec_b32 s1, s0
	s_cbranch_execz .LBB52_144
; %bb.136:
	s_mul_i32 s13, s13, s30
	v_cmp_gt_i32_e64 s0, s30, v11
	v_dual_add_nc_u32 v0, s13, v11 :: v_dual_mov_b32 v2, v10
	v_add3_u32 v1, v12, v13, 0x1100
	s_cmp_lg_u32 s31, 0
	s_mov_b32 s2, 0
	s_delay_alu instid0(VALU_DEP_2)
	v_mul_lo_u32 v0, v0, s30
	s_cselect_b32 s3, -1, 0
	s_branch .LBB52_140
.LBB52_137:                             ;   in Loop: Header=BB52_140 Depth=1
	s_delay_alu instid0(VALU_DEP_1)
	v_add_nc_u32_e32 v3, v0, v2
.LBB52_138:                             ;   in Loop: Header=BB52_140 Depth=1
	ds_load_b64 v[4:5], v1
	s_wait_dscnt 0x0
	global_store_b64 v3, v[4:5], s[20:21] scale_offset
.LBB52_139:                             ;   in Loop: Header=BB52_140 Depth=1
	s_wait_xcnt 0x0
	s_or_b32 exec_lo, exec_lo, s4
	v_dual_add_nc_u32 v2, 4, v2 :: v_dual_add_nc_u32 v1, 32, v1
	s_delay_alu instid0(VALU_DEP_1) | instskip(SKIP_1) | instid1(SALU_CYCLE_1)
	v_cmp_le_i32_e32 vcc_lo, s30, v2
	s_or_b32 s2, vcc_lo, s2
	s_and_not1_b32 exec_lo, exec_lo, s2
	s_cbranch_execz .LBB52_144
.LBB52_140:                             ; =>This Inner Loop Header: Depth=1
	s_and_saveexec_b32 s4, s0
	s_cbranch_execz .LBB52_139
; %bb.141:                              ;   in Loop: Header=BB52_140 Depth=1
	s_and_b32 vcc_lo, exec_lo, s3
	s_cbranch_vccz .LBB52_143
; %bb.142:                              ;   in Loop: Header=BB52_140 Depth=1
	v_add_nc_u32_e32 v3, s13, v2
	s_delay_alu instid0(VALU_DEP_1)
	v_mad_u32 v3, v3, s30, v11
	s_cbranch_execnz .LBB52_138
	s_branch .LBB52_137
.LBB52_143:                             ;   in Loop: Header=BB52_140 Depth=1
                                        ; implicit-def: $vgpr3
	s_branch .LBB52_137
.LBB52_144:
	s_or_b32 exec_lo, exec_lo, s1
	v_or_b32_e32 v0, v10, v11
	s_mov_b32 s0, 0
	s_mov_b32 s1, exec_lo
	s_delay_alu instid0(VALU_DEP_1)
	v_cmpx_eq_u32_e32 0, v0
	s_cbranch_execz .LBB52_146
; %bb.145:
	v_dual_mov_b32 v0, 0 :: v_dual_mov_b32 v1, 1
	s_add_nc_u64 s[2:3], s[10:11], s[6:7]
	global_wb scope:SCOPE_DEV
	s_wait_storecnt 0x0
	global_store_b32 v0, v1, s[2:3] scope:SCOPE_DEV
.LBB52_146:
	s_wait_xcnt 0x0
	s_or_b32 exec_lo, exec_lo, s1
	s_delay_alu instid0(SALU_CYCLE_1)
	s_and_b32 vcc_lo, exec_lo, s0
	s_cbranch_vccnz .LBB52_149
.LBB52_147:
	s_endpgm
.LBB52_148:
	s_cbranch_execz .LBB52_147
.LBB52_149:
	v_or_b32_e32 v0, v10, v11
	s_mov_b32 s0, exec_lo
	s_delay_alu instid0(VALU_DEP_1)
	v_cmpx_eq_u32_e32 0, v0
	s_cbranch_execz .LBB52_147
; %bb.150:
	v_mbcnt_lo_u32_b32 v0, exec_lo, 0
	s_mov_b32 s0, exec_lo
	s_delay_alu instid0(VALU_DEP_1)
	v_cmpx_eq_u32_e32 0, v0
	s_cbranch_execz .LBB52_152
; %bb.151:
	s_add_co_i32 s1, s12, s5
	s_delay_alu instid0(SALU_CYCLE_1)
	v_dual_mov_b32 v0, 0 :: v_dual_mov_b32 v1, s1
	global_atomic_min_i32 v0, v1, s[14:15] scope:SCOPE_DEV
.LBB52_152:
	s_wait_xcnt 0x0
	s_or_b32 exec_lo, exec_lo, s0
	v_dual_mov_b32 v0, 0 :: v_dual_mov_b32 v1, 1
	s_add_nc_u64 s[0:1], s[10:11], s[6:7]
	global_wb scope:SCOPE_DEV
	s_wait_storecnt 0x0
	global_store_b32 v0, v1, s[0:1] scope:SCOPE_DEV
	s_endpgm
	.section	.rodata,"a",@progbits
	.p2align	6, 0x0
	.amdhsa_kernel _ZN9rocsparseL18bsric0_9_16_kernelILi64ELi64ELi16E21rocsparse_complex_numIfEEEv20rocsparse_direction_iiPKiS5_PT2_S5_PiS5_S8_21rocsparse_index_base_
		.amdhsa_group_segment_fixed_size 9472
		.amdhsa_private_segment_fixed_size 0
		.amdhsa_kernarg_size 76
		.amdhsa_user_sgpr_count 2
		.amdhsa_user_sgpr_dispatch_ptr 0
		.amdhsa_user_sgpr_queue_ptr 0
		.amdhsa_user_sgpr_kernarg_segment_ptr 1
		.amdhsa_user_sgpr_dispatch_id 0
		.amdhsa_user_sgpr_kernarg_preload_length 0
		.amdhsa_user_sgpr_kernarg_preload_offset 0
		.amdhsa_user_sgpr_private_segment_size 0
		.amdhsa_wavefront_size32 1
		.amdhsa_uses_dynamic_stack 0
		.amdhsa_enable_private_segment 0
		.amdhsa_system_sgpr_workgroup_id_x 1
		.amdhsa_system_sgpr_workgroup_id_y 0
		.amdhsa_system_sgpr_workgroup_id_z 0
		.amdhsa_system_sgpr_workgroup_info 0
		.amdhsa_system_vgpr_workitem_id 1
		.amdhsa_next_free_vgpr 97
		.amdhsa_next_free_sgpr 46
		.amdhsa_named_barrier_count 0
		.amdhsa_reserve_vcc 1
		.amdhsa_float_round_mode_32 0
		.amdhsa_float_round_mode_16_64 0
		.amdhsa_float_denorm_mode_32 3
		.amdhsa_float_denorm_mode_16_64 3
		.amdhsa_fp16_overflow 0
		.amdhsa_memory_ordered 1
		.amdhsa_forward_progress 1
		.amdhsa_inst_pref_size 45
		.amdhsa_round_robin_scheduling 0
		.amdhsa_exception_fp_ieee_invalid_op 0
		.amdhsa_exception_fp_denorm_src 0
		.amdhsa_exception_fp_ieee_div_zero 0
		.amdhsa_exception_fp_ieee_overflow 0
		.amdhsa_exception_fp_ieee_underflow 0
		.amdhsa_exception_fp_ieee_inexact 0
		.amdhsa_exception_int_div_zero 0
	.end_amdhsa_kernel
	.section	.text._ZN9rocsparseL18bsric0_9_16_kernelILi64ELi64ELi16E21rocsparse_complex_numIfEEEv20rocsparse_direction_iiPKiS5_PT2_S5_PiS5_S8_21rocsparse_index_base_,"axG",@progbits,_ZN9rocsparseL18bsric0_9_16_kernelILi64ELi64ELi16E21rocsparse_complex_numIfEEEv20rocsparse_direction_iiPKiS5_PT2_S5_PiS5_S8_21rocsparse_index_base_,comdat
.Lfunc_end52:
	.size	_ZN9rocsparseL18bsric0_9_16_kernelILi64ELi64ELi16E21rocsparse_complex_numIfEEEv20rocsparse_direction_iiPKiS5_PT2_S5_PiS5_S8_21rocsparse_index_base_, .Lfunc_end52-_ZN9rocsparseL18bsric0_9_16_kernelILi64ELi64ELi16E21rocsparse_complex_numIfEEEv20rocsparse_direction_iiPKiS5_PT2_S5_PiS5_S8_21rocsparse_index_base_
                                        ; -- End function
	.set _ZN9rocsparseL18bsric0_9_16_kernelILi64ELi64ELi16E21rocsparse_complex_numIfEEEv20rocsparse_direction_iiPKiS5_PT2_S5_PiS5_S8_21rocsparse_index_base_.num_vgpr, 46
	.set _ZN9rocsparseL18bsric0_9_16_kernelILi64ELi64ELi16E21rocsparse_complex_numIfEEEv20rocsparse_direction_iiPKiS5_PT2_S5_PiS5_S8_21rocsparse_index_base_.num_agpr, 0
	.set _ZN9rocsparseL18bsric0_9_16_kernelILi64ELi64ELi16E21rocsparse_complex_numIfEEEv20rocsparse_direction_iiPKiS5_PT2_S5_PiS5_S8_21rocsparse_index_base_.numbered_sgpr, 46
	.set _ZN9rocsparseL18bsric0_9_16_kernelILi64ELi64ELi16E21rocsparse_complex_numIfEEEv20rocsparse_direction_iiPKiS5_PT2_S5_PiS5_S8_21rocsparse_index_base_.num_named_barrier, 0
	.set _ZN9rocsparseL18bsric0_9_16_kernelILi64ELi64ELi16E21rocsparse_complex_numIfEEEv20rocsparse_direction_iiPKiS5_PT2_S5_PiS5_S8_21rocsparse_index_base_.private_seg_size, 0
	.set _ZN9rocsparseL18bsric0_9_16_kernelILi64ELi64ELi16E21rocsparse_complex_numIfEEEv20rocsparse_direction_iiPKiS5_PT2_S5_PiS5_S8_21rocsparse_index_base_.uses_vcc, 1
	.set _ZN9rocsparseL18bsric0_9_16_kernelILi64ELi64ELi16E21rocsparse_complex_numIfEEEv20rocsparse_direction_iiPKiS5_PT2_S5_PiS5_S8_21rocsparse_index_base_.uses_flat_scratch, 0
	.set _ZN9rocsparseL18bsric0_9_16_kernelILi64ELi64ELi16E21rocsparse_complex_numIfEEEv20rocsparse_direction_iiPKiS5_PT2_S5_PiS5_S8_21rocsparse_index_base_.has_dyn_sized_stack, 0
	.set _ZN9rocsparseL18bsric0_9_16_kernelILi64ELi64ELi16E21rocsparse_complex_numIfEEEv20rocsparse_direction_iiPKiS5_PT2_S5_PiS5_S8_21rocsparse_index_base_.has_recursion, 0
	.set _ZN9rocsparseL18bsric0_9_16_kernelILi64ELi64ELi16E21rocsparse_complex_numIfEEEv20rocsparse_direction_iiPKiS5_PT2_S5_PiS5_S8_21rocsparse_index_base_.has_indirect_call, 0
	.section	.AMDGPU.csdata,"",@progbits
; Kernel info:
; codeLenInByte = 5648
; TotalNumSgprs: 48
; NumVgprs: 46
; ScratchSize: 0
; MemoryBound: 0
; FloatMode: 240
; IeeeMode: 1
; LDSByteSize: 9472 bytes/workgroup (compile time only)
; SGPRBlocks: 0
; VGPRBlocks: 6
; NumSGPRsForWavesPerEU: 48
; NumVGPRsForWavesPerEU: 97
; NamedBarCnt: 0
; Occupancy: 9
; WaveLimiterHint : 1
; COMPUTE_PGM_RSRC2:SCRATCH_EN: 0
; COMPUTE_PGM_RSRC2:USER_SGPR: 2
; COMPUTE_PGM_RSRC2:TRAP_HANDLER: 0
; COMPUTE_PGM_RSRC2:TGID_X_EN: 1
; COMPUTE_PGM_RSRC2:TGID_Y_EN: 0
; COMPUTE_PGM_RSRC2:TGID_Z_EN: 0
; COMPUTE_PGM_RSRC2:TIDIG_COMP_CNT: 1
	.section	.text._ZN9rocsparseL19bsric0_17_32_kernelILi64ELi64ELi32E21rocsparse_complex_numIfEEEv20rocsparse_direction_iiPKiS5_PT2_S5_PiS5_S8_21rocsparse_index_base_,"axG",@progbits,_ZN9rocsparseL19bsric0_17_32_kernelILi64ELi64ELi32E21rocsparse_complex_numIfEEEv20rocsparse_direction_iiPKiS5_PT2_S5_PiS5_S8_21rocsparse_index_base_,comdat
	.globl	_ZN9rocsparseL19bsric0_17_32_kernelILi64ELi64ELi32E21rocsparse_complex_numIfEEEv20rocsparse_direction_iiPKiS5_PT2_S5_PiS5_S8_21rocsparse_index_base_ ; -- Begin function _ZN9rocsparseL19bsric0_17_32_kernelILi64ELi64ELi32E21rocsparse_complex_numIfEEEv20rocsparse_direction_iiPKiS5_PT2_S5_PiS5_S8_21rocsparse_index_base_
	.p2align	8
	.type	_ZN9rocsparseL19bsric0_17_32_kernelILi64ELi64ELi32E21rocsparse_complex_numIfEEEv20rocsparse_direction_iiPKiS5_PT2_S5_PiS5_S8_21rocsparse_index_base_,@function
_ZN9rocsparseL19bsric0_17_32_kernelILi64ELi64ELi32E21rocsparse_complex_numIfEEEv20rocsparse_direction_iiPKiS5_PT2_S5_PiS5_S8_21rocsparse_index_base_: ; @_ZN9rocsparseL19bsric0_17_32_kernelILi64ELi64ELi32E21rocsparse_complex_numIfEEEv20rocsparse_direction_iiPKiS5_PT2_S5_PiS5_S8_21rocsparse_index_base_
; %bb.0:
	s_load_b256 s[8:15], s[0:1], 0x28
	s_bfe_u32 s2, ttmp6, 0x4000c
	s_and_b32 s3, ttmp6, 15
	s_add_co_i32 s2, s2, 1
	s_getreg_b32 s4, hwreg(HW_REG_IB_STS2, 6, 4)
	s_mul_i32 s2, ttmp9, s2
	v_and_b32_e32 v10, 0x3ff, v0
	s_add_co_i32 s3, s3, s2
	s_cmp_eq_u32 s4, 0
	v_bfe_u32 v11, v0, 10, 10
	s_cselect_b32 s2, ttmp9, s3
	s_wait_kmcnt 0x0
	s_load_b32 s12, s[12:13], s2 offset:0x0 scale_offset
	s_wait_kmcnt 0x0
	s_ashr_i32 s13, s12, 31
	s_delay_alu instid0(SALU_CYCLE_1) | instskip(NEXT) | instid1(SALU_CYCLE_1)
	s_lshl_b64 s[6:7], s[12:13], 2
	s_add_nc_u64 s[2:3], s[8:9], s[6:7]
	s_load_b32 s13, s[2:3], 0x0
	s_load_b32 s5, s[0:1], 0x48
	s_wait_kmcnt 0x0
	s_cmp_lg_u32 s13, -1
	s_cbranch_scc0 .LBB53_138
; %bb.1:
	s_clause 0x1
	s_load_b128 s[16:19], s[0:1], 0x10
	s_load_b64 s[20:21], s[0:1], 0x20
	v_dual_lshlrev_b32 v0, 1, v11 :: v_dual_lshlrev_b32 v15, 3, v11
	s_wait_kmcnt 0x0
	s_add_nc_u64 s[2:3], s[16:17], s[6:7]
	s_load_b32 s2, s[2:3], 0x0
	s_wait_kmcnt 0x0
	s_sub_co_i32 s33, s2, s5
	s_mov_b32 s2, exec_lo
	v_add3_u32 v0, v0, v10, s33
	s_delay_alu instid0(VALU_DEP_1)
	v_cmpx_ge_i32_e64 s13, v0
	s_cbranch_execz .LBB53_4
; %bb.2:
	v_lshlrev_b32_e32 v1, 2, v10
	s_mov_b32 s3, 0
	s_delay_alu instid0(VALU_DEP_1)
	v_add3_u32 v1, v15, v1, 0x6500
.LBB53_3:                               ; =>This Inner Loop Header: Depth=1
	global_load_b32 v2, v0, s[18:19] scale_offset
	s_wait_xcnt 0x0
	v_add_nc_u32_e32 v0, 64, v0
	s_delay_alu instid0(VALU_DEP_1)
	v_cmp_lt_i32_e32 vcc_lo, s13, v0
	s_or_b32 s3, vcc_lo, s3
	s_wait_loadcnt 0x0
	v_subrev_nc_u32_e32 v2, s5, v2
	ds_store_b32 v1, v2
	v_add_nc_u32_e32 v1, 0x100, v1
	s_and_not1_b32 exec_lo, exec_lo, s3
	s_cbranch_execnz .LBB53_3
.LBB53_4:
	s_or_b32 exec_lo, exec_lo, s2
	v_mul_u32_u24_e32 v12, 0x108, v11
	v_lshlrev_b32_e32 v13, 3, v10
	s_mov_b32 s2, exec_lo
	v_cmpx_gt_u32_e32 32, v10
	s_cbranch_execz .LBB53_7
; %bb.5:
	v_dual_lshlrev_b32 v3, 3, v10 :: v_dual_add_nc_u32 v2, -2, v10
	v_mov_b64_e32 v[0:1], 0
	s_mov_b32 s3, 0
	s_delay_alu instid0(VALU_DEP_2)
	v_add3_u32 v3, v12, v3, 0x4200
.LBB53_6:                               ; =>This Inner Loop Header: Depth=1
	s_delay_alu instid0(VALU_DEP_3) | instskip(SKIP_4) | instid1(SALU_CYCLE_1)
	v_add_nc_u32_e32 v2, 2, v2
	ds_store_b64 v3, v[0:1]
	v_add_nc_u32_e32 v3, 16, v3
	v_cmp_lt_u32_e32 vcc_lo, 29, v2
	s_or_b32 s3, vcc_lo, s3
	s_and_not1_b32 exec_lo, exec_lo, s3
	s_cbranch_execnz .LBB53_6
.LBB53_7:
	s_or_b32 exec_lo, exec_lo, s2
	s_clause 0x1
	s_load_b32 s30, s[0:1], 0x8
	s_load_b32 s31, s[0:1], 0x0
	v_mul_u32_u24_e32 v14, 0x108, v10
	s_cmp_ge_i32 s33, s13
	s_wait_dscnt 0x0
	s_wait_kmcnt 0x0
	v_cmp_gt_i32_e64 s0, s30, v10
	v_xad_u32 v16, v10, -1, s30
	s_cbranch_scc1 .LBB53_86
; %bb.8:
	s_delay_alu instid0(VALU_DEP_1) | instskip(SKIP_3) | instid1(VALU_DEP_4)
	v_dual_lshrrev_b32 v0, 1, v16 :: v_dual_bitop2_b32 v2, v10, v11 bitop3:0x54
	v_mad_u32 v1, s30, s33, v11
	v_mul_lo_u32 v18, s30, v11
	v_mul_lo_u32 v23, v10, s30
	v_dual_add_nc_u32 v0, 1, v0 :: v_dual_lshlrev_b32 v20, 3, v10
	s_movk_i32 s22, 0x2100
	s_cmp_eq_u32 s31, 0
	v_mad_u32_u24 v17, 0x108, v11, s22
	s_delay_alu instid0(VALU_DEP_2) | instskip(SKIP_3) | instid1(VALU_DEP_4)
	v_dual_mov_b32 v31, 0 :: v_dual_bitop2_b32 v19, -2, v0 bitop3:0x40
	v_mad_u32_u24 v22, 0x108, v11, v20
	v_mul_lo_u32 v26, s30, v1
	v_mad_u32_u24 v25, 0x108, v10, s22
	v_lshl_add_u32 v21, v19, 1, v10
	v_cmp_ne_u32_e64 s4, v0, v19
	s_movk_i32 s22, 0x4200
	v_mov_b64_e32 v[0:1], 0
	s_cselect_b32 s34, -1, 0
	v_mul_lo_u32 v30, 0x108, v21
	s_cmp_lg_u32 s31, 0
	v_cmp_gt_i32_e64 s1, s30, v11
	v_cmp_ne_u32_e64 s2, 0, v2
	v_cmp_lt_u32_e64 s3, 1, v16
	v_mul_u32_u24_e32 v24, 0x108, v10
	v_add_nc_u32_e32 v27, 0x4200, v22
	v_mad_u32_u24 v28, 0x108, v11, s22
	v_add_nc_u32_e32 v29, 0x2100, v22
	v_lshlrev_b32_e32 v32, 3, v21
	s_cselect_b32 s35, -1, 0
	s_cmp_gt_i32 s30, 0
	s_mul_i32 s37, s30, s30
	s_cselect_b32 s36, -1, 0
	s_lshl_b32 s38, s30, 1
	s_mov_b32 s22, s33
	s_branch .LBB53_10
.LBB53_9:                               ;   in Loop: Header=BB53_10 Depth=1
	s_or_b32 exec_lo, exec_lo, s24
	s_add_co_i32 s22, s22, 1
	v_add_nc_u32_e32 v26, s37, v26
	s_cmp_ge_i32 s22, s13
	global_wb scope:SCOPE_DEV
	s_wait_storecnt 0x0
	global_inv scope:SCOPE_DEV
	s_cselect_b32 s23, -1, 0
	s_delay_alu instid0(SALU_CYCLE_1)
	s_and_b32 vcc_lo, exec_lo, s23
	s_cbranch_vccnz .LBB53_86
.LBB53_10:                              ; =>This Loop Header: Depth=1
                                        ;     Child Loop BB53_14 Depth 2
                                        ;     Child Loop BB53_26 Depth 2
	;; [unrolled: 1-line block ×4, first 2 shown]
                                        ;       Child Loop BB53_43 Depth 3
                                        ;         Child Loop BB53_48 Depth 4
                                        ;     Child Loop BB53_57 Depth 2
                                        ;       Child Loop BB53_64 Depth 3
                                        ;       Child Loop BB53_69 Depth 3
	;; [unrolled: 1-line block ×3, first 2 shown]
                                        ;     Child Loop BB53_80 Depth 2
	s_ashr_i32 s23, s22, 31
	s_delay_alu instid0(SALU_CYCLE_1) | instskip(NEXT) | instid1(SALU_CYCLE_1)
	s_lshl_b64 s[24:25], s[22:23], 2
	s_add_nc_u64 s[24:25], s[18:19], s[24:25]
	s_load_b32 s39, s[24:25], 0x0
	s_wait_kmcnt 0x0
	s_sub_co_i32 s26, s39, s5
	s_delay_alu instid0(SALU_CYCLE_1) | instskip(SKIP_2) | instid1(SALU_CYCLE_1)
	s_ashr_i32 s27, s26, 31
	s_wait_xcnt 0x0
	s_lshl_b64 s[24:25], s[26:27], 2
	s_add_nc_u64 s[28:29], s[8:9], s[24:25]
	s_load_b32 s27, s[28:29], 0x0
	s_wait_kmcnt 0x0
	s_cmp_eq_u32 s27, -1
	s_cbranch_scc1 .LBB53_85
; %bb.11:                               ;   in Loop: Header=BB53_10 Depth=1
	s_wait_xcnt 0x0
	s_add_nc_u64 s[28:29], s[16:17], s[24:25]
	s_mul_i32 s23, s22, s30
	s_load_b32 s28, s[28:29], 0x0
	s_wait_xcnt 0x0
	s_and_saveexec_b32 s29, s0
	s_cbranch_execz .LBB53_24
; %bb.12:                               ;   in Loop: Header=BB53_10 Depth=1
	v_dual_mov_b32 v4, v22 :: v_dual_mov_b32 v5, v10
	s_mov_b32 s40, 0
	s_branch .LBB53_14
.LBB53_13:                              ;   in Loop: Header=BB53_14 Depth=2
	s_wait_xcnt 0x0
	s_or_b32 exec_lo, exec_lo, s42
	v_add_nc_u32_e32 v5, 2, v5
	s_wait_loadcnt 0x0
	ds_store_b64 v4, v[2:3] offset:8448
	ds_store_b64 v4, v[0:1]
	v_add_nc_u32_e32 v4, 16, v4
	v_cmp_le_i32_e32 vcc_lo, s30, v5
	s_or_b32 s40, vcc_lo, s40
	s_delay_alu instid0(SALU_CYCLE_1)
	s_and_not1_b32 exec_lo, exec_lo, s40
	s_cbranch_execz .LBB53_24
.LBB53_14:                              ;   Parent Loop BB53_10 Depth=1
                                        ; =>  This Inner Loop Header: Depth=2
	s_mov_b32 s42, -1
	s_and_b32 vcc_lo, exec_lo, s35
	s_mov_b32 s41, 0
                                        ; implicit-def: $vgpr6
	s_cbranch_vccz .LBB53_19
; %bb.15:                               ;   in Loop: Header=BB53_14 Depth=2
	s_mov_b32 s42, 0
                                        ; implicit-def: $vgpr6
	s_and_saveexec_b32 s43, s1
	s_delay_alu instid0(SALU_CYCLE_1)
	s_xor_b32 s43, exec_lo, s43
; %bb.16:                               ;   in Loop: Header=BB53_14 Depth=2
	v_add_nc_u32_e32 v2, s23, v5
	s_mov_b32 s41, exec_lo
	s_delay_alu instid0(VALU_DEP_1)
	v_mad_u32 v6, v2, s30, v11
; %bb.17:                               ;   in Loop: Header=BB53_14 Depth=2
	s_or_b32 exec_lo, exec_lo, s43
	s_delay_alu instid0(SALU_CYCLE_1)
	s_and_b32 vcc_lo, exec_lo, s42
	s_cbranch_vccnz .LBB53_20
.LBB53_18:                              ;   in Loop: Header=BB53_14 Depth=2
	v_dual_mov_b32 v2, 0 :: v_dual_mov_b32 v3, 0
	s_and_saveexec_b32 s42, s41
	s_cbranch_execz .LBB53_13
	s_branch .LBB53_23
.LBB53_19:                              ;   in Loop: Header=BB53_14 Depth=2
	s_and_b32 vcc_lo, exec_lo, s42
	s_cbranch_vccz .LBB53_18
.LBB53_20:                              ;   in Loop: Header=BB53_14 Depth=2
                                        ; implicit-def: $vgpr6
	s_and_saveexec_b32 s42, s1
; %bb.21:                               ;   in Loop: Header=BB53_14 Depth=2
	v_add_nc_u32_e32 v6, v26, v5
	s_or_b32 s41, s41, exec_lo
; %bb.22:                               ;   in Loop: Header=BB53_14 Depth=2
	s_or_b32 exec_lo, exec_lo, s42
	v_dual_mov_b32 v2, 0 :: v_dual_mov_b32 v3, 0
	s_and_saveexec_b32 s42, s41
	s_cbranch_execz .LBB53_13
.LBB53_23:                              ;   in Loop: Header=BB53_14 Depth=2
	global_load_b64 v[2:3], v6, s[20:21] scale_offset
	s_branch .LBB53_13
.LBB53_24:                              ;   in Loop: Header=BB53_10 Depth=1
	s_or_b32 exec_lo, exec_lo, s29
	ds_load_b32 v2, v31 offset:25856
	s_wait_kmcnt 0x0
	s_sub_co_i32 s28, s28, s5
	s_delay_alu instid0(SALU_CYCLE_1) | instskip(SKIP_4) | instid1(SALU_CYCLE_1)
	s_cmp_le_i32 s28, s27
	s_cselect_b32 s29, -1, 0
	s_wait_dscnt 0x0
	v_cmp_ge_i32_e32 vcc_lo, s26, v2
	s_and_b32 s29, s29, vcc_lo
	s_and_not1_b32 vcc_lo, exec_lo, s29
	s_mov_b32 s29, 0
	s_cbranch_vccnz .LBB53_36
; %bb.25:                               ;   in Loop: Header=BB53_10 Depth=1
	s_mov_b32 s40, 0
	s_mov_b32 s41, 0
.LBB53_26:                              ;   Parent Loop BB53_10 Depth=1
                                        ; =>  This Inner Loop Header: Depth=2
	s_ashr_i32 s29, s28, 31
	s_lshl_b32 s44, s41, 2
	s_lshl_b64 s[42:43], s[28:29], 2
	v_mov_b32_e32 v2, s44
	s_add_nc_u64 s[42:43], s[18:19], s[42:43]
	s_mov_b32 s45, -1
	s_load_b32 s29, s[42:43], 0x0
                                        ; implicit-def: $sgpr44
                                        ; implicit-def: $sgpr43
	ds_load_b32 v2, v2 offset:25856
	s_wait_kmcnt 0x0
	s_sub_co_i32 s46, s29, s5
                                        ; implicit-def: $sgpr29
	s_wait_dscnt 0x0
	s_wait_xcnt 0x0
	v_readfirstlane_b32 s42, v2
	v_cmp_ge_i32_e32 vcc_lo, s46, v2
	s_cbranch_vccz .LBB53_32
; %bb.27:                               ;   in Loop: Header=BB53_26 Depth=2
	s_cmp_le_i32 s46, s42
                                        ; implicit-def: $sgpr29
                                        ; implicit-def: $sgpr44
                                        ; implicit-def: $sgpr43
	s_cbranch_scc0 .LBB53_29
; %bb.28:                               ;   in Loop: Header=BB53_26 Depth=2
	s_add_co_i32 s29, s41, s33
	s_lshl_b32 s43, s40, 2
	s_mul_i32 s29, s29, s37
	s_delay_alu instid0(SALU_CYCLE_1)
	v_dual_mov_b32 v2, s43 :: v_dual_mov_b32 v3, s29
	s_mul_i32 s43, s28, s37
	s_add_co_i32 s44, s28, 1
	v_mov_b32_e32 v4, s43
	s_add_co_i32 s43, s41, 1
	s_add_co_i32 s29, s40, 1
	s_mov_b32 s45, 0
	ds_store_2addr_stride64_b32 v2, v4, v3 offset0:99 offset1:100
.LBB53_29:                              ;   in Loop: Header=BB53_26 Depth=2
	s_and_not1_b32 vcc_lo, exec_lo, s45
	s_cbranch_vccnz .LBB53_31
; %bb.30:                               ;   in Loop: Header=BB53_26 Depth=2
	s_add_co_i32 s43, s41, 1
	s_mov_b32 s29, s40
	s_mov_b32 s44, s28
.LBB53_31:                              ;   in Loop: Header=BB53_26 Depth=2
	s_mov_b32 s45, 0
.LBB53_32:                              ;   in Loop: Header=BB53_26 Depth=2
	s_delay_alu instid0(SALU_CYCLE_1)
	s_and_not1_b32 vcc_lo, exec_lo, s45
	s_cbranch_vccnz .LBB53_34
; %bb.33:                               ;   in Loop: Header=BB53_26 Depth=2
	s_add_co_i32 s44, s28, 1
	s_mov_b32 s43, s41
	s_mov_b32 s29, s40
.LBB53_34:                              ;   in Loop: Header=BB53_26 Depth=2
	s_cmp_le_i32 s44, s27
	s_cselect_b32 s28, -1, 0
	s_cmp_le_i32 s42, s26
	s_cselect_b32 s40, -1, 0
	s_delay_alu instid0(SALU_CYCLE_1) | instskip(NEXT) | instid1(SALU_CYCLE_1)
	s_and_b32 s28, s28, s40
	s_and_b32 vcc_lo, exec_lo, s28
	s_cbranch_vccz .LBB53_36
; %bb.35:                               ;   in Loop: Header=BB53_26 Depth=2
	s_mov_b32 s40, s29
	s_mov_b32 s28, s44
	;; [unrolled: 1-line block ×3, first 2 shown]
	s_branch .LBB53_26
.LBB53_36:                              ;   in Loop: Header=BB53_10 Depth=1
	s_add_nc_u64 s[24:25], s[10:11], s[24:25]
	s_wait_dscnt 0x0
.LBB53_37:                              ;   Parent Loop BB53_10 Depth=1
                                        ; =>  This Inner Loop Header: Depth=2
	global_load_b32 v2, v31, s[24:25] scope:SCOPE_DEV
	s_wait_loadcnt 0x0
	v_cmp_eq_u32_e32 vcc_lo, 0, v2
	s_cbranch_vccnz .LBB53_37
; %bb.38:                               ;   in Loop: Header=BB53_10 Depth=1
	s_cmp_lt_i32 s29, 2
	global_inv scope:SCOPE_DEV
	s_cbranch_scc1 .LBB53_54
; %bb.39:                               ;   in Loop: Header=BB53_10 Depth=1
	s_wait_xcnt 0x0
	s_add_co_i32 s24, s29, -2
	s_mov_b32 s25, 0
	s_branch .LBB53_41
.LBB53_40:                              ;   in Loop: Header=BB53_41 Depth=2
	s_or_b32 exec_lo, exec_lo, s26
	s_add_co_i32 s26, s25, 1
	s_cmp_eq_u32 s25, s24
	s_mov_b32 s25, s26
	s_cbranch_scc1 .LBB53_54
.LBB53_41:                              ;   Parent Loop BB53_10 Depth=1
                                        ; =>  This Loop Header: Depth=2
                                        ;       Child Loop BB53_43 Depth 3
                                        ;         Child Loop BB53_48 Depth 4
	s_and_saveexec_b32 s26, s0
	s_cbranch_execz .LBB53_40
; %bb.42:                               ;   in Loop: Header=BB53_41 Depth=2
	s_lshl_b32 s28, s25, 2
	s_delay_alu instid0(SALU_CYCLE_1)
	v_dual_mov_b32 v35, v10 :: v_dual_mov_b32 v2, s28
	s_mov_b32 s28, 0
	ds_load_2addr_stride64_b32 v[2:3], v2 offset0:99 offset1:100
	s_wait_dscnt 0x0
	v_add_nc_u32_e32 v8, v3, v18
	v_dual_add_nc_u32 v9, v11, v3 :: v_dual_add_nc_u32 v33, v10, v2
	v_add_nc_u32_e32 v34, v23, v2
.LBB53_43:                              ;   Parent Loop BB53_10 Depth=1
                                        ;     Parent Loop BB53_41 Depth=2
                                        ; =>    This Loop Header: Depth=3
                                        ;         Child Loop BB53_48 Depth 4
	v_mov_b64_e32 v[2:3], 0
	s_delay_alu instid0(VALU_DEP_3)
	v_dual_mov_b32 v36, v33 :: v_dual_mov_b32 v37, v9
	s_mov_b32 s29, 0
	s_and_b32 vcc_lo, exec_lo, s35
	s_mov_b32 s40, -1
                                        ; implicit-def: $vgpr4_vgpr5
	s_cbranch_vccz .LBB53_48
	s_branch .LBB53_45
.LBB53_44:                              ;   in Loop: Header=BB53_48 Depth=4
	v_mov_b64_e32 v[2:3], v[4:5]
	s_and_b32 vcc_lo, exec_lo, s35
	s_mov_b32 s40, -1
                                        ; implicit-def: $vgpr4_vgpr5
	s_cbranch_vccz .LBB53_48
.LBB53_45:                              ;   in Loop: Header=BB53_43 Depth=3
	global_load_b64 v[4:5], v36, s[20:21] scale_offset
	v_dual_mov_b32 v6, 0 :: v_dual_mov_b32 v7, 0
	s_wait_xcnt 0x0
	s_and_saveexec_b32 s40, s1
	s_cbranch_execz .LBB53_47
; %bb.46:                               ;   in Loop: Header=BB53_43 Depth=3
	global_load_b64 v[6:7], v37, s[20:21] scale_offset
.LBB53_47:                              ;   in Loop: Header=BB53_43 Depth=3
	s_wait_xcnt 0x0
	s_or_b32 exec_lo, exec_lo, s40
	s_wait_loadcnt 0x0
	v_pk_add_f32 v[40:41], v[6:7], 0 neg_lo:[1,1] neg_hi:[1,1]
	v_pk_fma_f32 v[38:39], v[4:5], v[6:7], v[2:3] op_sel_hi:[1,0,1]
	v_mov_b32_e32 v40, v7
	s_mov_b32 s40, 0
	s_delay_alu instid0(VALU_DEP_1)
	v_pk_fma_f32 v[4:5], v[4:5], v[40:41], v[38:39] op_sel:[1,0,0] op_sel_hi:[0,1,1]
.LBB53_48:                              ;   Parent Loop BB53_10 Depth=1
                                        ;     Parent Loop BB53_41 Depth=2
                                        ;       Parent Loop BB53_43 Depth=3
                                        ; =>      This Inner Loop Header: Depth=4
	s_and_b32 vcc_lo, exec_lo, s40
	s_cbranch_vccz .LBB53_52
; %bb.49:                               ;   in Loop: Header=BB53_48 Depth=4
	v_dual_add_nc_u32 v4, s29, v34 :: v_dual_mov_b32 v6, 0
	v_mov_b32_e32 v7, 0
	global_load_b64 v[4:5], v4, s[20:21] scale_offset
	s_wait_xcnt 0x0
	s_and_saveexec_b32 s40, s1
	s_cbranch_execz .LBB53_51
; %bb.50:                               ;   in Loop: Header=BB53_48 Depth=4
	v_add_nc_u32_e32 v6, s29, v8
	global_load_b64 v[6:7], v6, s[20:21] scale_offset
.LBB53_51:                              ;   in Loop: Header=BB53_48 Depth=4
	s_wait_xcnt 0x0
	s_or_b32 exec_lo, exec_lo, s40
	s_wait_loadcnt 0x0
	v_pk_add_f32 v[38:39], v[6:7], 0 neg_lo:[1,1] neg_hi:[1,1]
	v_pk_fma_f32 v[2:3], v[4:5], v[6:7], v[2:3] op_sel_hi:[1,0,1]
	v_mov_b32_e32 v38, v7
	s_delay_alu instid0(VALU_DEP_1)
	v_pk_fma_f32 v[4:5], v[4:5], v[38:39], v[2:3] op_sel:[1,0,0] op_sel_hi:[0,1,1]
.LBB53_52:                              ;   in Loop: Header=BB53_48 Depth=4
	v_dual_add_nc_u32 v37, s30, v37 :: v_dual_add_nc_u32 v36, s30, v36
	s_add_co_i32 s29, s29, 1
	s_delay_alu instid0(SALU_CYCLE_1)
	s_cmp_eq_u32 s30, s29
	s_cbranch_scc0 .LBB53_44
; %bb.53:                               ;   in Loop: Header=BB53_43 Depth=3
	v_lshl_add_u32 v6, v35, 3, v12
	v_dual_add_nc_u32 v35, 2, v35 :: v_dual_add_nc_u32 v33, 2, v33
	v_add_nc_u32_e32 v34, s38, v34
	ds_load_b64 v[2:3], v6
	v_cmp_le_i32_e32 vcc_lo, s30, v35
	s_or_b32 s28, vcc_lo, s28
	s_wait_dscnt 0x0
	v_pk_add_f32 v[2:3], v[4:5], v[2:3]
	ds_store_b64 v6, v[2:3]
	s_and_not1_b32 exec_lo, exec_lo, s28
	s_cbranch_execnz .LBB53_43
	s_branch .LBB53_40
.LBB53_54:                              ;   in Loop: Header=BB53_10 Depth=1
	s_and_not1_b32 vcc_lo, exec_lo, s36
	s_wait_loadcnt_dscnt 0x0
	s_cbranch_vccnz .LBB53_76
; %bb.55:                               ;   in Loop: Header=BB53_10 Depth=1
	v_mov_b32_e32 v33, v25
	s_wait_xcnt 0x0
	s_mul_i32 s24, s37, s27
	s_mov_b32 s25, 0
	s_mov_b32 s26, s24
	;; [unrolled: 1-line block ×3, first 2 shown]
	s_branch .LBB53_57
.LBB53_56:                              ;   in Loop: Header=BB53_57 Depth=2
	s_or_b32 exec_lo, exec_lo, s28
	v_add_nc_u32_e32 v33, 8, v33
	s_add_co_i32 s27, s27, 1
	s_add_co_i32 s26, s26, 1
	;; [unrolled: 1-line block ×3, first 2 shown]
	s_cmp_eq_u32 s27, s30
	s_wait_dscnt 0x0
	s_cbranch_scc1 .LBB53_76
.LBB53_57:                              ;   Parent Loop BB53_10 Depth=1
                                        ; =>  This Loop Header: Depth=2
                                        ;       Child Loop BB53_64 Depth 3
                                        ;       Child Loop BB53_69 Depth 3
                                        ;       Child Loop BB53_75 Depth 3
	s_mul_i32 s28, s27, s30
	v_lshl_add_u32 v5, s27, 3, v17
	s_add_co_i32 s28, s28, s24
	s_delay_alu instid0(SALU_CYCLE_1) | instskip(NEXT) | instid1(SALU_CYCLE_1)
	s_add_co_i32 s29, s28, s27
	v_mov_b32_e32 v2, s29
	global_load_b64 v[2:3], v2, s[20:21] scale_offset
	s_wait_loadcnt 0x0
	v_readfirstlane_b32 s29, v2
	v_readfirstlane_b32 s40, v3
	ds_load_b64 v[2:3], v5
	s_cmp_neq_f32 s29, 0
	s_cselect_b32 s41, -1, 0
	s_cmp_neq_f32 s40, 0
	s_cselect_b32 s42, -1, 0
	s_delay_alu instid0(SALU_CYCLE_1) | instskip(NEXT) | instid1(SALU_CYCLE_1)
	s_or_b32 s41, s41, s42
	s_nor_b32 s42, s41, s2
	s_and_b32 s41, s41, exec_lo
	s_cselect_b32 s29, s29, 1.0
	s_cselect_b32 s40, s40, 0
	s_delay_alu instid0(SALU_CYCLE_1)
	v_dual_mov_b32 v4, s29 :: v_dual_mov_b32 v6, s40
	s_and_saveexec_b32 s29, s42
	s_cbranch_execz .LBB53_61
; %bb.58:                               ;   in Loop: Header=BB53_57 Depth=2
	v_mbcnt_lo_u32_b32 v4, exec_lo, 0
	s_mov_b32 s40, exec_lo
	s_delay_alu instid0(VALU_DEP_1)
	v_cmpx_eq_u32_e32 0, v4
	s_cbranch_execz .LBB53_60
; %bb.59:                               ;   in Loop: Header=BB53_57 Depth=2
	v_mov_b32_e32 v4, s39
	global_atomic_min_i32 v31, v4, s[14:15] scope:SCOPE_DEV
.LBB53_60:                              ;   in Loop: Header=BB53_57 Depth=2
	s_wait_xcnt 0x0
	s_or_b32 exec_lo, exec_lo, s40
	v_dual_mov_b32 v6, 0 :: v_dual_mov_b32 v4, 1.0
.LBB53_61:                              ;   in Loop: Header=BB53_57 Depth=2
	s_or_b32 exec_lo, exec_lo, s29
	v_lshl_add_u32 v7, s27, 3, v12
	s_cmp_eq_u32 s27, 0
	ds_load_b64 v[8:9], v7
	s_cbranch_scc1 .LBB53_66
; %bb.62:                               ;   in Loop: Header=BB53_57 Depth=2
	v_mov_b32_e32 v7, v17
	s_mov_b32 s29, 0
	s_mov_b32 s40, s27
	;; [unrolled: 1-line block ×3, first 2 shown]
	s_branch .LBB53_64
.LBB53_63:                              ;   in Loop: Header=BB53_64 Depth=3
	s_wait_xcnt 0x0
	v_mov_b32_e32 v34, s42
	ds_load_b64 v[36:37], v7
	v_add_nc_u32_e32 v7, 8, v7
	s_add_co_i32 s40, s40, -1
	s_add_co_i32 s29, s29, 1
	global_load_b64 v[34:35], v34, s[20:21] scale_offset
	s_add_co_i32 s41, s41, s30
	s_cmp_eq_u32 s40, 0
	s_wait_loadcnt_dscnt 0x0
	v_pk_fma_f32 v[8:9], v[34:35], v[36:37], v[8:9] op_sel_hi:[1,0,1]
	s_delay_alu instid0(VALU_DEP_1)
	v_pk_fma_f32 v[8:9], v[34:35], v[36:37], v[8:9] op_sel:[1,1,0] op_sel_hi:[0,1,1] neg_hi:[0,1,0]
	s_cbranch_scc1 .LBB53_66
.LBB53_64:                              ;   Parent Loop BB53_10 Depth=1
                                        ;     Parent Loop BB53_57 Depth=2
                                        ; =>    This Inner Loop Header: Depth=3
	s_and_not1_b32 vcc_lo, exec_lo, s34
	s_mov_b32 s42, s41
	s_cbranch_vccnz .LBB53_63
; %bb.65:                               ;   in Loop: Header=BB53_64 Depth=3
	s_add_co_i32 s42, s29, s28
	s_branch .LBB53_63
.LBB53_66:                              ;   in Loop: Header=BB53_57 Depth=2
	s_wait_xcnt 0x0
	v_mul_f32_e32 v34, v6, v6
	s_wait_dscnt 0x0
	v_pk_add_f32 v[2:3], v[2:3], v[8:9] neg_lo:[0,1] neg_hi:[0,1]
	s_delay_alu instid0(VALU_DEP_2) | instskip(NEXT) | instid1(VALU_DEP_1)
	v_fmac_f32_e32 v34, v4, v4
	v_div_scale_f32 v7, null, v34, v34, 1.0
	v_div_scale_f32 v37, vcc_lo, 1.0, v34, 1.0
	s_delay_alu instid0(VALU_DEP_2) | instskip(SKIP_1) | instid1(TRANS32_DEP_1)
	v_rcp_f32_e32 v35, v7
	v_nop
	v_fma_f32 v36, -v7, v35, 1.0
	s_delay_alu instid0(VALU_DEP_1) | instskip(NEXT) | instid1(VALU_DEP_1)
	v_fmac_f32_e32 v35, v36, v35
	v_mul_f32_e32 v36, v37, v35
	s_delay_alu instid0(VALU_DEP_1) | instskip(NEXT) | instid1(VALU_DEP_1)
	v_fma_f32 v38, -v7, v36, v37
	v_fmac_f32_e32 v36, v38, v35
	s_delay_alu instid0(VALU_DEP_1) | instskip(SKIP_1) | instid1(VALU_DEP_2)
	v_fma_f32 v8, -v7, v36, v37
	v_pk_mul_f32 v[6:7], v[6:7], v[2:3] op_sel:[0,1] op_sel_hi:[0,0] neg_hi:[0,1]
	v_div_fmas_f32 v8, v8, v35, v36
	s_delay_alu instid0(VALU_DEP_2) | instskip(NEXT) | instid1(VALU_DEP_2)
	v_pk_fma_f32 v[2:3], v[2:3], v[4:5], v[6:7] op_sel_hi:[1,0,1]
	v_div_fixup_f32 v4, v8, v34, 1.0
	s_delay_alu instid0(VALU_DEP_1)
	v_pk_mul_f32 v[2:3], v[4:5], v[2:3] op_sel_hi:[0,1]
	ds_store_b64 v5, v[2:3]
	s_wait_storecnt_dscnt 0x0
	s_and_saveexec_b32 s28, s0
	s_cbranch_execz .LBB53_56
; %bb.67:                               ;   in Loop: Header=BB53_57 Depth=2
	v_dual_mov_b32 v4, v10 :: v_dual_mov_b32 v5, v20
	v_mov_b32_e32 v6, v24
	s_mov_b32 s40, -1
	s_and_saveexec_b32 s29, s3
	s_cbranch_execz .LBB53_73
; %bb.68:                               ;   in Loop: Header=BB53_57 Depth=2
	v_dual_mov_b32 v4, v2 :: v_dual_mov_b32 v5, v2
	v_dual_mov_b32 v6, v3 :: v_dual_mov_b32 v7, v3
	;; [unrolled: 1-line block ×3, first 2 shown]
	v_mov_b32_e32 v34, v33
	s_mov_b32 s40, 0
.LBB53_69:                              ;   Parent Loop BB53_10 Depth=1
                                        ;     Parent Loop BB53_57 Depth=2
                                        ; =>    This Inner Loop Header: Depth=3
	ds_load_2addr_b64 v[36:39], v34 offset1:66
	ds_load_2addr_b64 v[40:43], v9 offset1:2
	v_add_nc_u32_e32 v34, 0x420, v34
	s_wait_dscnt 0x1
	v_dual_mov_b32 v44, v36 :: v_dual_mov_b32 v45, v38
	s_wait_dscnt 0x0
	v_dual_mov_b32 v46, v40 :: v_dual_mov_b32 v47, v42
	v_dual_mov_b32 v42, v41 :: v_dual_mov_b32 v38, v37
	s_delay_alu instid0(VALU_DEP_2) | instskip(NEXT) | instid1(VALU_DEP_2)
	v_pk_fma_f32 v[36:37], v[4:5], v[44:45], v[46:47]
	v_pk_fma_f32 v[40:41], v[6:7], v[44:45], v[42:43]
	s_delay_alu instid0(VALU_DEP_2) | instskip(NEXT) | instid1(VALU_DEP_2)
	v_pk_fma_f32 v[36:37], v[6:7], v[38:39], v[36:37]
	v_pk_fma_f32 v[38:39], v[4:5], v[38:39], v[40:41] neg_lo:[0,1,0] neg_hi:[0,1,0]
	s_delay_alu instid0(VALU_DEP_2) | instskip(NEXT) | instid1(VALU_DEP_2)
	v_dual_add_nc_u32 v8, -2, v8 :: v_dual_mov_b32 v40, v36
	v_dual_mov_b32 v41, v38 :: v_dual_mov_b32 v38, v37
	s_delay_alu instid0(VALU_DEP_2) | instskip(SKIP_3) | instid1(SALU_CYCLE_1)
	v_cmp_eq_u32_e32 vcc_lo, 0, v8
	ds_store_2addr_b64 v9, v[40:41], v[38:39] offset1:2
	v_add_nc_u32_e32 v9, 32, v9
	s_or_b32 s40, vcc_lo, s40
	s_and_not1_b32 exec_lo, exec_lo, s40
	s_cbranch_execnz .LBB53_69
; %bb.70:                               ;   in Loop: Header=BB53_57 Depth=2
	s_or_b32 exec_lo, exec_lo, s40
	s_mov_b32 s40, 0
	s_and_saveexec_b32 s41, s4
; %bb.71:                               ;   in Loop: Header=BB53_57 Depth=2
	s_mov_b32 s40, exec_lo
; %bb.72:                               ;   in Loop: Header=BB53_57 Depth=2
	s_or_b32 exec_lo, exec_lo, s41
	v_dual_mov_b32 v4, v21 :: v_dual_mov_b32 v5, v32
	v_mov_b32_e32 v6, v30
	s_or_not1_b32 s40, s40, exec_lo
.LBB53_73:                              ;   in Loop: Header=BB53_57 Depth=2
	s_or_b32 exec_lo, exec_lo, s29
	s_delay_alu instid0(SALU_CYCLE_1)
	s_and_b32 exec_lo, exec_lo, s40
	s_cbranch_execz .LBB53_56
; %bb.74:                               ;   in Loop: Header=BB53_57 Depth=2
	v_dual_add_nc_u32 v5, v28, v5 :: v_dual_add_nc_u32 v6, s25, v6
	s_mov_b32 s29, 0
.LBB53_75:                              ;   Parent Loop BB53_10 Depth=1
                                        ;     Parent Loop BB53_57 Depth=2
                                        ; =>    This Inner Loop Header: Depth=3
	ds_load_b64 v[8:9], v6 offset:8448
	ds_load_b64 v[34:35], v5
	v_add_nc_u32_e32 v6, 0x210, v6
	s_wait_dscnt 0x0
	v_pk_fma_f32 v[34:35], v[2:3], v[8:9], v[34:35] op_sel_hi:[1,0,1]
	s_delay_alu instid0(VALU_DEP_1) | instskip(NEXT) | instid1(VALU_DEP_1)
	v_pk_fma_f32 v[8:9], v[2:3], v[8:9], v[34:35] op_sel:[0,1,1] op_sel_hi:[1,1,0] neg_lo:[0,1,0]
	v_dual_add_nc_u32 v4, 2, v4 :: v_dual_mov_b32 v34, v9
	s_delay_alu instid0(VALU_DEP_2) | instskip(NEXT) | instid1(VALU_DEP_2)
	v_mov_b32_e32 v35, v8
	v_cmp_le_i32_e32 vcc_lo, s30, v4
	ds_store_b64 v5, v[34:35]
	v_add_nc_u32_e32 v5, 16, v5
	s_or_b32 s29, vcc_lo, s29
	s_delay_alu instid0(SALU_CYCLE_1)
	s_and_not1_b32 exec_lo, exec_lo, s29
	s_cbranch_execnz .LBB53_75
	s_branch .LBB53_56
.LBB53_76:                              ;   in Loop: Header=BB53_10 Depth=1
	s_wait_xcnt 0x0
	s_and_saveexec_b32 s24, s0
	s_cbranch_execz .LBB53_9
; %bb.77:                               ;   in Loop: Header=BB53_10 Depth=1
	v_dual_mov_b32 v2, v29 :: v_dual_mov_b32 v3, v10
	s_mov_b32 s25, 0
	s_branch .LBB53_80
.LBB53_78:                              ;   in Loop: Header=BB53_80 Depth=2
	ds_load_b64 v[6:7], v2
	s_wait_dscnt 0x0
	global_store_b64 v4, v[6:7], s[20:21] scale_offset
.LBB53_79:                              ;   in Loop: Header=BB53_80 Depth=2
	s_wait_xcnt 0x0
	s_or_b32 exec_lo, exec_lo, s26
	v_dual_add_nc_u32 v3, 2, v3 :: v_dual_add_nc_u32 v2, 16, v2
	s_delay_alu instid0(VALU_DEP_1) | instskip(SKIP_1) | instid1(SALU_CYCLE_1)
	v_cmp_le_i32_e32 vcc_lo, s30, v3
	s_or_b32 s25, vcc_lo, s25
	s_and_not1_b32 exec_lo, exec_lo, s25
	s_cbranch_execz .LBB53_9
.LBB53_80:                              ;   Parent Loop BB53_10 Depth=1
                                        ; =>  This Inner Loop Header: Depth=2
	s_and_saveexec_b32 s26, s1
	s_cbranch_execz .LBB53_79
; %bb.81:                               ;   in Loop: Header=BB53_80 Depth=2
	s_and_b32 vcc_lo, exec_lo, s35
	s_mov_b32 s27, -1
                                        ; implicit-def: $vgpr4
	s_cbranch_vccz .LBB53_83
; %bb.82:                               ;   in Loop: Header=BB53_80 Depth=2
	v_add_nc_u32_e32 v4, s23, v3
	s_mov_b32 s27, 0
	s_delay_alu instid0(VALU_DEP_1)
	v_mad_u32 v4, v4, s30, v11
.LBB53_83:                              ;   in Loop: Header=BB53_80 Depth=2
	s_and_not1_b32 vcc_lo, exec_lo, s27
	s_cbranch_vccnz .LBB53_78
; %bb.84:                               ;   in Loop: Header=BB53_80 Depth=2
	v_add_nc_u32_e32 v4, v26, v3
	s_branch .LBB53_78
.LBB53_85:                              ;   in Loop: Header=BB53_10 Depth=1
                                        ; implicit-def: $sgpr22
                                        ; implicit-def: $vgpr26
	s_cbranch_execz .LBB53_10
.LBB53_86:
	v_cmp_gt_i32_e64 s0, s30, v10
	s_and_saveexec_b32 s2, s0
	s_cbranch_execz .LBB53_99
; %bb.87:
	s_mul_i32 s3, s13, s30
	v_cmp_gt_i32_e64 s1, s30, v11
	v_dual_add_nc_u32 v0, s3, v11 :: v_dual_mov_b32 v4, v10
	s_cmp_lg_u32 s31, 0
	s_mov_b32 s4, 0
	s_cselect_b32 s8, -1, 0
	s_delay_alu instid0(VALU_DEP_1) | instskip(SKIP_1) | instid1(VALU_DEP_1)
	v_mul_lo_u32 v2, v0, s30
	v_lshlrev_b32_e32 v0, 3, v10
	v_add3_u32 v3, v12, v0, 0x2100
	s_branch .LBB53_89
.LBB53_88:                              ;   in Loop: Header=BB53_89 Depth=1
	s_wait_xcnt 0x0
	s_or_b32 exec_lo, exec_lo, s16
	v_add_nc_u32_e32 v4, 2, v4
	s_wait_loadcnt 0x0
	ds_store_b64 v3, v[0:1]
	v_add_nc_u32_e32 v3, 16, v3
	v_cmp_le_i32_e32 vcc_lo, s30, v4
	s_or_b32 s4, vcc_lo, s4
	s_delay_alu instid0(SALU_CYCLE_1)
	s_and_not1_b32 exec_lo, exec_lo, s4
	s_cbranch_execz .LBB53_99
.LBB53_89:                              ; =>This Inner Loop Header: Depth=1
	s_and_b32 vcc_lo, exec_lo, s8
	s_cbranch_vccz .LBB53_96
; %bb.90:                               ;   in Loop: Header=BB53_89 Depth=1
	s_mov_b32 s16, 0
	s_mov_b32 s9, 0
                                        ; implicit-def: $vgpr5
	s_and_saveexec_b32 s17, s1
	s_delay_alu instid0(SALU_CYCLE_1)
	s_xor_b32 s17, exec_lo, s17
; %bb.91:                               ;   in Loop: Header=BB53_89 Depth=1
	v_add_nc_u32_e32 v0, s3, v4
	s_mov_b32 s9, exec_lo
	s_delay_alu instid0(VALU_DEP_1)
	v_mad_u32 v5, v0, s30, v11
; %bb.92:                               ;   in Loop: Header=BB53_89 Depth=1
	s_or_b32 exec_lo, exec_lo, s17
	s_delay_alu instid0(SALU_CYCLE_1)
	s_and_b32 vcc_lo, exec_lo, s16
	s_cbranch_vccz .LBB53_97
.LBB53_93:                              ;   in Loop: Header=BB53_89 Depth=1
                                        ; implicit-def: $vgpr5
	s_and_saveexec_b32 s16, s1
; %bb.94:                               ;   in Loop: Header=BB53_89 Depth=1
	s_delay_alu instid0(VALU_DEP_3)
	v_add_nc_u32_e32 v5, v2, v4
	s_or_b32 s9, s9, exec_lo
; %bb.95:                               ;   in Loop: Header=BB53_89 Depth=1
	s_or_b32 exec_lo, exec_lo, s16
	v_dual_mov_b32 v0, 0 :: v_dual_mov_b32 v1, 0
	s_and_saveexec_b32 s16, s9
	s_cbranch_execz .LBB53_88
	s_branch .LBB53_98
.LBB53_96:                              ;   in Loop: Header=BB53_89 Depth=1
	s_mov_b32 s9, 0
                                        ; implicit-def: $vgpr5
	s_cbranch_execnz .LBB53_93
.LBB53_97:                              ;   in Loop: Header=BB53_89 Depth=1
	v_dual_mov_b32 v0, 0 :: v_dual_mov_b32 v1, 0
	s_and_saveexec_b32 s16, s9
	s_cbranch_execz .LBB53_88
.LBB53_98:                              ;   in Loop: Header=BB53_89 Depth=1
	global_load_b64 v[0:1], v5, s[20:21] scale_offset
	s_branch .LBB53_88
.LBB53_99:
	s_or_b32 exec_lo, exec_lo, s2
	s_cmp_lt_i32 s30, 1
	s_wait_loadcnt_dscnt 0x0
	s_cbranch_scc1 .LBB53_125
; %bb.100:
	v_dual_lshrrev_b32 v0, 1, v16 :: v_dual_bitop2_b32 v1, v10, v11 bitop3:0x54
	s_movk_i32 s4, 0x108
	s_movk_i32 s1, 0x4200
	v_mad_u32_u24 v9, v11, s4, 0x2100
	s_delay_alu instid0(VALU_DEP_2) | instskip(SKIP_3) | instid1(VALU_DEP_4)
	v_add_nc_u32_e32 v0, 1, v0
	v_mad_u32_u24 v17, 0x108, v11, s1
	v_cmp_ne_u32_e64 s1, 0, v1
	v_cmp_lt_u32_e64 s2, 1, v16
	v_dual_add_nc_u32 v19, v9, v15 :: v_dual_bitop2_b32 v8, -2, v0 bitop3:0x40
	s_delay_alu instid0(VALU_DEP_4)
	v_add_nc_u32_e32 v15, v17, v15
	v_mad_u32_u24 v16, v10, s4, 0x2100
	v_add3_u32 v21, v12, v13, 0x4200
	s_mov_b32 s8, 0
	v_lshl_add_u32 v18, v8, 1, v10
	v_cmp_ne_u32_e64 s3, v0, v8
	v_mov_b32_e32 v1, 0
	s_add_co_i32 s9, s12, s5
	s_mov_b32 s16, 0
	v_mul_lo_u32 v20, 0x108, v18
	v_lshlrev_b32_e32 v22, 3, v18
	s_branch .LBB53_102
.LBB53_101:                             ;   in Loop: Header=BB53_102 Depth=1
	s_or_b32 exec_lo, exec_lo, s4
	v_add_nc_u32_e32 v16, 8, v16
	s_add_co_i32 s16, s16, 1
	s_add_co_i32 s8, s8, 8
	s_cmp_eq_u32 s16, s30
	s_wait_storecnt_dscnt 0x0
	s_cbranch_scc1 .LBB53_125
.LBB53_102:                             ; =>This Loop Header: Depth=1
                                        ;     Child Loop BB53_118 Depth 2
                                        ;     Child Loop BB53_124 Depth 2
	s_mov_b32 s17, exec_lo
	v_cmpx_eq_u32_e64 s16, v11
	s_cbranch_execz .LBB53_110
; %bb.103:                              ;   in Loop: Header=BB53_102 Depth=1
	ds_load_b64 v[2:3], v19
	ds_load_b64 v[4:5], v15
	s_mov_b32 s4, exec_lo
	s_wait_dscnt 0x0
	v_dual_sub_f32 v0, v2, v4 :: v_dual_sub_f32 v4, v3, v5
                                        ; implicit-def: $vgpr3
	s_delay_alu instid0(VALU_DEP_1) | instskip(SKIP_1) | instid1(VALU_DEP_3)
	v_cmp_gt_f32_e32 vcc_lo, 0, v0
	v_cndmask_b32_e64 v0, v0, -v0, vcc_lo
	v_cmp_gt_f32_e32 vcc_lo, 0, v4
	v_cndmask_b32_e64 v2, v4, -v4, vcc_lo
	s_delay_alu instid0(VALU_DEP_1)
	v_cmpx_ngt_f32_e32 v0, v2
	s_xor_b32 s18, exec_lo, s4
	s_cbranch_execz .LBB53_107
; %bb.104:                              ;   in Loop: Header=BB53_102 Depth=1
	v_mov_b32_e32 v3, 0
	s_mov_b32 s19, exec_lo
	v_cmpx_neq_f32_e32 0, v4
	s_cbranch_execz .LBB53_106
; %bb.105:                              ;   in Loop: Header=BB53_102 Depth=1
	v_div_scale_f32 v3, null, v2, v2, v0
	v_div_scale_f32 v6, vcc_lo, v0, v2, v0
	s_delay_alu instid0(VALU_DEP_2) | instskip(SKIP_1) | instid1(TRANS32_DEP_1)
	v_rcp_f32_e32 v4, v3
	v_nop
	v_fma_f32 v5, -v3, v4, 1.0
	s_delay_alu instid0(VALU_DEP_1) | instskip(NEXT) | instid1(VALU_DEP_1)
	v_fmac_f32_e32 v4, v5, v4
	v_mul_f32_e32 v5, v6, v4
	s_delay_alu instid0(VALU_DEP_1) | instskip(NEXT) | instid1(VALU_DEP_1)
	v_fma_f32 v7, -v3, v5, v6
	v_fmac_f32_e32 v5, v7, v4
	s_delay_alu instid0(VALU_DEP_1) | instskip(NEXT) | instid1(VALU_DEP_1)
	v_fma_f32 v3, -v3, v5, v6
	v_div_fmas_f32 v3, v3, v4, v5
	s_delay_alu instid0(VALU_DEP_1) | instskip(NEXT) | instid1(VALU_DEP_1)
	v_div_fixup_f32 v0, v3, v2, v0
	v_fma_f32 v0, v0, v0, 1.0
	s_delay_alu instid0(VALU_DEP_1) | instskip(SKIP_1) | instid1(VALU_DEP_2)
	v_mul_f32_e32 v3, 0x4f800000, v0
	v_cmp_gt_f32_e32 vcc_lo, 0xf800000, v0
	v_cndmask_b32_e32 v0, v0, v3, vcc_lo
	s_delay_alu instid0(VALU_DEP_1) | instskip(SKIP_1) | instid1(TRANS32_DEP_1)
	v_sqrt_f32_e32 v3, v0
	v_nop
	v_dual_add_nc_u32 v4, -1, v3 :: v_dual_add_nc_u32 v5, 1, v3
	s_delay_alu instid0(VALU_DEP_1) | instskip(NEXT) | instid1(VALU_DEP_1)
	v_fma_f32 v6, -v4, v3, v0
	v_cmp_ge_f32_e64 s4, 0, v6
	s_delay_alu instid0(VALU_DEP_1) | instskip(NEXT) | instid1(VALU_DEP_1)
	v_dual_fma_f32 v7, -v5, v3, v0 :: v_dual_cndmask_b32 v3, v3, v4, s4
	v_cmp_lt_f32_e64 s4, 0, v7
	s_delay_alu instid0(VALU_DEP_1) | instskip(NEXT) | instid1(VALU_DEP_1)
	v_cndmask_b32_e64 v3, v3, v5, s4
	v_mul_f32_e32 v4, 0x37800000, v3
	s_delay_alu instid0(VALU_DEP_1) | instskip(SKIP_1) | instid1(VALU_DEP_2)
	v_cndmask_b32_e32 v3, v3, v4, vcc_lo
	v_cmp_class_f32_e64 vcc_lo, v0, 0x260
	v_cndmask_b32_e32 v0, v3, v0, vcc_lo
	s_delay_alu instid0(VALU_DEP_1)
	v_mul_f32_e32 v3, v2, v0
.LBB53_106:                             ;   in Loop: Header=BB53_102 Depth=1
	s_or_b32 exec_lo, exec_lo, s19
                                        ; implicit-def: $vgpr0
                                        ; implicit-def: $vgpr2
.LBB53_107:                             ;   in Loop: Header=BB53_102 Depth=1
	s_and_not1_saveexec_b32 s18, s18
	s_cbranch_execz .LBB53_109
; %bb.108:                              ;   in Loop: Header=BB53_102 Depth=1
	v_div_scale_f32 v3, null, v0, v0, v2
	v_div_scale_f32 v6, vcc_lo, v2, v0, v2
	s_delay_alu instid0(VALU_DEP_2) | instskip(SKIP_1) | instid1(TRANS32_DEP_1)
	v_rcp_f32_e32 v4, v3
	v_nop
	v_fma_f32 v5, -v3, v4, 1.0
	s_delay_alu instid0(VALU_DEP_1) | instskip(NEXT) | instid1(VALU_DEP_1)
	v_fmac_f32_e32 v4, v5, v4
	v_mul_f32_e32 v5, v6, v4
	s_delay_alu instid0(VALU_DEP_1) | instskip(NEXT) | instid1(VALU_DEP_1)
	v_fma_f32 v7, -v3, v5, v6
	v_fmac_f32_e32 v5, v7, v4
	s_delay_alu instid0(VALU_DEP_1) | instskip(NEXT) | instid1(VALU_DEP_1)
	v_fma_f32 v3, -v3, v5, v6
	v_div_fmas_f32 v3, v3, v4, v5
	s_delay_alu instid0(VALU_DEP_1) | instskip(NEXT) | instid1(VALU_DEP_1)
	v_div_fixup_f32 v2, v3, v0, v2
	v_fma_f32 v2, v2, v2, 1.0
	s_delay_alu instid0(VALU_DEP_1) | instskip(SKIP_1) | instid1(VALU_DEP_2)
	v_mul_f32_e32 v3, 0x4f800000, v2
	v_cmp_gt_f32_e32 vcc_lo, 0xf800000, v2
	v_cndmask_b32_e32 v2, v2, v3, vcc_lo
	s_delay_alu instid0(VALU_DEP_1) | instskip(SKIP_1) | instid1(TRANS32_DEP_1)
	v_sqrt_f32_e32 v3, v2
	v_nop
	v_dual_add_nc_u32 v4, -1, v3 :: v_dual_add_nc_u32 v5, 1, v3
	s_delay_alu instid0(VALU_DEP_1) | instskip(NEXT) | instid1(VALU_DEP_1)
	v_fma_f32 v6, -v4, v3, v2
	v_cmp_ge_f32_e64 s4, 0, v6
	s_delay_alu instid0(VALU_DEP_1) | instskip(NEXT) | instid1(VALU_DEP_1)
	v_dual_fma_f32 v7, -v5, v3, v2 :: v_dual_cndmask_b32 v3, v3, v4, s4
	v_cmp_lt_f32_e64 s4, 0, v7
	s_delay_alu instid0(VALU_DEP_1) | instskip(NEXT) | instid1(VALU_DEP_1)
	v_cndmask_b32_e64 v3, v3, v5, s4
	v_mul_f32_e32 v4, 0x37800000, v3
	s_delay_alu instid0(VALU_DEP_1) | instskip(SKIP_1) | instid1(VALU_DEP_2)
	v_cndmask_b32_e32 v3, v3, v4, vcc_lo
	v_cmp_class_f32_e64 vcc_lo, v2, 0x260
	v_cndmask_b32_e32 v2, v3, v2, vcc_lo
	s_delay_alu instid0(VALU_DEP_1)
	v_mul_f32_e32 v3, v0, v2
.LBB53_109:                             ;   in Loop: Header=BB53_102 Depth=1
	s_or_b32 exec_lo, exec_lo, s18
	s_delay_alu instid0(VALU_DEP_1) | instskip(SKIP_1) | instid1(VALU_DEP_2)
	v_mul_f32_e32 v0, 0x4f800000, v3
	v_cmp_gt_f32_e32 vcc_lo, 0xf800000, v3
	v_cndmask_b32_e32 v0, v3, v0, vcc_lo
	s_delay_alu instid0(VALU_DEP_1) | instskip(SKIP_1) | instid1(TRANS32_DEP_1)
	v_sqrt_f32_e32 v2, v0
	v_nop
	v_dual_add_nc_u32 v3, -1, v2 :: v_dual_add_nc_u32 v4, 1, v2
	s_delay_alu instid0(VALU_DEP_1) | instskip(NEXT) | instid1(VALU_DEP_1)
	v_dual_fma_f32 v5, -v3, v2, v0 :: v_dual_fma_f32 v6, -v4, v2, v0
	v_cmp_ge_f32_e64 s4, 0, v5
	s_delay_alu instid0(VALU_DEP_1) | instskip(NEXT) | instid1(VALU_DEP_3)
	v_cndmask_b32_e64 v2, v2, v3, s4
	v_cmp_lt_f32_e64 s4, 0, v6
	s_delay_alu instid0(VALU_DEP_1) | instskip(NEXT) | instid1(VALU_DEP_1)
	v_cndmask_b32_e64 v2, v2, v4, s4
	v_mul_f32_e32 v3, 0x37800000, v2
	s_delay_alu instid0(VALU_DEP_1) | instskip(SKIP_1) | instid1(VALU_DEP_2)
	v_cndmask_b32_e32 v2, v2, v3, vcc_lo
	v_cmp_class_f32_e64 vcc_lo, v0, 0x260
	v_cndmask_b32_e32 v0, v2, v0, vcc_lo
	ds_store_b64 v19, v[0:1]
.LBB53_110:                             ;   in Loop: Header=BB53_102 Depth=1
	s_or_b32 exec_lo, exec_lo, s17
	s_lshl_b32 s4, s16, 3
	s_mul_i32 s17, s16, 0x108
	s_wait_dscnt 0x0
	s_add_co_i32 s17, s17, s4
	s_delay_alu instid0(SALU_CYCLE_1)
	v_dual_mov_b32 v0, s17 :: v_dual_add_nc_u32 v5, s4, v9
	ds_load_b64 v[2:3], v0 offset:8448
	s_wait_dscnt 0x0
	v_readfirstlane_b32 s17, v2
	v_readfirstlane_b32 s4, v3
	ds_load_b64 v[2:3], v5
	s_cmp_neq_f32 s17, 0
	s_cselect_b32 s18, -1, 0
	s_cmp_neq_f32 s4, 0
	s_cselect_b32 s19, -1, 0
	s_delay_alu instid0(SALU_CYCLE_1) | instskip(NEXT) | instid1(SALU_CYCLE_1)
	s_or_b32 s18, s18, s19
	s_nor_b32 s19, s18, s1
	s_and_b32 s18, s18, exec_lo
	s_cselect_b32 s4, s4, 0
	s_cselect_b32 s17, s17, 1.0
	s_delay_alu instid0(SALU_CYCLE_1)
	v_dual_mov_b32 v4, s4 :: v_dual_mov_b32 v0, s17
	s_and_saveexec_b32 s4, s19
	s_cbranch_execz .LBB53_114
; %bb.111:                              ;   in Loop: Header=BB53_102 Depth=1
	v_mbcnt_lo_u32_b32 v0, exec_lo, 0
	s_mov_b32 s17, exec_lo
	s_delay_alu instid0(VALU_DEP_1)
	v_cmpx_eq_u32_e32 0, v0
	s_cbranch_execz .LBB53_113
; %bb.112:                              ;   in Loop: Header=BB53_102 Depth=1
	v_mov_b32_e32 v0, s9
	global_atomic_min_i32 v1, v0, s[14:15] scope:SCOPE_DEV
.LBB53_113:                             ;   in Loop: Header=BB53_102 Depth=1
	s_wait_xcnt 0x0
	s_or_b32 exec_lo, exec_lo, s17
	v_dual_mov_b32 v0, 1.0 :: v_dual_mov_b32 v4, 0
.LBB53_114:                             ;   in Loop: Header=BB53_102 Depth=1
	s_or_b32 exec_lo, exec_lo, s4
	s_delay_alu instid0(SALU_CYCLE_1)
	s_mov_b32 s4, exec_lo
	v_cmpx_lt_u32_e64 s16, v11
	s_cbranch_execz .LBB53_101
; %bb.115:                              ;   in Loop: Header=BB53_102 Depth=1
	v_mul_f32_e32 v23, v4, v4
	v_lshl_add_u32 v6, s16, 3, v17
	s_wait_dscnt 0x0
	s_delay_alu instid0(VALU_DEP_2) | instskip(SKIP_2) | instid1(VALU_DEP_1)
	v_dual_mov_b32 v25, v2 :: v_dual_fmac_f32 v23, v0, v0
	ds_load_b64 v[6:7], v6
	v_div_scale_f32 v26, null, v23, v23, 1.0
	v_rcp_f32_e32 v27, v26
	v_nop
	s_delay_alu instid0(TRANS32_DEP_1) | instskip(NEXT) | instid1(VALU_DEP_1)
	v_fma_f32 v24, -v26, v27, 1.0
	v_dual_fmac_f32 v27, v24, v27 :: v_dual_mov_b32 v24, v3
	v_div_scale_f32 v28, vcc_lo, 1.0, v23, 1.0
	s_wait_dscnt 0x0
	s_delay_alu instid0(VALU_DEP_2) | instskip(NEXT) | instid1(VALU_DEP_2)
	v_pk_add_f32 v[2:3], v[24:25], v[6:7] op_sel:[0,1] op_sel_hi:[1,0] neg_lo:[0,1] neg_hi:[0,1]
	v_mul_f32_e32 v29, v28, v27
	s_delay_alu instid0(VALU_DEP_2) | instskip(NEXT) | instid1(VALU_DEP_2)
	v_pk_mul_f32 v[6:7], v[4:5], v[2:3] op_sel:[0,1] op_sel_hi:[0,0] neg_lo:[0,1]
	v_fma_f32 v30, -v26, v29, v28
	s_delay_alu instid0(VALU_DEP_2) | instskip(NEXT) | instid1(VALU_DEP_2)
	v_pk_fma_f32 v[2:3], v[2:3], v[0:1], v[6:7] op_sel_hi:[1,0,1]
	v_fmac_f32_e32 v29, v30, v27
	s_delay_alu instid0(VALU_DEP_1) | instskip(NEXT) | instid1(VALU_DEP_1)
	v_fma_f32 v24, -v26, v29, v28
	v_div_fmas_f32 v4, v24, v27, v29
	s_delay_alu instid0(VALU_DEP_1) | instskip(NEXT) | instid1(VALU_DEP_1)
	v_div_fixup_f32 v0, v4, v23, 1.0
	v_pk_mul_f32 v[2:3], v[0:1], v[2:3] op_sel_hi:[0,1]
	s_delay_alu instid0(VALU_DEP_1)
	v_dual_mov_b32 v6, v3 :: v_dual_mov_b32 v7, v2
	ds_store_b64 v5, v[6:7]
	s_wait_storecnt_dscnt 0x0
	s_and_b32 exec_lo, exec_lo, s0
	s_cbranch_execz .LBB53_101
; %bb.116:                              ;   in Loop: Header=BB53_102 Depth=1
	v_dual_mov_b32 v0, v10 :: v_dual_mov_b32 v6, v13
	v_mov_b32_e32 v7, v14
	s_mov_b32 s18, -1
	s_and_saveexec_b32 s17, s2
	s_cbranch_execz .LBB53_122
; %bb.117:                              ;   in Loop: Header=BB53_102 Depth=1
	v_dual_mov_b32 v4, v3 :: v_dual_mov_b32 v5, v3
	v_dual_mov_b32 v6, v2 :: v_dual_mov_b32 v7, v2
	;; [unrolled: 1-line block ×3, first 2 shown]
	v_mov_b32_e32 v24, v16
	s_mov_b32 s18, 0
.LBB53_118:                             ;   Parent Loop BB53_102 Depth=1
                                        ; =>  This Inner Loop Header: Depth=2
	ds_load_2addr_b64 v[26:29], v24 offset1:66
	ds_load_2addr_b64 v[30:33], v23 offset1:2
	v_add_nc_u32_e32 v24, 0x420, v24
	s_wait_dscnt 0x1
	v_dual_mov_b32 v34, v26 :: v_dual_mov_b32 v35, v28
	s_wait_dscnt 0x0
	v_dual_mov_b32 v36, v30 :: v_dual_mov_b32 v37, v32
	v_dual_mov_b32 v32, v31 :: v_dual_mov_b32 v28, v27
	s_delay_alu instid0(VALU_DEP_2) | instskip(NEXT) | instid1(VALU_DEP_2)
	v_pk_fma_f32 v[26:27], v[4:5], v[34:35], v[36:37]
	v_pk_fma_f32 v[30:31], v[6:7], v[34:35], v[32:33]
	s_delay_alu instid0(VALU_DEP_2) | instskip(NEXT) | instid1(VALU_DEP_2)
	v_pk_fma_f32 v[26:27], v[6:7], v[28:29], v[26:27]
	v_pk_fma_f32 v[28:29], v[4:5], v[28:29], v[30:31] neg_lo:[0,1,0] neg_hi:[0,1,0]
	s_delay_alu instid0(VALU_DEP_2) | instskip(NEXT) | instid1(VALU_DEP_2)
	v_dual_add_nc_u32 v0, -2, v0 :: v_dual_mov_b32 v30, v26
	v_dual_mov_b32 v31, v28 :: v_dual_mov_b32 v28, v27
	s_delay_alu instid0(VALU_DEP_2) | instskip(SKIP_3) | instid1(SALU_CYCLE_1)
	v_cmp_eq_u32_e32 vcc_lo, 0, v0
	ds_store_2addr_b64 v23, v[30:31], v[28:29] offset1:2
	v_add_nc_u32_e32 v23, 32, v23
	s_or_b32 s18, vcc_lo, s18
	s_and_not1_b32 exec_lo, exec_lo, s18
	s_cbranch_execnz .LBB53_118
; %bb.119:                              ;   in Loop: Header=BB53_102 Depth=1
	s_or_b32 exec_lo, exec_lo, s18
	s_mov_b32 s18, 0
	s_and_saveexec_b32 s19, s3
; %bb.120:                              ;   in Loop: Header=BB53_102 Depth=1
	s_mov_b32 s18, exec_lo
; %bb.121:                              ;   in Loop: Header=BB53_102 Depth=1
	s_or_b32 exec_lo, exec_lo, s19
	v_dual_mov_b32 v0, v18 :: v_dual_mov_b32 v6, v22
	v_mov_b32_e32 v7, v20
	s_or_not1_b32 s18, s18, exec_lo
.LBB53_122:                             ;   in Loop: Header=BB53_102 Depth=1
	s_or_b32 exec_lo, exec_lo, s17
	s_delay_alu instid0(SALU_CYCLE_1)
	s_and_b32 exec_lo, exec_lo, s18
	s_cbranch_execz .LBB53_101
; %bb.123:                              ;   in Loop: Header=BB53_102 Depth=1
	v_dual_mov_b32 v4, v3 :: v_dual_mov_b32 v5, v2
	v_dual_add_nc_u32 v6, v17, v6 :: v_dual_add_nc_u32 v7, s8, v7
	s_mov_b32 s17, 0
.LBB53_124:                             ;   Parent Loop BB53_102 Depth=1
                                        ; =>  This Inner Loop Header: Depth=2
	ds_load_b64 v[24:25], v7 offset:8448
	ds_load_b64 v[26:27], v6
	v_add_nc_u32_e32 v0, 2, v0
	v_add_nc_u32_e32 v7, 0x210, v7
	s_wait_dscnt 0x0
	v_pk_fma_f32 v[26:27], v[4:5], v[24:25], v[26:27] op_sel_hi:[1,0,1]
	s_delay_alu instid0(VALU_DEP_1) | instskip(SKIP_4) | instid1(SALU_CYCLE_1)
	v_pk_fma_f32 v[24:25], v[2:3], v[24:25], v[26:27] op_sel:[0,1,0] neg_hi:[0,1,0]
	ds_store_b64 v6, v[24:25]
	v_add_nc_u32_e32 v6, 16, v6
	v_cmp_le_i32_e32 vcc_lo, s30, v0
	s_or_b32 s17, vcc_lo, s17
	s_and_not1_b32 exec_lo, exec_lo, s17
	s_cbranch_execnz .LBB53_124
	s_branch .LBB53_101
.LBB53_125:
	s_and_saveexec_b32 s1, s0
	s_cbranch_execz .LBB53_134
; %bb.126:
	s_mul_i32 s13, s13, s30
	v_cmp_gt_i32_e64 s0, s30, v11
	v_dual_add_nc_u32 v0, s13, v11 :: v_dual_mov_b32 v2, v10
	v_add3_u32 v1, v12, v13, 0x2100
	s_cmp_lg_u32 s31, 0
	s_mov_b32 s2, 0
	s_delay_alu instid0(VALU_DEP_2)
	v_mul_lo_u32 v0, v0, s30
	s_cselect_b32 s3, -1, 0
	s_branch .LBB53_130
.LBB53_127:                             ;   in Loop: Header=BB53_130 Depth=1
	s_delay_alu instid0(VALU_DEP_1)
	v_add_nc_u32_e32 v3, v0, v2
.LBB53_128:                             ;   in Loop: Header=BB53_130 Depth=1
	ds_load_b64 v[4:5], v1
	s_wait_dscnt 0x0
	global_store_b64 v3, v[4:5], s[20:21] scale_offset
.LBB53_129:                             ;   in Loop: Header=BB53_130 Depth=1
	s_wait_xcnt 0x0
	s_or_b32 exec_lo, exec_lo, s4
	v_dual_add_nc_u32 v2, 2, v2 :: v_dual_add_nc_u32 v1, 16, v1
	s_delay_alu instid0(VALU_DEP_1) | instskip(SKIP_1) | instid1(SALU_CYCLE_1)
	v_cmp_le_i32_e32 vcc_lo, s30, v2
	s_or_b32 s2, vcc_lo, s2
	s_and_not1_b32 exec_lo, exec_lo, s2
	s_cbranch_execz .LBB53_134
.LBB53_130:                             ; =>This Inner Loop Header: Depth=1
	s_and_saveexec_b32 s4, s0
	s_cbranch_execz .LBB53_129
; %bb.131:                              ;   in Loop: Header=BB53_130 Depth=1
	s_and_b32 vcc_lo, exec_lo, s3
	s_cbranch_vccz .LBB53_133
; %bb.132:                              ;   in Loop: Header=BB53_130 Depth=1
	v_add_nc_u32_e32 v3, s13, v2
	s_delay_alu instid0(VALU_DEP_1)
	v_mad_u32 v3, v3, s30, v11
	s_cbranch_execnz .LBB53_128
	s_branch .LBB53_127
.LBB53_133:                             ;   in Loop: Header=BB53_130 Depth=1
                                        ; implicit-def: $vgpr3
	s_branch .LBB53_127
.LBB53_134:
	s_or_b32 exec_lo, exec_lo, s1
	v_or_b32_e32 v0, v10, v11
	s_mov_b32 s0, 0
	s_mov_b32 s1, exec_lo
	s_delay_alu instid0(VALU_DEP_1)
	v_cmpx_eq_u32_e32 0, v0
	s_cbranch_execz .LBB53_136
; %bb.135:
	v_dual_mov_b32 v0, 0 :: v_dual_mov_b32 v1, 1
	s_add_nc_u64 s[2:3], s[10:11], s[6:7]
	global_wb scope:SCOPE_DEV
	s_wait_storecnt 0x0
	global_store_b32 v0, v1, s[2:3] scope:SCOPE_DEV
.LBB53_136:
	s_wait_xcnt 0x0
	s_or_b32 exec_lo, exec_lo, s1
	s_delay_alu instid0(SALU_CYCLE_1)
	s_and_b32 vcc_lo, exec_lo, s0
	s_cbranch_vccnz .LBB53_139
.LBB53_137:
	s_endpgm
.LBB53_138:
	s_cbranch_execz .LBB53_137
.LBB53_139:
	v_or_b32_e32 v0, v10, v11
	s_mov_b32 s0, exec_lo
	s_delay_alu instid0(VALU_DEP_1)
	v_cmpx_eq_u32_e32 0, v0
	s_cbranch_execz .LBB53_137
; %bb.140:
	v_mbcnt_lo_u32_b32 v0, exec_lo, 0
	s_mov_b32 s0, exec_lo
	s_delay_alu instid0(VALU_DEP_1)
	v_cmpx_eq_u32_e32 0, v0
	s_cbranch_execz .LBB53_142
; %bb.141:
	s_add_co_i32 s1, s12, s5
	s_delay_alu instid0(SALU_CYCLE_1)
	v_dual_mov_b32 v0, 0 :: v_dual_mov_b32 v1, s1
	global_atomic_min_i32 v0, v1, s[14:15] scope:SCOPE_DEV
.LBB53_142:
	s_wait_xcnt 0x0
	s_or_b32 exec_lo, exec_lo, s0
	v_dual_mov_b32 v0, 0 :: v_dual_mov_b32 v1, 1
	s_add_nc_u64 s[0:1], s[10:11], s[6:7]
	global_wb scope:SCOPE_DEV
	s_wait_storecnt 0x0
	global_store_b32 v0, v1, s[0:1] scope:SCOPE_DEV
	s_endpgm
	.section	.rodata,"a",@progbits
	.p2align	6, 0x0
	.amdhsa_kernel _ZN9rocsparseL19bsric0_17_32_kernelILi64ELi64ELi32E21rocsparse_complex_numIfEEEv20rocsparse_direction_iiPKiS5_PT2_S5_PiS5_S8_21rocsparse_index_base_
		.amdhsa_group_segment_fixed_size 26112
		.amdhsa_private_segment_fixed_size 0
		.amdhsa_kernarg_size 76
		.amdhsa_user_sgpr_count 2
		.amdhsa_user_sgpr_dispatch_ptr 0
		.amdhsa_user_sgpr_queue_ptr 0
		.amdhsa_user_sgpr_kernarg_segment_ptr 1
		.amdhsa_user_sgpr_dispatch_id 0
		.amdhsa_user_sgpr_kernarg_preload_length 0
		.amdhsa_user_sgpr_kernarg_preload_offset 0
		.amdhsa_user_sgpr_private_segment_size 0
		.amdhsa_wavefront_size32 1
		.amdhsa_uses_dynamic_stack 0
		.amdhsa_enable_private_segment 0
		.amdhsa_system_sgpr_workgroup_id_x 1
		.amdhsa_system_sgpr_workgroup_id_y 0
		.amdhsa_system_sgpr_workgroup_id_z 0
		.amdhsa_system_sgpr_workgroup_info 0
		.amdhsa_system_vgpr_workitem_id 1
		.amdhsa_next_free_vgpr 145
		.amdhsa_next_free_sgpr 47
		.amdhsa_named_barrier_count 0
		.amdhsa_reserve_vcc 1
		.amdhsa_float_round_mode_32 0
		.amdhsa_float_round_mode_16_64 0
		.amdhsa_float_denorm_mode_32 3
		.amdhsa_float_denorm_mode_16_64 3
		.amdhsa_fp16_overflow 0
		.amdhsa_memory_ordered 1
		.amdhsa_forward_progress 1
		.amdhsa_inst_pref_size 43
		.amdhsa_round_robin_scheduling 0
		.amdhsa_exception_fp_ieee_invalid_op 0
		.amdhsa_exception_fp_denorm_src 0
		.amdhsa_exception_fp_ieee_div_zero 0
		.amdhsa_exception_fp_ieee_overflow 0
		.amdhsa_exception_fp_ieee_underflow 0
		.amdhsa_exception_fp_ieee_inexact 0
		.amdhsa_exception_int_div_zero 0
	.end_amdhsa_kernel
	.section	.text._ZN9rocsparseL19bsric0_17_32_kernelILi64ELi64ELi32E21rocsparse_complex_numIfEEEv20rocsparse_direction_iiPKiS5_PT2_S5_PiS5_S8_21rocsparse_index_base_,"axG",@progbits,_ZN9rocsparseL19bsric0_17_32_kernelILi64ELi64ELi32E21rocsparse_complex_numIfEEEv20rocsparse_direction_iiPKiS5_PT2_S5_PiS5_S8_21rocsparse_index_base_,comdat
.Lfunc_end53:
	.size	_ZN9rocsparseL19bsric0_17_32_kernelILi64ELi64ELi32E21rocsparse_complex_numIfEEEv20rocsparse_direction_iiPKiS5_PT2_S5_PiS5_S8_21rocsparse_index_base_, .Lfunc_end53-_ZN9rocsparseL19bsric0_17_32_kernelILi64ELi64ELi32E21rocsparse_complex_numIfEEEv20rocsparse_direction_iiPKiS5_PT2_S5_PiS5_S8_21rocsparse_index_base_
                                        ; -- End function
	.set _ZN9rocsparseL19bsric0_17_32_kernelILi64ELi64ELi32E21rocsparse_complex_numIfEEEv20rocsparse_direction_iiPKiS5_PT2_S5_PiS5_S8_21rocsparse_index_base_.num_vgpr, 48
	.set _ZN9rocsparseL19bsric0_17_32_kernelILi64ELi64ELi32E21rocsparse_complex_numIfEEEv20rocsparse_direction_iiPKiS5_PT2_S5_PiS5_S8_21rocsparse_index_base_.num_agpr, 0
	.set _ZN9rocsparseL19bsric0_17_32_kernelILi64ELi64ELi32E21rocsparse_complex_numIfEEEv20rocsparse_direction_iiPKiS5_PT2_S5_PiS5_S8_21rocsparse_index_base_.numbered_sgpr, 47
	.set _ZN9rocsparseL19bsric0_17_32_kernelILi64ELi64ELi32E21rocsparse_complex_numIfEEEv20rocsparse_direction_iiPKiS5_PT2_S5_PiS5_S8_21rocsparse_index_base_.num_named_barrier, 0
	.set _ZN9rocsparseL19bsric0_17_32_kernelILi64ELi64ELi32E21rocsparse_complex_numIfEEEv20rocsparse_direction_iiPKiS5_PT2_S5_PiS5_S8_21rocsparse_index_base_.private_seg_size, 0
	.set _ZN9rocsparseL19bsric0_17_32_kernelILi64ELi64ELi32E21rocsparse_complex_numIfEEEv20rocsparse_direction_iiPKiS5_PT2_S5_PiS5_S8_21rocsparse_index_base_.uses_vcc, 1
	.set _ZN9rocsparseL19bsric0_17_32_kernelILi64ELi64ELi32E21rocsparse_complex_numIfEEEv20rocsparse_direction_iiPKiS5_PT2_S5_PiS5_S8_21rocsparse_index_base_.uses_flat_scratch, 0
	.set _ZN9rocsparseL19bsric0_17_32_kernelILi64ELi64ELi32E21rocsparse_complex_numIfEEEv20rocsparse_direction_iiPKiS5_PT2_S5_PiS5_S8_21rocsparse_index_base_.has_dyn_sized_stack, 0
	.set _ZN9rocsparseL19bsric0_17_32_kernelILi64ELi64ELi32E21rocsparse_complex_numIfEEEv20rocsparse_direction_iiPKiS5_PT2_S5_PiS5_S8_21rocsparse_index_base_.has_recursion, 0
	.set _ZN9rocsparseL19bsric0_17_32_kernelILi64ELi64ELi32E21rocsparse_complex_numIfEEEv20rocsparse_direction_iiPKiS5_PT2_S5_PiS5_S8_21rocsparse_index_base_.has_indirect_call, 0
	.section	.AMDGPU.csdata,"",@progbits
; Kernel info:
; codeLenInByte = 5456
; TotalNumSgprs: 49
; NumVgprs: 48
; ScratchSize: 0
; MemoryBound: 0
; FloatMode: 240
; IeeeMode: 1
; LDSByteSize: 26112 bytes/workgroup (compile time only)
; SGPRBlocks: 0
; VGPRBlocks: 9
; NumSGPRsForWavesPerEU: 49
; NumVGPRsForWavesPerEU: 145
; NamedBarCnt: 0
; Occupancy: 6
; WaveLimiterHint : 1
; COMPUTE_PGM_RSRC2:SCRATCH_EN: 0
; COMPUTE_PGM_RSRC2:USER_SGPR: 2
; COMPUTE_PGM_RSRC2:TRAP_HANDLER: 0
; COMPUTE_PGM_RSRC2:TGID_X_EN: 1
; COMPUTE_PGM_RSRC2:TGID_Y_EN: 0
; COMPUTE_PGM_RSRC2:TGID_Z_EN: 0
; COMPUTE_PGM_RSRC2:TIDIG_COMP_CNT: 1
	.section	.text._ZN9rocsparseL17bsric0_2_8_kernelILi64ELi128ELi8E21rocsparse_complex_numIfEEEv20rocsparse_direction_iiPKiS5_PT2_S5_PiS5_S8_21rocsparse_index_base_,"axG",@progbits,_ZN9rocsparseL17bsric0_2_8_kernelILi64ELi128ELi8E21rocsparse_complex_numIfEEEv20rocsparse_direction_iiPKiS5_PT2_S5_PiS5_S8_21rocsparse_index_base_,comdat
	.globl	_ZN9rocsparseL17bsric0_2_8_kernelILi64ELi128ELi8E21rocsparse_complex_numIfEEEv20rocsparse_direction_iiPKiS5_PT2_S5_PiS5_S8_21rocsparse_index_base_ ; -- Begin function _ZN9rocsparseL17bsric0_2_8_kernelILi64ELi128ELi8E21rocsparse_complex_numIfEEEv20rocsparse_direction_iiPKiS5_PT2_S5_PiS5_S8_21rocsparse_index_base_
	.p2align	8
	.type	_ZN9rocsparseL17bsric0_2_8_kernelILi64ELi128ELi8E21rocsparse_complex_numIfEEEv20rocsparse_direction_iiPKiS5_PT2_S5_PiS5_S8_21rocsparse_index_base_,@function
_ZN9rocsparseL17bsric0_2_8_kernelILi64ELi128ELi8E21rocsparse_complex_numIfEEEv20rocsparse_direction_iiPKiS5_PT2_S5_PiS5_S8_21rocsparse_index_base_: ; @_ZN9rocsparseL17bsric0_2_8_kernelILi64ELi128ELi8E21rocsparse_complex_numIfEEEv20rocsparse_direction_iiPKiS5_PT2_S5_PiS5_S8_21rocsparse_index_base_
; %bb.0:
	s_load_b256 s[4:11], s[0:1], 0x28
	s_bfe_u32 s2, ttmp6, 0x4000c
	s_and_b32 s3, ttmp6, 15
	s_add_co_i32 s2, s2, 1
	s_getreg_b32 s12, hwreg(HW_REG_IB_STS2, 6, 4)
	s_mul_i32 s2, ttmp9, s2
	v_and_b32_e32 v8, 0x3ff, v0
	s_add_co_i32 s3, s3, s2
	s_cmp_eq_u32 s12, 0
	v_bfe_u32 v9, v0, 10, 10
	s_cselect_b32 s2, ttmp9, s3
	s_wait_kmcnt 0x0
	s_load_b32 s16, s[8:9], s2 offset:0x0 scale_offset
	s_wait_kmcnt 0x0
	s_ashr_i32 s17, s16, 31
	s_delay_alu instid0(SALU_CYCLE_1) | instskip(NEXT) | instid1(SALU_CYCLE_1)
	s_lshl_b64 s[8:9], s[16:17], 2
	s_add_nc_u64 s[12:13], s[4:5], s[8:9]
	s_load_b32 s17, s[12:13], 0x0
	s_load_b32 s3, s[0:1], 0x48
	s_wait_kmcnt 0x0
	s_cmp_lg_u32 s17, -1
	s_cbranch_scc0 .LBB54_92
; %bb.1:
	s_clause 0x1
	s_load_b128 s[12:15], s[0:1], 0x10
	s_load_b64 s[18:19], s[0:1], 0x20
	v_lshlrev_b32_e32 v10, 3, v9
	s_mov_b32 s2, exec_lo
	s_delay_alu instid0(VALU_DEP_1)
	v_add_nc_u32_e32 v1, v10, v8
	s_wait_kmcnt 0x0
	s_add_nc_u64 s[20:21], s[12:13], s[8:9]
	s_load_b32 s20, s[20:21], 0x0
	s_wait_kmcnt 0x0
	s_sub_co_i32 s28, s20, s3
	s_delay_alu instid0(SALU_CYCLE_1) | instskip(NEXT) | instid1(VALU_DEP_1)
	v_add_nc_u32_e32 v0, s28, v1
	v_cmpx_ge_i32_e64 s17, v0
	s_cbranch_execz .LBB54_13
; %bb.2:
	v_add_nc_u32_e32 v1, s20, v1
	s_add_co_i32 s21, s17, 1
	v_not_b32_e32 v2, v8
	s_mov_b32 s22, -1
	s_delay_alu instid0(VALU_DEP_2) | instskip(NEXT) | instid1(VALU_DEP_1)
	v_subrev_nc_u32_e32 v1, s3, v1
	v_add_max_i32_e64 v1, v1, 64, s21
	s_mov_b32 s21, exec_lo
	s_delay_alu instid0(VALU_DEP_1) | instskip(SKIP_1) | instid1(VALU_DEP_1)
	v_add3_u32 v1, s3, v1, v2
	v_add_nc_u32_e32 v2, s20, v10
	v_sub_nc_u32_e32 v1, v1, v2
	s_delay_alu instid0(VALU_DEP_1)
	v_cmpx_lt_u32_e32 63, v1
	s_cbranch_execz .LBB54_10
; %bb.3:
	v_dual_lshrrev_b32 v4, 6, v1 :: v_dual_add_nc_u32 v1, 64, v0
	s_delay_alu instid0(VALU_DEP_1) | instskip(NEXT) | instid1(VALU_DEP_1)
	v_add_nc_u32_e32 v2, -1, v4
	v_lshrrev_b32_e32 v3, 1, v2
	s_delay_alu instid0(VALU_DEP_1)
	v_add_nc_u32_e32 v5, 1, v3
	v_cmp_lt_u32_e32 vcc_lo, 13, v2
	v_mov_b64_e32 v[2:3], v[0:1]
	s_and_saveexec_b32 s22, vcc_lo
	s_cbranch_execz .LBB54_7
; %bb.4:
	v_mov_b64_e32 v[2:3], v[0:1]
	v_and_b32_e32 v6, -8, v5
	s_mov_b32 s23, 0
.LBB54_5:                               ; =>This Inner Loop Header: Depth=1
	s_clause 0x1
	global_load_b32 v1, v2, s[14:15] scale_offset
	global_load_b32 v7, v3, s[14:15] scale_offset
	v_add_nc_u32_e32 v17, 0x200, v3
	v_add_nc_u32_e32 v15, 0x180, v3
	;; [unrolled: 1-line block ×14, first 2 shown]
	s_clause 0xd
	global_load_b32 v25, v17, s[14:15] scale_offset
	global_load_b32 v26, v15, s[14:15] scale_offset
	;; [unrolled: 1-line block ×14, first 2 shown]
	v_subrev_nc_u32_e32 v39, s28, v2
	v_subrev_nc_u32_e32 v40, s28, v3
	v_add_nc_u32_e32 v6, -8, v6
	s_wait_xcnt 0xa
	v_subrev_nc_u32_e32 v11, s28, v11
	s_wait_xcnt 0x9
	v_subrev_nc_u32_e32 v12, s28, v12
	v_dual_lshlrev_b32 v39, 2, v39 :: v_dual_lshlrev_b32 v40, 2, v40
	s_wait_xcnt 0x8
	v_subrev_nc_u32_e32 v14, s28, v14
	v_subrev_nc_u32_e32 v13, s28, v13
	v_cmp_eq_u32_e32 vcc_lo, 0, v6
	s_wait_xcnt 0x7
	v_subrev_nc_u32_e32 v16, s28, v16
	v_add_nc_u32_e32 v3, 0x400, v3
	v_subrev_nc_u32_e32 v15, s28, v15
	v_subrev_nc_u32_e32 v17, s28, v17
	s_wait_xcnt 0x6
	v_subrev_nc_u32_e32 v18, s28, v18
	s_wait_xcnt 0x3
	;; [unrolled: 2-line block ×3, first 2 shown]
	v_subrev_nc_u32_e32 v20, s28, v20
	v_subrev_nc_u32_e32 v21, s28, v21
	s_wait_xcnt 0x1
	v_subrev_nc_u32_e32 v22, s28, v22
	v_subrev_nc_u32_e32 v23, s28, v23
	s_wait_xcnt 0x0
	v_subrev_nc_u32_e32 v24, s28, v24
	v_add_nc_u32_e32 v2, 0x400, v2
	v_dual_lshlrev_b32 v12, 2, v12 :: v_dual_lshlrev_b32 v14, 2, v14
	v_dual_lshlrev_b32 v11, 2, v11 :: v_dual_lshlrev_b32 v13, 2, v13
	v_lshlrev_b32_e32 v16, 2, v16
	s_or_b32 s23, vcc_lo, s23
	v_dual_lshlrev_b32 v15, 2, v15 :: v_dual_lshlrev_b32 v18, 2, v18
	v_dual_lshlrev_b32 v17, 2, v17 :: v_dual_lshlrev_b32 v20, 2, v20
	;; [unrolled: 1-line block ×4, first 2 shown]
	v_lshlrev_b32_e32 v23, 2, v23
	s_wait_loadcnt 0xf
	v_subrev_nc_u32_e32 v1, s3, v1
	s_wait_loadcnt 0xe
	v_subrev_nc_u32_e32 v7, s3, v7
	ds_store_b32 v39, v1 offset:3328
	ds_store_b32 v40, v7 offset:3328
	s_wait_loadcnt 0xa
	v_subrev_nc_u32_e32 v1, s3, v28
	s_wait_loadcnt 0x9
	v_subrev_nc_u32_e32 v7, s3, v29
	;; [unrolled: 2-line block ×3, first 2 shown]
	v_subrev_nc_u32_e32 v27, s3, v27
	s_wait_loadcnt 0x7
	v_subrev_nc_u32_e32 v29, s3, v31
	v_subrev_nc_u32_e32 v26, s3, v26
	;; [unrolled: 1-line block ×3, first 2 shown]
	s_wait_loadcnt 0x6
	v_subrev_nc_u32_e32 v30, s3, v32
	s_wait_loadcnt 0x3
	v_subrev_nc_u32_e32 v31, s3, v35
	;; [unrolled: 2-line block ×3, first 2 shown]
	v_subrev_nc_u32_e32 v34, s3, v34
	s_wait_loadcnt 0x1
	v_subrev_nc_u32_e32 v35, s3, v37
	v_subrev_nc_u32_e32 v33, s3, v33
	s_wait_loadcnt 0x0
	v_subrev_nc_u32_e32 v36, s3, v38
	ds_store_b32 v12, v7 offset:3328
	ds_store_b32 v11, v1 offset:3328
	ds_store_b32 v14, v28 offset:3328
	ds_store_b32 v13, v27 offset:3328
	ds_store_b32 v16, v29 offset:3328
	ds_store_b32 v15, v26 offset:3328
	ds_store_b32 v18, v30 offset:3328
	ds_store_b32 v17, v25 offset:3328
	ds_store_b32 v20, v32 offset:3328
	ds_store_b32 v19, v31 offset:3328
	ds_store_b32 v22, v35 offset:3328
	ds_store_b32 v21, v34 offset:3328
	ds_store_b32 v24, v36 offset:3328
	ds_store_b32 v23, v33 offset:3328
	s_and_not1_b32 exec_lo, exec_lo, s23
	s_cbranch_execnz .LBB54_5
; %bb.6:
	s_or_b32 exec_lo, exec_lo, s23
.LBB54_7:
	s_delay_alu instid0(SALU_CYCLE_1) | instskip(SKIP_3) | instid1(VALU_DEP_1)
	s_or_b32 exec_lo, exec_lo, s22
	v_and_b32_e32 v1, 7, v5
	s_mov_b32 s23, 0
	s_mov_b32 s22, exec_lo
	v_cmpx_ne_u32_e32 0, v1
	s_cbranch_execz .LBB54_9
.LBB54_8:                               ; =>This Inner Loop Header: Depth=1
	s_clause 0x1
	global_load_b32 v5, v2, s[14:15] scale_offset
	global_load_b32 v6, v3, s[14:15] scale_offset
	v_subrev_nc_u32_e32 v7, s28, v2
	v_add_nc_u32_e32 v1, -1, v1
	v_subrev_nc_u32_e32 v11, s28, v3
	s_wait_xcnt 0x0
	v_add_nc_u32_e32 v3, 0x80, v3
	v_add_nc_u32_e32 v2, 0x80, v2
	v_lshlrev_b32_e32 v7, 2, v7
	v_cmp_eq_u32_e32 vcc_lo, 0, v1
	v_lshlrev_b32_e32 v11, 2, v11
	s_or_b32 s23, vcc_lo, s23
	s_wait_loadcnt 0x1
	v_subrev_nc_u32_e32 v5, s3, v5
	s_wait_loadcnt 0x0
	v_subrev_nc_u32_e32 v6, s3, v6
	ds_store_b32 v7, v5 offset:3328
	ds_store_b32 v11, v6 offset:3328
	s_and_not1_b32 exec_lo, exec_lo, s23
	s_cbranch_execnz .LBB54_8
.LBB54_9:
	s_or_b32 exec_lo, exec_lo, s22
	v_add_nc_u32_e32 v1, 1, v4
	s_delay_alu instid0(VALU_DEP_1) | instskip(NEXT) | instid1(VALU_DEP_1)
	v_and_b32_e32 v2, 0x7fffffe, v1
	v_cmp_ne_u32_e32 vcc_lo, v1, v2
	v_lshl_add_u32 v0, v2, 6, v0
	s_or_not1_b32 s22, vcc_lo, exec_lo
.LBB54_10:
	s_or_b32 exec_lo, exec_lo, s21
	s_delay_alu instid0(SALU_CYCLE_1)
	s_and_b32 exec_lo, exec_lo, s22
	s_cbranch_execz .LBB54_13
; %bb.11:
	v_add_nc_u32_e32 v1, s3, v0
	s_delay_alu instid0(VALU_DEP_1) | instskip(SKIP_2) | instid1(VALU_DEP_2)
	v_subrev_nc_u32_e32 v2, s20, v1
	v_ashrrev_i32_e32 v1, 31, v0
	s_mov_b32 s20, 0
	v_lshl_add_u32 v4, v2, 2, 0xd00
	s_delay_alu instid0(VALU_DEP_2)
	v_lshl_add_u64 v[2:3], v[0:1], 2, s[14:15]
.LBB54_12:                              ; =>This Inner Loop Header: Depth=1
	global_load_b32 v1, v[2:3], off
	v_add_nc_u32_e32 v0, 64, v0
	s_wait_xcnt 0x0
	v_add_nc_u64_e32 v[2:3], 0x100, v[2:3]
	s_delay_alu instid0(VALU_DEP_2)
	v_cmp_lt_i32_e32 vcc_lo, s17, v0
	s_or_b32 s20, vcc_lo, s20
	s_wait_loadcnt 0x0
	v_subrev_nc_u32_e32 v1, s3, v1
	ds_store_b32 v4, v1
	v_add_nc_u32_e32 v4, 0x100, v4
	s_and_not1_b32 exec_lo, exec_lo, s20
	s_cbranch_execnz .LBB54_12
.LBB54_13:
	s_or_b32 exec_lo, exec_lo, s2
	s_clause 0x1
	s_load_b32 s30, s[0:1], 0x0
	s_load_b32 s29, s[0:1], 0x8
	s_wait_xcnt 0x0
	s_movk_i32 s0, 0x48
	v_mov_b64_e32 v[0:1], 0
	v_mad_u32_u24 v12, v9, s0, 0x6c0
	s_cmp_ge_i32 s28, s17
	s_delay_alu instid0(VALU_DEP_1)
	v_lshl_add_u32 v11, v8, 3, v12
	ds_store_b64 v11, v[0:1]
	s_wait_dscnt 0x0
	s_cbranch_scc1 .LBB54_67
; %bb.14:
	s_movk_i32 s20, 0x480
	s_movk_i32 s2, 0x240
	s_wait_kmcnt 0x0
	s_cmp_lg_u32 s30, 0
	v_mul_lo_u32 v17, s29, v8
	v_mul_lo_u32 v18, s29, v9
	v_cmp_gt_i32_e64 s0, s29, v8
	v_cmp_gt_i32_e64 s1, s29, v9
	v_mad_u32_u24 v13, 0x48, v9, s20
	v_dual_lshlrev_b32 v0, 3, v8 :: v_dual_bitop2_b32 v1, v8, v9 bitop3:0x54
	v_mad_u32_u24 v16, 0x48, v9, s2
	s_cselect_b32 s31, -1, 0
	s_cmp_eq_u32 s30, 0
	s_delay_alu instid0(VALU_DEP_2)
	v_add_nc_u32_e32 v14, v13, v0
	s_cselect_b32 vcc_lo, -1, 0
	s_and_b32 s33, s0, s1
	v_mad_u32_u24 v15, 0x48, v9, v0
	v_add_nc_u32_e32 v19, v16, v0
	v_cmp_ne_u32_e64 s2, 0, v1
	v_mad_u32_u24 v20, 0x48, v8, s20
	v_dual_cndmask_b32 v21, v9, v8 :: v_dual_cndmask_b32 v22, v8, v9
	v_mov_b32_e32 v23, 0
	s_cmp_gt_i32 s29, 0
	s_mul_i32 s35, s29, s29
	s_cselect_b32 s34, -1, 0
	s_mov_b32 s20, s28
	s_branch .LBB54_17
.LBB54_15:                              ;   in Loop: Header=BB54_17 Depth=1
	s_wait_xcnt 0x0
	s_or_b32 exec_lo, exec_lo, s21
	s_add_co_i32 s20, s20, 1
	global_wb scope:SCOPE_DEV
	s_wait_storecnt 0x0
	global_inv scope:SCOPE_DEV
	s_cmp_ge_i32 s20, s17
	s_cselect_b32 s26, -1, 0
.LBB54_16:                              ;   in Loop: Header=BB54_17 Depth=1
	s_delay_alu instid0(SALU_CYCLE_1)
	s_and_b32 vcc_lo, exec_lo, s26
	s_cbranch_vccnz .LBB54_67
.LBB54_17:                              ; =>This Loop Header: Depth=1
                                        ;     Child Loop BB54_22 Depth 2
                                        ;     Child Loop BB54_33 Depth 2
	;; [unrolled: 1-line block ×4, first 2 shown]
                                        ;       Child Loop BB54_64 Depth 3
	s_ashr_i32 s21, s20, 31
	s_delay_alu instid0(SALU_CYCLE_1) | instskip(NEXT) | instid1(SALU_CYCLE_1)
	s_lshl_b64 s[22:23], s[20:21], 2
	s_add_nc_u64 s[22:23], s[14:15], s[22:23]
	s_load_b32 s21, s[22:23], 0x0
	s_wait_kmcnt 0x0
	s_sub_co_i32 s24, s21, s3
	s_delay_alu instid0(SALU_CYCLE_1) | instskip(SKIP_2) | instid1(SALU_CYCLE_1)
	s_ashr_i32 s25, s24, 31
	s_wait_xcnt 0x0
	s_lshl_b64 s[22:23], s[24:25], 2
	s_add_nc_u64 s[26:27], s[4:5], s[22:23]
	s_load_b32 s25, s[26:27], 0x0
	s_wait_xcnt 0x0
	s_mov_b32 s26, -1
	s_wait_kmcnt 0x0
	s_cmp_eq_u32 s25, -1
	s_cbranch_scc1 .LBB54_16
; %bb.18:                               ;   in Loop: Header=BB54_17 Depth=1
	v_mad_u32 v0, s20, s29, v22
	s_delay_alu instid0(VALU_DEP_1) | instskip(SKIP_1) | instid1(VALU_DEP_1)
	v_mad_u32 v24, v0, s29, v21
	v_mov_b32_e32 v0, 0
	v_mov_b32_e32 v1, v0
	s_and_saveexec_b32 s26, s33
	s_cbranch_execz .LBB54_20
; %bb.19:                               ;   in Loop: Header=BB54_17 Depth=1
	global_load_b64 v[0:1], v24, s[18:19] scale_offset
.LBB54_20:                              ;   in Loop: Header=BB54_17 Depth=1
	s_wait_xcnt 0x0
	s_or_b32 exec_lo, exec_lo, s26
	s_add_nc_u64 s[26:27], s[12:13], s[22:23]
	ds_load_b32 v2, v23 offset:3328
	s_load_b32 s26, s[26:27], 0x0
	s_wait_loadcnt 0x0
	ds_store_b64 v14, v[0:1]
	s_wait_dscnt 0x1
	v_cmp_ge_i32_e32 vcc_lo, s24, v2
	s_wait_kmcnt 0x0
	s_sub_co_i32 s26, s26, s3
	s_delay_alu instid0(SALU_CYCLE_1) | instskip(SKIP_1) | instid1(SALU_CYCLE_1)
	s_cmp_le_i32 s26, s25
	s_cselect_b32 s27, -1, 0
	s_and_b32 s27, s27, vcc_lo
	s_delay_alu instid0(SALU_CYCLE_1)
	s_and_not1_b32 vcc_lo, exec_lo, s27
	s_mov_b32 s27, 0
	s_cbranch_vccnz .LBB54_32
; %bb.21:                               ;   in Loop: Header=BB54_17 Depth=1
	s_mov_b32 s36, 0
	s_mov_b32 s37, 0
.LBB54_22:                              ;   Parent Loop BB54_17 Depth=1
                                        ; =>  This Inner Loop Header: Depth=2
	s_ashr_i32 s27, s26, 31
	s_lshl_b32 s40, s37, 2
	s_lshl_b64 s[38:39], s[26:27], 2
	v_mov_b32_e32 v0, s40
	s_add_nc_u64 s[38:39], s[14:15], s[38:39]
	s_mov_b32 s41, -1
	s_load_b32 s27, s[38:39], 0x0
                                        ; implicit-def: $sgpr40
                                        ; implicit-def: $sgpr39
	ds_load_b32 v0, v0 offset:3328
	s_wait_kmcnt 0x0
	s_sub_co_i32 s42, s27, s3
                                        ; implicit-def: $sgpr27
	s_wait_dscnt 0x0
	v_readfirstlane_b32 s38, v0
	v_cmp_ge_i32_e32 vcc_lo, s42, v0
	s_cbranch_vccz .LBB54_28
; %bb.23:                               ;   in Loop: Header=BB54_22 Depth=2
	s_cmp_le_i32 s42, s38
                                        ; implicit-def: $sgpr27
                                        ; implicit-def: $sgpr40
                                        ; implicit-def: $sgpr39
	s_cbranch_scc0 .LBB54_25
; %bb.24:                               ;   in Loop: Header=BB54_22 Depth=2
	s_add_co_i32 s27, s37, s28
	s_lshl_b32 s39, s36, 2
	s_mul_i32 s27, s27, s35
	s_delay_alu instid0(SALU_CYCLE_1)
	v_dual_mov_b32 v0, s39 :: v_dual_mov_b32 v1, s27
	s_mul_i32 s39, s26, s35
	s_add_co_i32 s40, s26, 1
	v_mov_b32_e32 v2, s39
	s_add_co_i32 s39, s37, 1
	s_add_co_i32 s27, s36, 1
	s_mov_b32 s41, 0
	ds_store_2addr_stride64_b32 v0, v2, v1 offset0:9 offset1:11
.LBB54_25:                              ;   in Loop: Header=BB54_22 Depth=2
	s_and_not1_b32 vcc_lo, exec_lo, s41
	s_cbranch_vccnz .LBB54_27
; %bb.26:                               ;   in Loop: Header=BB54_22 Depth=2
	s_add_co_i32 s39, s37, 1
	s_mov_b32 s27, s36
	s_mov_b32 s40, s26
.LBB54_27:                              ;   in Loop: Header=BB54_22 Depth=2
	s_mov_b32 s41, 0
.LBB54_28:                              ;   in Loop: Header=BB54_22 Depth=2
	s_delay_alu instid0(SALU_CYCLE_1)
	s_and_not1_b32 vcc_lo, exec_lo, s41
	s_cbranch_vccnz .LBB54_30
; %bb.29:                               ;   in Loop: Header=BB54_22 Depth=2
	s_add_co_i32 s40, s26, 1
	s_mov_b32 s39, s37
	s_mov_b32 s27, s36
.LBB54_30:                              ;   in Loop: Header=BB54_22 Depth=2
	s_cmp_le_i32 s40, s25
	s_cselect_b32 s26, -1, 0
	s_cmp_le_i32 s38, s24
	s_cselect_b32 s36, -1, 0
	s_delay_alu instid0(SALU_CYCLE_1) | instskip(NEXT) | instid1(SALU_CYCLE_1)
	s_and_b32 s26, s26, s36
	s_and_b32 vcc_lo, exec_lo, s26
	s_cbranch_vccz .LBB54_32
; %bb.31:                               ;   in Loop: Header=BB54_22 Depth=2
	s_mov_b32 s36, s27
	s_mov_b32 s26, s40
	s_mov_b32 s37, s39
	s_branch .LBB54_22
.LBB54_32:                              ;   in Loop: Header=BB54_17 Depth=1
	s_add_nc_u64 s[22:23], s[6:7], s[22:23]
	s_wait_dscnt 0x0
.LBB54_33:                              ;   Parent Loop BB54_17 Depth=1
                                        ; =>  This Inner Loop Header: Depth=2
	global_load_b32 v0, v23, s[22:23] scope:SCOPE_DEV
	s_wait_loadcnt 0x0
	v_cmp_eq_u32_e32 vcc_lo, 0, v0
	s_cbranch_vccnz .LBB54_33
; %bb.34:                               ;   in Loop: Header=BB54_17 Depth=1
	v_dual_mov_b32 v1, 0 :: v_dual_mov_b32 v2, 0
	v_mov_b32_e32 v3, 0
	global_inv scope:SCOPE_DEV
	s_and_saveexec_b32 s22, s33
	s_cbranch_execz .LBB54_36
; %bb.35:                               ;   in Loop: Header=BB54_17 Depth=1
	v_mad_u32 v0, s25, s29, v22
	s_delay_alu instid0(VALU_DEP_1)
	v_mad_u32 v0, v0, s29, v21
	global_load_b64 v[2:3], v0, s[18:19] scale_offset
.LBB54_36:                              ;   in Loop: Header=BB54_17 Depth=1
	s_wait_xcnt 0x0
	s_or_b32 exec_lo, exec_lo, s22
	v_mov_b32_e32 v0, 0
	s_cmp_lt_i32 s27, 2
	s_wait_loadcnt 0x0
	ds_store_b64 v15, v[2:3]
	s_wait_dscnt 0x0
	s_cbranch_scc1 .LBB54_56
; %bb.37:                               ;   in Loop: Header=BB54_17 Depth=1
	v_mov_b64_e32 v[0:1], 0
	s_add_co_i32 s22, s27, -2
	s_mov_b32 s23, 0
	s_and_not1_b32 vcc_lo, exec_lo, s34
	s_cbranch_vccz .LBB54_40
	s_branch .LBB54_39
.LBB54_38:                              ;   in Loop: Header=BB54_17 Depth=1
	s_delay_alu instid0(VALU_DEP_1)
	v_mov_b64_e32 v[0:1], v[2:3]
	s_mov_b32 s23, s24
	s_and_not1_b32 vcc_lo, exec_lo, s34
	s_cbranch_vccz .LBB54_40
.LBB54_39:                              ;   in Loop: Header=BB54_17 Depth=1
	s_delay_alu instid0(VALU_DEP_1)
	v_mov_b64_e32 v[2:3], v[0:1]
	s_branch .LBB54_54
.LBB54_40:                              ;   in Loop: Header=BB54_17 Depth=1
	s_lshl_b32 s24, s23, 2
	s_delay_alu instid0(SALU_CYCLE_1)
	v_mov_b32_e32 v2, s24
	s_mov_b32 s24, 0
	ds_load_2addr_stride64_b32 v[2:3], v2 offset0:9 offset1:11
	s_wait_dscnt 0x0
	v_dual_add_nc_u32 v7, v2, v17 :: v_dual_add_nc_u32 v26, v9, v3
	v_add_nc_u32_e32 v25, v3, v18
	v_add_nc_u32_e32 v27, v8, v2
	s_and_b32 vcc_lo, exec_lo, s31
	s_mov_b32 s25, -1
                                        ; implicit-def: $vgpr2_vgpr3
	s_cbranch_vccz .LBB54_47
	s_branch .LBB54_42
.LBB54_41:                              ;   in Loop: Header=BB54_47 Depth=2
	v_mov_b64_e32 v[0:1], v[2:3]
	s_and_b32 vcc_lo, exec_lo, s31
	s_mov_b32 s25, -1
                                        ; implicit-def: $vgpr2_vgpr3
	s_cbranch_vccz .LBB54_47
.LBB54_42:                              ;   in Loop: Header=BB54_17 Depth=1
	v_dual_mov_b32 v4, 0 :: v_dual_mov_b32 v2, 0
	v_mov_b32_e32 v3, 0
	s_and_saveexec_b32 s25, s0
	s_cbranch_execz .LBB54_44
; %bb.43:                               ;   in Loop: Header=BB54_17 Depth=1
	global_load_b64 v[2:3], v27, s[18:19] scale_offset
.LBB54_44:                              ;   in Loop: Header=BB54_17 Depth=1
	s_wait_xcnt 0x0
	s_or_b32 exec_lo, exec_lo, s25
	v_mov_b32_e32 v6, 0
	s_and_saveexec_b32 s25, s1
	s_cbranch_execz .LBB54_46
; %bb.45:                               ;   in Loop: Header=BB54_17 Depth=1
	global_load_b64 v[4:5], v26, s[18:19] scale_offset
	s_wait_loadcnt 0x0
	v_mov_b32_e32 v6, v5
.LBB54_46:                              ;   in Loop: Header=BB54_17 Depth=1
	s_or_b32 exec_lo, exec_lo, s25
	s_wait_loadcnt 0x0
	v_dual_mov_b32 v28, v3 :: v_dual_mov_b32 v29, v2
	s_mov_b32 s25, 0
	s_delay_alu instid0(VALU_DEP_1) | instskip(NEXT) | instid1(VALU_DEP_1)
	v_pk_fma_f32 v[4:5], v[28:29], v[4:5], v[0:1] op_sel_hi:[1,0,1]
	v_pk_fma_f32 v[2:3], v[2:3], v[6:7], v[4:5] op_sel_hi:[1,0,1] neg_lo:[0,1,0]
.LBB54_47:                              ;   Parent Loop BB54_17 Depth=1
                                        ; =>  This Inner Loop Header: Depth=2
	s_and_b32 vcc_lo, exec_lo, s25
	s_cbranch_vccz .LBB54_53
; %bb.48:                               ;   in Loop: Header=BB54_47 Depth=2
	v_dual_mov_b32 v4, 0 :: v_dual_mov_b32 v2, 0
	v_mov_b32_e32 v3, 0
	s_and_saveexec_b32 s25, s0
	s_cbranch_execz .LBB54_50
; %bb.49:                               ;   in Loop: Header=BB54_47 Depth=2
	v_add_nc_u32_e32 v2, s24, v7
	global_load_b64 v[2:3], v2, s[18:19] scale_offset
.LBB54_50:                              ;   in Loop: Header=BB54_47 Depth=2
	s_wait_xcnt 0x0
	s_or_b32 exec_lo, exec_lo, s25
	v_mov_b32_e32 v6, 0
	s_and_saveexec_b32 s25, s1
	s_cbranch_execz .LBB54_52
; %bb.51:                               ;   in Loop: Header=BB54_47 Depth=2
	v_add_nc_u32_e32 v4, s24, v25
	global_load_b64 v[4:5], v4, s[18:19] scale_offset
	s_wait_loadcnt 0x0
	v_mov_b32_e32 v6, v5
.LBB54_52:                              ;   in Loop: Header=BB54_47 Depth=2
	s_or_b32 exec_lo, exec_lo, s25
	s_wait_loadcnt 0x0
	v_dual_mov_b32 v28, v3 :: v_dual_mov_b32 v29, v2
	s_delay_alu instid0(VALU_DEP_1) | instskip(NEXT) | instid1(VALU_DEP_1)
	v_pk_fma_f32 v[0:1], v[28:29], v[4:5], v[0:1] op_sel_hi:[1,0,1]
	v_pk_fma_f32 v[2:3], v[2:3], v[6:7], v[0:1] op_sel_hi:[1,0,1] neg_lo:[0,1,0]
.LBB54_53:                              ;   in Loop: Header=BB54_47 Depth=2
	v_dual_add_nc_u32 v26, s29, v26 :: v_dual_add_nc_u32 v27, s29, v27
	s_add_co_i32 s24, s24, 1
	s_delay_alu instid0(SALU_CYCLE_1)
	s_cmp_eq_u32 s29, s24
	s_cbranch_scc0 .LBB54_41
.LBB54_54:                              ;   in Loop: Header=BB54_17 Depth=1
	s_add_co_i32 s24, s23, 1
	s_cmp_eq_u32 s23, s22
	s_cbranch_scc0 .LBB54_38
; %bb.55:                               ;   in Loop: Header=BB54_17 Depth=1
	s_delay_alu instid0(VALU_DEP_1)
	v_dual_mov_b32 v1, v2 :: v_dual_mov_b32 v0, v3
.LBB54_56:                              ;   in Loop: Header=BB54_17 Depth=1
	s_and_not1_b32 vcc_lo, exec_lo, s34
	ds_store_b64 v19, v[0:1]
	s_wait_dscnt 0x0
	s_cbranch_vccnz .LBB54_65
; %bb.57:                               ;   in Loop: Header=BB54_17 Depth=1
	s_mov_b32 s22, 0
	s_mov_b32 s23, 0
	s_branch .LBB54_59
.LBB54_58:                              ;   in Loop: Header=BB54_59 Depth=2
	v_mul_f32_e32 v25, v4, v4
	s_wait_dscnt 0x0
	v_pk_add_f32 v[0:1], v[0:1], v[6:7] neg_lo:[0,1] neg_hi:[0,1]
	s_addk_co_i32 s22, 0x48
	s_delay_alu instid0(VALU_DEP_2) | instskip(NEXT) | instid1(VALU_DEP_1)
	v_fmac_f32_e32 v25, v2, v2
	v_div_scale_f32 v5, null, v25, v25, 1.0
	v_div_scale_f32 v28, vcc_lo, 1.0, v25, 1.0
	s_delay_alu instid0(VALU_DEP_2) | instskip(SKIP_1) | instid1(TRANS32_DEP_1)
	v_rcp_f32_e32 v26, v5
	v_nop
	v_fma_f32 v27, -v5, v26, 1.0
	s_delay_alu instid0(VALU_DEP_1) | instskip(NEXT) | instid1(VALU_DEP_1)
	v_fmac_f32_e32 v26, v27, v26
	v_mul_f32_e32 v27, v28, v26
	s_delay_alu instid0(VALU_DEP_1) | instskip(NEXT) | instid1(VALU_DEP_1)
	v_fma_f32 v29, -v5, v27, v28
	v_fmac_f32_e32 v27, v29, v26
	s_delay_alu instid0(VALU_DEP_1) | instskip(SKIP_1) | instid1(VALU_DEP_2)
	v_fma_f32 v6, -v5, v27, v28
	v_pk_mul_f32 v[4:5], v[4:5], v[0:1] op_sel:[0,1] op_sel_hi:[0,0] neg_hi:[0,1]
	v_div_fmas_f32 v6, v6, v26, v27
	s_delay_alu instid0(VALU_DEP_2) | instskip(NEXT) | instid1(VALU_DEP_2)
	v_pk_fma_f32 v[0:1], v[0:1], v[2:3], v[4:5] op_sel_hi:[1,0,1]
	v_div_fixup_f32 v2, v6, v25, 1.0
	s_delay_alu instid0(VALU_DEP_1) | instskip(SKIP_2) | instid1(SALU_CYCLE_1)
	v_pk_mul_f32 v[0:1], v[2:3], v[0:1] op_sel_hi:[0,1]
	v_lshl_add_u32 v2, s23, 3, v20
	s_add_co_i32 s23, s23, 1
	s_cmp_eq_u32 s23, s29
	ds_store_b64 v3, v[0:1]
	s_wait_storecnt_dscnt 0x0
	ds_load_b64 v[2:3], v2
	ds_load_b64 v[4:5], v11
	s_wait_dscnt 0x0
	v_pk_fma_f32 v[4:5], v[0:1], v[2:3], v[4:5] op_sel_hi:[1,0,1]
	s_delay_alu instid0(VALU_DEP_1) | instskip(NEXT) | instid1(VALU_DEP_1)
	v_pk_fma_f32 v[0:1], v[0:1], v[2:3], v[4:5] op_sel:[0,1,1] op_sel_hi:[1,1,0] neg_lo:[0,1,0]
	v_dual_mov_b32 v2, v1 :: v_dual_mov_b32 v3, v0
	ds_store_b64 v11, v[2:3]
	s_wait_dscnt 0x0
	s_cbranch_scc1 .LBB54_65
.LBB54_59:                              ;   Parent Loop BB54_17 Depth=1
                                        ; =>  This Loop Header: Depth=2
                                        ;       Child Loop BB54_64 Depth 3
	s_lshl_b32 s24, s23, 3
	s_mul_i32 s25, s23, 0x48
	v_add_nc_u32_e32 v3, s24, v13
	s_add_co_i32 s25, s25, s24
	s_delay_alu instid0(SALU_CYCLE_1)
	v_mov_b32_e32 v0, s25
	ds_load_b64 v[0:1], v0
	s_wait_dscnt 0x0
	v_readfirstlane_b32 s25, v0
	v_readfirstlane_b32 s24, v1
	ds_load_b64 v[0:1], v3
	s_cmp_neq_f32 s25, 0
	s_cselect_b32 s26, -1, 0
	s_cmp_neq_f32 s24, 0
	s_cselect_b32 s27, -1, 0
	s_delay_alu instid0(SALU_CYCLE_1) | instskip(NEXT) | instid1(SALU_CYCLE_1)
	s_or_b32 s26, s26, s27
	s_nor_b32 s27, s26, s2
	s_and_b32 s26, s26, exec_lo
	s_cselect_b32 s24, s24, 0
	s_cselect_b32 s25, s25, 1.0
	s_delay_alu instid0(SALU_CYCLE_1)
	v_dual_mov_b32 v4, s24 :: v_dual_mov_b32 v2, s25
	s_and_saveexec_b32 s24, s27
	s_cbranch_execz .LBB54_63
; %bb.60:                               ;   in Loop: Header=BB54_59 Depth=2
	v_mbcnt_lo_u32_b32 v2, exec_lo, 0
	s_mov_b32 s25, exec_lo
	s_delay_alu instid0(VALU_DEP_1)
	v_cmpx_eq_u32_e32 0, v2
	s_cbranch_execz .LBB54_62
; %bb.61:                               ;   in Loop: Header=BB54_59 Depth=2
	v_mov_b32_e32 v2, s21
	global_atomic_min_i32 v23, v2, s[10:11] scope:SCOPE_DEV
.LBB54_62:                              ;   in Loop: Header=BB54_59 Depth=2
	s_wait_xcnt 0x0
	s_or_b32 exec_lo, exec_lo, s25
	v_dual_mov_b32 v2, 1.0 :: v_dual_mov_b32 v4, 0
.LBB54_63:                              ;   in Loop: Header=BB54_59 Depth=2
	s_or_b32 exec_lo, exec_lo, s24
	v_lshl_add_u32 v5, s23, 3, v16
	s_cmp_eq_u32 s23, 0
	s_mov_b32 s24, s22
	s_mov_b32 s25, s23
	ds_load_b64 v[6:7], v5
	v_mov_b32_e32 v5, v13
	s_cbranch_scc1 .LBB54_58
.LBB54_64:                              ;   Parent Loop BB54_17 Depth=1
                                        ;     Parent Loop BB54_59 Depth=2
                                        ; =>    This Inner Loop Header: Depth=3
	v_mov_b32_e32 v25, s24
	s_add_co_i32 s25, s25, -1
	s_add_co_i32 s24, s24, 8
	s_cmp_eq_u32 s25, 0
	ds_load_b64 v[26:27], v5
	ds_load_b64 v[28:29], v25
	v_add_nc_u32_e32 v5, 8, v5
	s_wait_dscnt 0x0
	v_pk_fma_f32 v[6:7], v[28:29], v[26:27], v[6:7] op_sel_hi:[1,0,1]
	s_delay_alu instid0(VALU_DEP_1)
	v_pk_fma_f32 v[6:7], v[28:29], v[26:27], v[6:7] op_sel:[1,1,0] op_sel_hi:[0,1,1] neg_hi:[0,1,0]
	s_cbranch_scc0 .LBB54_64
	s_branch .LBB54_58
.LBB54_65:                              ;   in Loop: Header=BB54_17 Depth=1
	s_and_saveexec_b32 s21, s33
	s_cbranch_execz .LBB54_15
; %bb.66:                               ;   in Loop: Header=BB54_17 Depth=1
	ds_load_b64 v[0:1], v14
	s_wait_dscnt 0x0
	global_store_b64 v24, v[0:1], s[18:19] scale_offset
	s_branch .LBB54_15
.LBB54_67:
	s_wait_kmcnt 0x0
	s_cmp_eq_u32 s30, 0
	v_max_i32_e32 v1, v8, v9
	s_cselect_b32 vcc_lo, -1, 0
	v_dual_cndmask_b32 v3, v9, v8 :: v_dual_cndmask_b32 v0, v8, v9
	s_delay_alu instid0(VALU_DEP_1)
	v_mad_u32 v4, s17, s29, v0
	v_mov_b32_e32 v0, 0
	v_cmp_gt_i32_e64 s0, s29, v1
	v_mov_b32_e32 v1, 0
	s_and_saveexec_b32 s1, s0
	s_cbranch_execz .LBB54_69
; %bb.68:
	v_mad_u32 v0, v4, s29, v3
	global_load_b64 v[0:1], v0, s[18:19] scale_offset
.LBB54_69:
	s_wait_xcnt 0x0
	s_or_b32 exec_lo, exec_lo, s1
	s_movk_i32 s1, 0x48
	s_movk_i32 s4, 0x480
	v_mad_u32_u24 v6, v9, s1, 0x480
	s_cmp_lt_i32 s29, 1
	s_delay_alu instid0(VALU_DEP_1)
	v_lshl_add_u32 v5, v8, 3, v6
	s_wait_loadcnt 0x0
	ds_store_b64 v5, v[0:1]
	s_wait_dscnt 0x0
	s_cbranch_scc1 .LBB54_86
; %bb.70:
	v_dual_add_nc_u32 v7, v6, v10 :: v_dual_bitop2_b32 v0, v8, v9 bitop3:0x54
	v_dual_mov_b32 v1, 0 :: v_dual_add_nc_u32 v10, v12, v10
	v_mad_u32_u24 v12, v8, s1, 0x480
	s_delay_alu instid0(VALU_DEP_3)
	v_cmp_ne_u32_e64 s1, 0, v0
	s_mov_b32 s5, 0
	s_add_co_i32 s12, s16, s3
	s_branch .LBB54_72
.LBB54_71:                              ;   in Loop: Header=BB54_72 Depth=1
	s_or_b32 exec_lo, exec_lo, s2
	v_dual_add_nc_u32 v6, 8, v6 :: v_dual_add_nc_u32 v12, 8, v12
	s_add_co_i32 s5, s5, 1
	s_addk_co_i32 s4, 0x50
	s_cmp_eq_u32 s29, s5
	s_wait_storecnt_dscnt 0x0
	s_cbranch_scc1 .LBB54_86
.LBB54_72:                              ; =>This Inner Loop Header: Depth=1
	s_mov_b32 s13, exec_lo
	v_cmpx_eq_u32_e64 s5, v9
	s_cbranch_execz .LBB54_80
; %bb.73:                               ;   in Loop: Header=BB54_72 Depth=1
	ds_load_b64 v[14:15], v7
	ds_load_b64 v[16:17], v10
                                        ; implicit-def: $vgpr13
	s_mov_b32 s2, exec_lo
	s_wait_dscnt 0x0
	v_dual_sub_f32 v0, v14, v16 :: v_dual_sub_f32 v14, v15, v17
	s_delay_alu instid0(VALU_DEP_1) | instskip(SKIP_1) | instid1(VALU_DEP_3)
	v_cmp_gt_f32_e32 vcc_lo, 0, v0
	v_cndmask_b32_e64 v0, v0, -v0, vcc_lo
	v_cmp_gt_f32_e32 vcc_lo, 0, v14
	v_cndmask_b32_e64 v2, v14, -v14, vcc_lo
	s_delay_alu instid0(VALU_DEP_1)
	v_cmpx_ngt_f32_e32 v0, v2
	s_xor_b32 s14, exec_lo, s2
	s_cbranch_execz .LBB54_77
; %bb.74:                               ;   in Loop: Header=BB54_72 Depth=1
	v_mov_b32_e32 v13, 0
	s_mov_b32 s15, exec_lo
	v_cmpx_neq_f32_e32 0, v14
	s_cbranch_execz .LBB54_76
; %bb.75:                               ;   in Loop: Header=BB54_72 Depth=1
	v_div_scale_f32 v13, null, v2, v2, v0
	v_div_scale_f32 v16, vcc_lo, v0, v2, v0
	s_delay_alu instid0(VALU_DEP_2) | instskip(SKIP_1) | instid1(TRANS32_DEP_1)
	v_rcp_f32_e32 v14, v13
	v_nop
	v_fma_f32 v15, -v13, v14, 1.0
	s_delay_alu instid0(VALU_DEP_1) | instskip(NEXT) | instid1(VALU_DEP_1)
	v_fmac_f32_e32 v14, v15, v14
	v_mul_f32_e32 v15, v16, v14
	s_delay_alu instid0(VALU_DEP_1) | instskip(NEXT) | instid1(VALU_DEP_1)
	v_fma_f32 v17, -v13, v15, v16
	v_fmac_f32_e32 v15, v17, v14
	s_delay_alu instid0(VALU_DEP_1) | instskip(NEXT) | instid1(VALU_DEP_1)
	v_fma_f32 v13, -v13, v15, v16
	v_div_fmas_f32 v13, v13, v14, v15
	s_delay_alu instid0(VALU_DEP_1) | instskip(NEXT) | instid1(VALU_DEP_1)
	v_div_fixup_f32 v0, v13, v2, v0
	v_fma_f32 v0, v0, v0, 1.0
	s_delay_alu instid0(VALU_DEP_1) | instskip(SKIP_1) | instid1(VALU_DEP_2)
	v_mul_f32_e32 v13, 0x4f800000, v0
	v_cmp_gt_f32_e32 vcc_lo, 0xf800000, v0
	v_cndmask_b32_e32 v0, v0, v13, vcc_lo
	s_delay_alu instid0(VALU_DEP_1) | instskip(SKIP_1) | instid1(TRANS32_DEP_1)
	v_sqrt_f32_e32 v13, v0
	v_nop
	v_dual_add_nc_u32 v14, -1, v13 :: v_dual_add_nc_u32 v15, 1, v13
	s_delay_alu instid0(VALU_DEP_1) | instskip(NEXT) | instid1(VALU_DEP_1)
	v_fma_f32 v16, -v14, v13, v0
	v_cmp_ge_f32_e64 s2, 0, v16
	s_delay_alu instid0(VALU_DEP_1) | instskip(NEXT) | instid1(VALU_DEP_1)
	v_dual_fma_f32 v17, -v15, v13, v0 :: v_dual_cndmask_b32 v13, v13, v14, s2
	v_cmp_lt_f32_e64 s2, 0, v17
	s_delay_alu instid0(VALU_DEP_1) | instskip(NEXT) | instid1(VALU_DEP_1)
	v_cndmask_b32_e64 v13, v13, v15, s2
	v_mul_f32_e32 v14, 0x37800000, v13
	s_delay_alu instid0(VALU_DEP_1) | instskip(SKIP_1) | instid1(VALU_DEP_2)
	v_cndmask_b32_e32 v13, v13, v14, vcc_lo
	v_cmp_class_f32_e64 vcc_lo, v0, 0x260
	v_cndmask_b32_e32 v0, v13, v0, vcc_lo
	s_delay_alu instid0(VALU_DEP_1)
	v_mul_f32_e32 v13, v2, v0
.LBB54_76:                              ;   in Loop: Header=BB54_72 Depth=1
	s_or_b32 exec_lo, exec_lo, s15
                                        ; implicit-def: $vgpr0
                                        ; implicit-def: $vgpr2
.LBB54_77:                              ;   in Loop: Header=BB54_72 Depth=1
	s_and_not1_saveexec_b32 s14, s14
	s_cbranch_execz .LBB54_79
; %bb.78:                               ;   in Loop: Header=BB54_72 Depth=1
	v_div_scale_f32 v13, null, v0, v0, v2
	v_div_scale_f32 v16, vcc_lo, v2, v0, v2
	s_delay_alu instid0(VALU_DEP_2) | instskip(SKIP_1) | instid1(TRANS32_DEP_1)
	v_rcp_f32_e32 v14, v13
	v_nop
	v_fma_f32 v15, -v13, v14, 1.0
	s_delay_alu instid0(VALU_DEP_1) | instskip(NEXT) | instid1(VALU_DEP_1)
	v_fmac_f32_e32 v14, v15, v14
	v_mul_f32_e32 v15, v16, v14
	s_delay_alu instid0(VALU_DEP_1) | instskip(NEXT) | instid1(VALU_DEP_1)
	v_fma_f32 v17, -v13, v15, v16
	v_fmac_f32_e32 v15, v17, v14
	s_delay_alu instid0(VALU_DEP_1) | instskip(NEXT) | instid1(VALU_DEP_1)
	v_fma_f32 v13, -v13, v15, v16
	v_div_fmas_f32 v13, v13, v14, v15
	s_delay_alu instid0(VALU_DEP_1) | instskip(NEXT) | instid1(VALU_DEP_1)
	v_div_fixup_f32 v2, v13, v0, v2
	v_fma_f32 v2, v2, v2, 1.0
	s_delay_alu instid0(VALU_DEP_1) | instskip(SKIP_1) | instid1(VALU_DEP_2)
	v_mul_f32_e32 v13, 0x4f800000, v2
	v_cmp_gt_f32_e32 vcc_lo, 0xf800000, v2
	v_cndmask_b32_e32 v2, v2, v13, vcc_lo
	s_delay_alu instid0(VALU_DEP_1) | instskip(SKIP_1) | instid1(TRANS32_DEP_1)
	v_sqrt_f32_e32 v13, v2
	v_nop
	v_dual_add_nc_u32 v14, -1, v13 :: v_dual_add_nc_u32 v15, 1, v13
	s_delay_alu instid0(VALU_DEP_1) | instskip(NEXT) | instid1(VALU_DEP_1)
	v_fma_f32 v16, -v14, v13, v2
	v_cmp_ge_f32_e64 s2, 0, v16
	s_delay_alu instid0(VALU_DEP_1) | instskip(NEXT) | instid1(VALU_DEP_1)
	v_dual_fma_f32 v17, -v15, v13, v2 :: v_dual_cndmask_b32 v13, v13, v14, s2
	v_cmp_lt_f32_e64 s2, 0, v17
	s_delay_alu instid0(VALU_DEP_1) | instskip(NEXT) | instid1(VALU_DEP_1)
	v_cndmask_b32_e64 v13, v13, v15, s2
	v_mul_f32_e32 v14, 0x37800000, v13
	s_delay_alu instid0(VALU_DEP_1) | instskip(SKIP_1) | instid1(VALU_DEP_2)
	v_cndmask_b32_e32 v13, v13, v14, vcc_lo
	v_cmp_class_f32_e64 vcc_lo, v2, 0x260
	v_cndmask_b32_e32 v2, v13, v2, vcc_lo
	s_delay_alu instid0(VALU_DEP_1)
	v_mul_f32_e32 v13, v0, v2
.LBB54_79:                              ;   in Loop: Header=BB54_72 Depth=1
	s_or_b32 exec_lo, exec_lo, s14
	s_delay_alu instid0(VALU_DEP_1) | instskip(SKIP_1) | instid1(VALU_DEP_2)
	v_mul_f32_e32 v0, 0x4f800000, v13
	v_cmp_gt_f32_e32 vcc_lo, 0xf800000, v13
	v_cndmask_b32_e32 v0, v13, v0, vcc_lo
	s_delay_alu instid0(VALU_DEP_1) | instskip(SKIP_1) | instid1(TRANS32_DEP_1)
	v_sqrt_f32_e32 v2, v0
	v_nop
	v_dual_add_nc_u32 v13, -1, v2 :: v_dual_add_nc_u32 v14, 1, v2
	s_delay_alu instid0(VALU_DEP_1) | instskip(NEXT) | instid1(VALU_DEP_1)
	v_dual_fma_f32 v15, -v13, v2, v0 :: v_dual_fma_f32 v16, -v14, v2, v0
	v_cmp_ge_f32_e64 s2, 0, v15
	s_delay_alu instid0(VALU_DEP_1) | instskip(NEXT) | instid1(VALU_DEP_3)
	v_cndmask_b32_e64 v2, v2, v13, s2
	v_cmp_lt_f32_e64 s2, 0, v16
	s_delay_alu instid0(VALU_DEP_1) | instskip(NEXT) | instid1(VALU_DEP_1)
	v_cndmask_b32_e64 v2, v2, v14, s2
	v_mul_f32_e32 v13, 0x37800000, v2
	s_delay_alu instid0(VALU_DEP_1) | instskip(SKIP_1) | instid1(VALU_DEP_2)
	v_cndmask_b32_e32 v2, v2, v13, vcc_lo
	v_cmp_class_f32_e64 vcc_lo, v0, 0x260
	v_cndmask_b32_e32 v0, v2, v0, vcc_lo
	ds_store_b64 v7, v[0:1]
.LBB54_80:                              ;   in Loop: Header=BB54_72 Depth=1
	s_or_b32 exec_lo, exec_lo, s13
	v_mov_b32_e32 v0, s4
	s_wait_dscnt 0x0
	ds_load_b64 v[14:15], v0
	s_wait_dscnt 0x0
	v_readfirstlane_b32 s2, v14
	v_readfirstlane_b32 s13, v15
	s_cmp_neq_f32 s2, 0
	s_cselect_b32 s14, -1, 0
	s_cmp_neq_f32 s13, 0
	s_cselect_b32 s15, -1, 0
	s_delay_alu instid0(SALU_CYCLE_1) | instskip(NEXT) | instid1(SALU_CYCLE_1)
	s_or_b32 s14, s14, s15
	s_nor_b32 s15, s14, s1
	s_and_b32 s14, s14, exec_lo
	s_cselect_b32 s13, s13, 0
	s_cselect_b32 s2, s2, 1.0
	s_delay_alu instid0(SALU_CYCLE_1)
	v_dual_mov_b32 v2, s13 :: v_dual_mov_b32 v0, s2
	s_and_saveexec_b32 s2, s15
	s_cbranch_execz .LBB54_84
; %bb.81:                               ;   in Loop: Header=BB54_72 Depth=1
	v_mbcnt_lo_u32_b32 v0, exec_lo, 0
	s_mov_b32 s13, exec_lo
	s_delay_alu instid0(VALU_DEP_1)
	v_cmpx_eq_u32_e32 0, v0
	s_cbranch_execz .LBB54_83
; %bb.82:                               ;   in Loop: Header=BB54_72 Depth=1
	v_mov_b32_e32 v0, s12
	global_atomic_min_i32 v1, v0, s[10:11] scope:SCOPE_DEV
.LBB54_83:                              ;   in Loop: Header=BB54_72 Depth=1
	s_wait_xcnt 0x0
	s_or_b32 exec_lo, exec_lo, s13
	v_dual_mov_b32 v0, 1.0 :: v_dual_mov_b32 v2, 0
.LBB54_84:                              ;   in Loop: Header=BB54_72 Depth=1
	s_or_b32 exec_lo, exec_lo, s2
	s_delay_alu instid0(SALU_CYCLE_1)
	s_mov_b32 s2, exec_lo
	v_cmpx_lt_u32_e64 s5, v9
	s_cbranch_execz .LBB54_71
; %bb.85:                               ;   in Loop: Header=BB54_72 Depth=1
	v_mul_f32_e32 v13, v2, v2
	ds_load_2addr_b64 v[14:17], v6 offset1:72
	v_fmac_f32_e32 v13, v0, v0
	s_delay_alu instid0(VALU_DEP_1) | instskip(SKIP_1) | instid1(VALU_DEP_2)
	v_div_scale_f32 v18, null, v13, v13, 1.0
	v_div_scale_f32 v21, vcc_lo, 1.0, v13, 1.0
	v_rcp_f32_e32 v19, v18
	s_wait_dscnt 0x0
	v_pk_add_f32 v[14:15], v[14:15], v[16:17] op_sel:[1,1] op_sel_hi:[0,0] neg_lo:[0,1] neg_hi:[0,1]
	s_delay_alu instid0(TRANS32_DEP_1) | instskip(NEXT) | instid1(VALU_DEP_2)
	v_fma_f32 v20, -v18, v19, 1.0
	v_pk_mul_f32 v[16:17], v[2:3], v[14:15] op_sel:[0,1] op_sel_hi:[0,0] neg_lo:[0,1]
	s_delay_alu instid0(VALU_DEP_2) | instskip(NEXT) | instid1(VALU_DEP_2)
	v_fmac_f32_e32 v19, v20, v19
	v_pk_fma_f32 v[14:15], v[14:15], v[0:1], v[16:17] op_sel_hi:[1,0,1]
	s_delay_alu instid0(VALU_DEP_2) | instskip(NEXT) | instid1(VALU_DEP_1)
	v_mul_f32_e32 v20, v21, v19
	v_fma_f32 v22, -v18, v20, v21
	s_delay_alu instid0(VALU_DEP_1) | instskip(NEXT) | instid1(VALU_DEP_1)
	v_fmac_f32_e32 v20, v22, v19
	v_fma_f32 v18, -v18, v20, v21
	s_delay_alu instid0(VALU_DEP_1) | instskip(NEXT) | instid1(VALU_DEP_1)
	v_div_fmas_f32 v2, v18, v19, v20
	v_div_fixup_f32 v0, v2, v13, 1.0
	s_delay_alu instid0(VALU_DEP_1) | instskip(NEXT) | instid1(VALU_DEP_1)
	v_pk_mul_f32 v[14:15], v[0:1], v[14:15] op_sel_hi:[0,1]
	v_dual_mov_b32 v16, v15 :: v_dual_mov_b32 v17, v14
	ds_store_b64 v6, v[16:17]
	s_wait_storecnt_dscnt 0x0
	ds_load_b64 v[16:17], v12
	ds_load_b64 v[18:19], v11
	s_wait_dscnt 0x0
	v_pk_fma_f32 v[18:19], v[14:15], v[16:17], v[18:19] op_sel:[1,0,0] op_sel_hi:[0,0,1]
	s_delay_alu instid0(VALU_DEP_1)
	v_pk_fma_f32 v[14:15], v[14:15], v[16:17], v[18:19] op_sel:[0,1,0] neg_hi:[0,1,0]
	ds_store_b64 v11, v[14:15]
	s_branch .LBB54_71
.LBB54_86:
	s_and_saveexec_b32 s1, s0
	s_cbranch_execz .LBB54_88
; %bb.87:
	ds_load_b64 v[0:1], v5
	v_mad_u32 v2, v4, s29, v3
	s_wait_dscnt 0x0
	global_store_b64 v2, v[0:1], s[18:19] scale_offset
.LBB54_88:
	s_wait_xcnt 0x0
	s_or_b32 exec_lo, exec_lo, s1
	v_or_b32_e32 v0, v8, v9
	s_mov_b32 s0, 0
	s_mov_b32 s1, exec_lo
	s_delay_alu instid0(VALU_DEP_1)
	v_cmpx_eq_u32_e32 0, v0
	s_cbranch_execz .LBB54_90
; %bb.89:
	v_dual_mov_b32 v0, 0 :: v_dual_mov_b32 v1, 1
	s_add_nc_u64 s[4:5], s[6:7], s[8:9]
	global_wb scope:SCOPE_DEV
	s_wait_storecnt 0x0
	global_store_b32 v0, v1, s[4:5] scope:SCOPE_DEV
.LBB54_90:
	s_wait_xcnt 0x0
	s_or_b32 exec_lo, exec_lo, s1
	s_delay_alu instid0(SALU_CYCLE_1)
	s_and_b32 vcc_lo, exec_lo, s0
	s_cbranch_vccnz .LBB54_93
.LBB54_91:
	s_endpgm
.LBB54_92:
	s_cbranch_execz .LBB54_91
.LBB54_93:
	v_or_b32_e32 v0, v8, v9
	s_mov_b32 s0, exec_lo
	s_delay_alu instid0(VALU_DEP_1)
	v_cmpx_eq_u32_e32 0, v0
	s_cbranch_execz .LBB54_91
; %bb.94:
	v_mbcnt_lo_u32_b32 v0, exec_lo, 0
	s_mov_b32 s0, exec_lo
	s_delay_alu instid0(VALU_DEP_1)
	v_cmpx_eq_u32_e32 0, v0
	s_cbranch_execz .LBB54_96
; %bb.95:
	s_add_co_i32 s1, s16, s3
	s_delay_alu instid0(SALU_CYCLE_1)
	v_dual_mov_b32 v0, 0 :: v_dual_mov_b32 v1, s1
	global_atomic_min_i32 v0, v1, s[10:11] scope:SCOPE_DEV
.LBB54_96:
	s_wait_xcnt 0x0
	s_or_b32 exec_lo, exec_lo, s0
	v_dual_mov_b32 v0, 0 :: v_dual_mov_b32 v1, 1
	s_add_nc_u64 s[0:1], s[6:7], s[8:9]
	global_wb scope:SCOPE_DEV
	s_wait_storecnt 0x0
	global_store_b32 v0, v1, s[0:1] scope:SCOPE_DEV
	s_endpgm
	.section	.rodata,"a",@progbits
	.p2align	6, 0x0
	.amdhsa_kernel _ZN9rocsparseL17bsric0_2_8_kernelILi64ELi128ELi8E21rocsparse_complex_numIfEEEv20rocsparse_direction_iiPKiS5_PT2_S5_PiS5_S8_21rocsparse_index_base_
		.amdhsa_group_segment_fixed_size 3840
		.amdhsa_private_segment_fixed_size 0
		.amdhsa_kernarg_size 76
		.amdhsa_user_sgpr_count 2
		.amdhsa_user_sgpr_dispatch_ptr 0
		.amdhsa_user_sgpr_queue_ptr 0
		.amdhsa_user_sgpr_kernarg_segment_ptr 1
		.amdhsa_user_sgpr_dispatch_id 0
		.amdhsa_user_sgpr_kernarg_preload_length 0
		.amdhsa_user_sgpr_kernarg_preload_offset 0
		.amdhsa_user_sgpr_private_segment_size 0
		.amdhsa_wavefront_size32 1
		.amdhsa_uses_dynamic_stack 0
		.amdhsa_enable_private_segment 0
		.amdhsa_system_sgpr_workgroup_id_x 1
		.amdhsa_system_sgpr_workgroup_id_y 0
		.amdhsa_system_sgpr_workgroup_id_z 0
		.amdhsa_system_sgpr_workgroup_info 0
		.amdhsa_system_vgpr_workitem_id 1
		.amdhsa_next_free_vgpr 41
		.amdhsa_next_free_sgpr 43
		.amdhsa_named_barrier_count 0
		.amdhsa_reserve_vcc 1
		.amdhsa_float_round_mode_32 0
		.amdhsa_float_round_mode_16_64 0
		.amdhsa_float_denorm_mode_32 3
		.amdhsa_float_denorm_mode_16_64 3
		.amdhsa_fp16_overflow 0
		.amdhsa_memory_ordered 1
		.amdhsa_forward_progress 1
		.amdhsa_inst_pref_size 40
		.amdhsa_round_robin_scheduling 0
		.amdhsa_exception_fp_ieee_invalid_op 0
		.amdhsa_exception_fp_denorm_src 0
		.amdhsa_exception_fp_ieee_div_zero 0
		.amdhsa_exception_fp_ieee_overflow 0
		.amdhsa_exception_fp_ieee_underflow 0
		.amdhsa_exception_fp_ieee_inexact 0
		.amdhsa_exception_int_div_zero 0
	.end_amdhsa_kernel
	.section	.text._ZN9rocsparseL17bsric0_2_8_kernelILi64ELi128ELi8E21rocsparse_complex_numIfEEEv20rocsparse_direction_iiPKiS5_PT2_S5_PiS5_S8_21rocsparse_index_base_,"axG",@progbits,_ZN9rocsparseL17bsric0_2_8_kernelILi64ELi128ELi8E21rocsparse_complex_numIfEEEv20rocsparse_direction_iiPKiS5_PT2_S5_PiS5_S8_21rocsparse_index_base_,comdat
.Lfunc_end54:
	.size	_ZN9rocsparseL17bsric0_2_8_kernelILi64ELi128ELi8E21rocsparse_complex_numIfEEEv20rocsparse_direction_iiPKiS5_PT2_S5_PiS5_S8_21rocsparse_index_base_, .Lfunc_end54-_ZN9rocsparseL17bsric0_2_8_kernelILi64ELi128ELi8E21rocsparse_complex_numIfEEEv20rocsparse_direction_iiPKiS5_PT2_S5_PiS5_S8_21rocsparse_index_base_
                                        ; -- End function
	.set _ZN9rocsparseL17bsric0_2_8_kernelILi64ELi128ELi8E21rocsparse_complex_numIfEEEv20rocsparse_direction_iiPKiS5_PT2_S5_PiS5_S8_21rocsparse_index_base_.num_vgpr, 41
	.set _ZN9rocsparseL17bsric0_2_8_kernelILi64ELi128ELi8E21rocsparse_complex_numIfEEEv20rocsparse_direction_iiPKiS5_PT2_S5_PiS5_S8_21rocsparse_index_base_.num_agpr, 0
	.set _ZN9rocsparseL17bsric0_2_8_kernelILi64ELi128ELi8E21rocsparse_complex_numIfEEEv20rocsparse_direction_iiPKiS5_PT2_S5_PiS5_S8_21rocsparse_index_base_.numbered_sgpr, 43
	.set _ZN9rocsparseL17bsric0_2_8_kernelILi64ELi128ELi8E21rocsparse_complex_numIfEEEv20rocsparse_direction_iiPKiS5_PT2_S5_PiS5_S8_21rocsparse_index_base_.num_named_barrier, 0
	.set _ZN9rocsparseL17bsric0_2_8_kernelILi64ELi128ELi8E21rocsparse_complex_numIfEEEv20rocsparse_direction_iiPKiS5_PT2_S5_PiS5_S8_21rocsparse_index_base_.private_seg_size, 0
	.set _ZN9rocsparseL17bsric0_2_8_kernelILi64ELi128ELi8E21rocsparse_complex_numIfEEEv20rocsparse_direction_iiPKiS5_PT2_S5_PiS5_S8_21rocsparse_index_base_.uses_vcc, 1
	.set _ZN9rocsparseL17bsric0_2_8_kernelILi64ELi128ELi8E21rocsparse_complex_numIfEEEv20rocsparse_direction_iiPKiS5_PT2_S5_PiS5_S8_21rocsparse_index_base_.uses_flat_scratch, 0
	.set _ZN9rocsparseL17bsric0_2_8_kernelILi64ELi128ELi8E21rocsparse_complex_numIfEEEv20rocsparse_direction_iiPKiS5_PT2_S5_PiS5_S8_21rocsparse_index_base_.has_dyn_sized_stack, 0
	.set _ZN9rocsparseL17bsric0_2_8_kernelILi64ELi128ELi8E21rocsparse_complex_numIfEEEv20rocsparse_direction_iiPKiS5_PT2_S5_PiS5_S8_21rocsparse_index_base_.has_recursion, 0
	.set _ZN9rocsparseL17bsric0_2_8_kernelILi64ELi128ELi8E21rocsparse_complex_numIfEEEv20rocsparse_direction_iiPKiS5_PT2_S5_PiS5_S8_21rocsparse_index_base_.has_indirect_call, 0
	.section	.AMDGPU.csdata,"",@progbits
; Kernel info:
; codeLenInByte = 5020
; TotalNumSgprs: 45
; NumVgprs: 41
; ScratchSize: 0
; MemoryBound: 0
; FloatMode: 240
; IeeeMode: 1
; LDSByteSize: 3840 bytes/workgroup (compile time only)
; SGPRBlocks: 0
; VGPRBlocks: 2
; NumSGPRsForWavesPerEU: 45
; NumVGPRsForWavesPerEU: 41
; NamedBarCnt: 0
; Occupancy: 16
; WaveLimiterHint : 1
; COMPUTE_PGM_RSRC2:SCRATCH_EN: 0
; COMPUTE_PGM_RSRC2:USER_SGPR: 2
; COMPUTE_PGM_RSRC2:TRAP_HANDLER: 0
; COMPUTE_PGM_RSRC2:TGID_X_EN: 1
; COMPUTE_PGM_RSRC2:TGID_Y_EN: 0
; COMPUTE_PGM_RSRC2:TGID_Z_EN: 0
; COMPUTE_PGM_RSRC2:TIDIG_COMP_CNT: 1
	.section	.text._ZN9rocsparseL18bsric0_9_16_kernelILi64ELi128ELi16E21rocsparse_complex_numIfEEEv20rocsparse_direction_iiPKiS5_PT2_S5_PiS5_S8_21rocsparse_index_base_,"axG",@progbits,_ZN9rocsparseL18bsric0_9_16_kernelILi64ELi128ELi16E21rocsparse_complex_numIfEEEv20rocsparse_direction_iiPKiS5_PT2_S5_PiS5_S8_21rocsparse_index_base_,comdat
	.globl	_ZN9rocsparseL18bsric0_9_16_kernelILi64ELi128ELi16E21rocsparse_complex_numIfEEEv20rocsparse_direction_iiPKiS5_PT2_S5_PiS5_S8_21rocsparse_index_base_ ; -- Begin function _ZN9rocsparseL18bsric0_9_16_kernelILi64ELi128ELi16E21rocsparse_complex_numIfEEEv20rocsparse_direction_iiPKiS5_PT2_S5_PiS5_S8_21rocsparse_index_base_
	.p2align	8
	.type	_ZN9rocsparseL18bsric0_9_16_kernelILi64ELi128ELi16E21rocsparse_complex_numIfEEEv20rocsparse_direction_iiPKiS5_PT2_S5_PiS5_S8_21rocsparse_index_base_,@function
_ZN9rocsparseL18bsric0_9_16_kernelILi64ELi128ELi16E21rocsparse_complex_numIfEEEv20rocsparse_direction_iiPKiS5_PT2_S5_PiS5_S8_21rocsparse_index_base_: ; @_ZN9rocsparseL18bsric0_9_16_kernelILi64ELi128ELi16E21rocsparse_complex_numIfEEEv20rocsparse_direction_iiPKiS5_PT2_S5_PiS5_S8_21rocsparse_index_base_
; %bb.0:
	s_load_b256 s[8:15], s[0:1], 0x28
	s_bfe_u32 s2, ttmp6, 0x4000c
	s_and_b32 s3, ttmp6, 15
	s_add_co_i32 s2, s2, 1
	s_getreg_b32 s4, hwreg(HW_REG_IB_STS2, 6, 4)
	s_mul_i32 s2, ttmp9, s2
	v_and_b32_e32 v10, 0x3ff, v0
	s_add_co_i32 s3, s3, s2
	s_cmp_eq_u32 s4, 0
	v_bfe_u32 v11, v0, 10, 10
	s_cselect_b32 s2, ttmp9, s3
	s_wait_kmcnt 0x0
	s_load_b32 s12, s[12:13], s2 offset:0x0 scale_offset
	s_wait_kmcnt 0x0
	s_ashr_i32 s13, s12, 31
	s_delay_alu instid0(SALU_CYCLE_1) | instskip(NEXT) | instid1(SALU_CYCLE_1)
	s_lshl_b64 s[6:7], s[12:13], 2
	s_add_nc_u64 s[2:3], s[8:9], s[6:7]
	s_load_b32 s13, s[2:3], 0x0
	s_load_b32 s5, s[0:1], 0x48
	s_wait_kmcnt 0x0
	s_cmp_lg_u32 s13, -1
	s_cbranch_scc0 .LBB55_148
; %bb.1:
	s_clause 0x1
	s_load_b128 s[16:19], s[0:1], 0x10
	s_load_b64 s[20:21], s[0:1], 0x20
	v_lshlrev_b32_e32 v0, 2, v11
	s_wait_kmcnt 0x0
	s_add_nc_u64 s[2:3], s[16:17], s[6:7]
	s_load_b32 s2, s[2:3], 0x0
	s_wait_kmcnt 0x0
	s_sub_co_i32 s33, s2, s5
	s_mov_b32 s2, exec_lo
	v_add3_u32 v0, v0, v10, s33
	s_delay_alu instid0(VALU_DEP_1)
	v_cmpx_ge_i32_e64 s13, v0
	s_cbranch_execz .LBB55_4
; %bb.2:
	v_dual_lshlrev_b32 v1, 4, v11 :: v_dual_lshlrev_b32 v2, 2, v10
	s_mov_b32 s3, 0
	s_delay_alu instid0(VALU_DEP_1)
	v_add3_u32 v1, v1, v2, 0x2600
.LBB55_3:                               ; =>This Inner Loop Header: Depth=1
	global_load_b32 v2, v0, s[18:19] scale_offset
	s_wait_xcnt 0x0
	v_add_nc_u32_e32 v0, 64, v0
	s_delay_alu instid0(VALU_DEP_1)
	v_cmp_lt_i32_e32 vcc_lo, s13, v0
	s_or_b32 s3, vcc_lo, s3
	s_wait_loadcnt 0x0
	v_subrev_nc_u32_e32 v2, s5, v2
	ds_store_b32 v1, v2
	v_add_nc_u32_e32 v1, 0x100, v1
	s_and_not1_b32 exec_lo, exec_lo, s3
	s_cbranch_execnz .LBB55_3
.LBB55_4:
	s_or_b32 exec_lo, exec_lo, s2
	v_mul_u32_u24_e32 v12, 0x88, v11
	v_lshlrev_b32_e32 v13, 3, v10
	s_mov_b32 s2, exec_lo
	v_cmpx_gt_u32_e32 16, v10
	s_cbranch_execz .LBB55_7
; %bb.5:
	v_dual_lshlrev_b32 v3, 3, v10 :: v_dual_add_nc_u32 v2, -4, v10
	v_mov_b64_e32 v[0:1], 0
	s_mov_b32 s3, 0
	s_delay_alu instid0(VALU_DEP_2)
	v_add3_u32 v3, v12, v3, 0x1980
.LBB55_6:                               ; =>This Inner Loop Header: Depth=1
	s_delay_alu instid0(VALU_DEP_3) | instskip(SKIP_4) | instid1(SALU_CYCLE_1)
	v_add_nc_u32_e32 v2, 4, v2
	ds_store_b64 v3, v[0:1]
	v_add_nc_u32_e32 v3, 32, v3
	v_cmp_lt_u32_e32 vcc_lo, 11, v2
	s_or_b32 s3, vcc_lo, s3
	s_and_not1_b32 exec_lo, exec_lo, s3
	s_cbranch_execnz .LBB55_6
.LBB55_7:
	s_or_b32 exec_lo, exec_lo, s2
	s_clause 0x1
	s_load_b32 s30, s[0:1], 0x8
	s_load_b32 s31, s[0:1], 0x0
	v_mul_u32_u24_e32 v14, 0x88, v10
	s_cmp_ge_i32 s33, s13
	s_wait_dscnt 0x0
	s_wait_kmcnt 0x0
	v_cmp_gt_i32_e64 s0, s30, v10
	v_xad_u32 v15, v10, -1, s30
	s_cbranch_scc1 .LBB55_96
; %bb.8:
	s_delay_alu instid0(VALU_DEP_1) | instskip(SKIP_3) | instid1(VALU_DEP_4)
	v_dual_lshrrev_b32 v0, 2, v15 :: v_dual_lshlrev_b32 v18, 3, v10
	v_mad_u32 v1, s30, s33, v11
	v_mul_lo_u32 v19, s30, v11
	v_mul_lo_u32 v24, v10, s30
	v_dual_add_nc_u32 v0, 1, v0 :: v_dual_bitop2_b32 v2, v10, v11 bitop3:0x54
	v_mad_u32_u24 v21, 0x88, v11, v18
	s_movk_i32 s22, 0x88
	s_movk_i32 s2, 0x880
	s_delay_alu instid0(VALU_DEP_2)
	v_and_b32_e32 v20, 0x7ffffffe, v0
	v_mad_u32_u24 v16, v11, s22, 0x1100
	v_mad_u32_u24 v26, v10, s22, 0x1100
	v_mul_lo_u32 v27, s30, v1
	s_movk_i32 s22, 0x1980
	v_cmp_ne_u32_e64 s4, v0, v20
	v_mov_b64_e32 v[0:1], 0
	s_cmp_lg_u32 s31, 0
	v_cmp_gt_i32_e64 s1, s30, v11
	v_mad_u32_u24 v17, 0x88, v11, s2
	v_cmp_ne_u32_e64 s2, 0, v2
	v_cmp_lt_u32_e64 s3, 3, v15
	v_lshl_add_u32 v22, v20, 2, v10
	v_add_nc_u32_e32 v23, 0x880, v21
	v_mul_u32_u24_e32 v25, 0x88, v10
	v_dual_mov_b32 v31, 0 :: v_dual_add_nc_u32 v28, 0x1980, v21
	v_mad_u32_u24 v29, 0x88, v11, s22
	v_add_nc_u32_e32 v30, 0x1100, v21
	s_cselect_b32 s34, -1, 0
	s_cmp_gt_i32 s30, 0
	s_mul_i32 s36, s30, s30
	s_cselect_b32 s35, -1, 0
	s_lshl_b32 s37, s30, 2
	s_mov_b32 s22, s33
	s_branch .LBB55_10
.LBB55_9:                               ;   in Loop: Header=BB55_10 Depth=1
	s_or_b32 exec_lo, exec_lo, s24
	s_add_co_i32 s22, s22, 1
	v_add_nc_u32_e32 v27, s36, v27
	s_cmp_ge_i32 s22, s13
	global_wb scope:SCOPE_DEV
	s_wait_storecnt 0x0
	global_inv scope:SCOPE_DEV
	s_cselect_b32 s23, -1, 0
	s_delay_alu instid0(SALU_CYCLE_1)
	s_and_b32 vcc_lo, exec_lo, s23
	s_cbranch_vccnz .LBB55_96
.LBB55_10:                              ; =>This Loop Header: Depth=1
                                        ;     Child Loop BB55_14 Depth 2
                                        ;     Child Loop BB55_26 Depth 2
	;; [unrolled: 1-line block ×5, first 2 shown]
                                        ;       Child Loop BB55_56 Depth 3
                                        ;     Child Loop BB55_70 Depth 2
                                        ;       Child Loop BB55_75 Depth 3
                                        ;       Child Loop BB55_79 Depth 3
	;; [unrolled: 1-line block ×3, first 2 shown]
                                        ;     Child Loop BB55_91 Depth 2
	s_ashr_i32 s23, s22, 31
	s_delay_alu instid0(SALU_CYCLE_1) | instskip(NEXT) | instid1(SALU_CYCLE_1)
	s_lshl_b64 s[24:25], s[22:23], 2
	s_add_nc_u64 s[24:25], s[18:19], s[24:25]
	s_load_b32 s38, s[24:25], 0x0
	s_wait_kmcnt 0x0
	s_sub_co_i32 s26, s38, s5
	s_delay_alu instid0(SALU_CYCLE_1) | instskip(SKIP_2) | instid1(SALU_CYCLE_1)
	s_ashr_i32 s27, s26, 31
	s_wait_xcnt 0x0
	s_lshl_b64 s[24:25], s[26:27], 2
	s_add_nc_u64 s[28:29], s[8:9], s[24:25]
	s_load_b32 s27, s[28:29], 0x0
	s_wait_kmcnt 0x0
	s_cmp_eq_u32 s27, -1
	s_cbranch_scc1 .LBB55_95
; %bb.11:                               ;   in Loop: Header=BB55_10 Depth=1
	s_wait_xcnt 0x0
	s_add_nc_u64 s[28:29], s[16:17], s[24:25]
	s_mul_i32 s23, s22, s30
	s_load_b32 s28, s[28:29], 0x0
	s_wait_xcnt 0x0
	s_and_saveexec_b32 s29, s0
	s_cbranch_execz .LBB55_24
; %bb.12:                               ;   in Loop: Header=BB55_10 Depth=1
	v_dual_mov_b32 v4, v23 :: v_dual_mov_b32 v5, v10
	s_mov_b32 s39, 0
	s_branch .LBB55_14
.LBB55_13:                              ;   in Loop: Header=BB55_14 Depth=2
	s_wait_xcnt 0x0
	s_or_b32 exec_lo, exec_lo, s41
	v_add_nc_u32_e32 v5, 4, v5
	s_wait_loadcnt 0x0
	ds_store_b64 v4, v[2:3] offset:2176
	ds_store_b64 v4, v[0:1]
	v_add_nc_u32_e32 v4, 32, v4
	v_cmp_le_i32_e32 vcc_lo, s30, v5
	s_or_b32 s39, vcc_lo, s39
	s_delay_alu instid0(SALU_CYCLE_1)
	s_and_not1_b32 exec_lo, exec_lo, s39
	s_cbranch_execz .LBB55_24
.LBB55_14:                              ;   Parent Loop BB55_10 Depth=1
                                        ; =>  This Inner Loop Header: Depth=2
	s_and_b32 vcc_lo, exec_lo, s34
	s_cbranch_vccz .LBB55_21
; %bb.15:                               ;   in Loop: Header=BB55_14 Depth=2
	s_mov_b32 s41, 0
	s_mov_b32 s40, 0
                                        ; implicit-def: $vgpr6
	s_and_saveexec_b32 s42, s1
	s_delay_alu instid0(SALU_CYCLE_1)
	s_xor_b32 s42, exec_lo, s42
; %bb.16:                               ;   in Loop: Header=BB55_14 Depth=2
	v_add_nc_u32_e32 v2, s23, v5
	s_mov_b32 s40, exec_lo
	s_delay_alu instid0(VALU_DEP_1)
	v_mad_u32 v6, v2, s30, v11
; %bb.17:                               ;   in Loop: Header=BB55_14 Depth=2
	s_or_b32 exec_lo, exec_lo, s42
	s_delay_alu instid0(SALU_CYCLE_1)
	s_and_b32 vcc_lo, exec_lo, s41
	s_cbranch_vccz .LBB55_22
.LBB55_18:                              ;   in Loop: Header=BB55_14 Depth=2
                                        ; implicit-def: $vgpr6
	s_and_saveexec_b32 s41, s1
; %bb.19:                               ;   in Loop: Header=BB55_14 Depth=2
	v_add_nc_u32_e32 v6, v27, v5
	s_or_b32 s40, s40, exec_lo
; %bb.20:                               ;   in Loop: Header=BB55_14 Depth=2
	s_or_b32 exec_lo, exec_lo, s41
	v_dual_mov_b32 v2, 0 :: v_dual_mov_b32 v3, 0
	s_and_saveexec_b32 s41, s40
	s_cbranch_execz .LBB55_13
	s_branch .LBB55_23
.LBB55_21:                              ;   in Loop: Header=BB55_14 Depth=2
	s_mov_b32 s40, 0
                                        ; implicit-def: $vgpr6
	s_cbranch_execnz .LBB55_18
.LBB55_22:                              ;   in Loop: Header=BB55_14 Depth=2
	v_dual_mov_b32 v2, 0 :: v_dual_mov_b32 v3, 0
	s_and_saveexec_b32 s41, s40
	s_cbranch_execz .LBB55_13
.LBB55_23:                              ;   in Loop: Header=BB55_14 Depth=2
	global_load_b64 v[2:3], v6, s[20:21] scale_offset
	s_branch .LBB55_13
.LBB55_24:                              ;   in Loop: Header=BB55_10 Depth=1
	s_or_b32 exec_lo, exec_lo, s29
	ds_load_b32 v2, v31 offset:9728
	s_wait_kmcnt 0x0
	s_sub_co_i32 s28, s28, s5
	s_delay_alu instid0(SALU_CYCLE_1) | instskip(SKIP_4) | instid1(SALU_CYCLE_1)
	s_cmp_le_i32 s28, s27
	s_cselect_b32 s29, -1, 0
	s_wait_dscnt 0x0
	v_cmp_ge_i32_e32 vcc_lo, s26, v2
	s_and_b32 s29, s29, vcc_lo
	s_and_not1_b32 vcc_lo, exec_lo, s29
	s_mov_b32 s29, 0
	s_cbranch_vccnz .LBB55_36
; %bb.25:                               ;   in Loop: Header=BB55_10 Depth=1
	s_mov_b32 s39, 0
	s_mov_b32 s40, 0
.LBB55_26:                              ;   Parent Loop BB55_10 Depth=1
                                        ; =>  This Inner Loop Header: Depth=2
	s_ashr_i32 s29, s28, 31
	s_lshl_b32 s41, s40, 2
	s_wait_xcnt 0x0
	s_lshl_b64 s[42:43], s[28:29], 2
	v_mov_b32_e32 v2, s41
	s_add_nc_u64 s[42:43], s[18:19], s[42:43]
	s_mov_b32 s44, -1
	s_load_b32 s29, s[42:43], 0x0
                                        ; implicit-def: $sgpr43
                                        ; implicit-def: $sgpr42
	ds_load_b32 v2, v2 offset:9728
	s_wait_kmcnt 0x0
	s_sub_co_i32 s45, s29, s5
                                        ; implicit-def: $sgpr29
	s_wait_dscnt 0x0
	v_readfirstlane_b32 s41, v2
	v_cmp_ge_i32_e32 vcc_lo, s45, v2
	s_cbranch_vccz .LBB55_32
; %bb.27:                               ;   in Loop: Header=BB55_26 Depth=2
	s_cmp_le_i32 s45, s41
                                        ; implicit-def: $sgpr29
                                        ; implicit-def: $sgpr43
                                        ; implicit-def: $sgpr42
	s_cbranch_scc0 .LBB55_29
; %bb.28:                               ;   in Loop: Header=BB55_26 Depth=2
	s_add_co_i32 s29, s40, s33
	s_wait_xcnt 0x0
	s_lshl_b32 s42, s39, 2
	s_mul_i32 s29, s29, s36
	s_delay_alu instid0(SALU_CYCLE_1)
	v_dual_mov_b32 v2, s42 :: v_dual_mov_b32 v3, s29
	s_mul_i32 s42, s28, s36
	s_add_co_i32 s43, s28, 1
	v_mov_b32_e32 v4, s42
	s_add_co_i32 s42, s40, 1
	s_add_co_i32 s29, s39, 1
	s_mov_b32 s44, 0
	ds_store_2addr_stride64_b32 v2, v4, v3 offset0:34 offset1:36
.LBB55_29:                              ;   in Loop: Header=BB55_26 Depth=2
	s_and_not1_b32 vcc_lo, exec_lo, s44
	s_cbranch_vccnz .LBB55_31
; %bb.30:                               ;   in Loop: Header=BB55_26 Depth=2
	s_wait_xcnt 0x0
	s_add_co_i32 s42, s40, 1
	s_mov_b32 s29, s39
	s_mov_b32 s43, s28
.LBB55_31:                              ;   in Loop: Header=BB55_26 Depth=2
	s_mov_b32 s44, 0
.LBB55_32:                              ;   in Loop: Header=BB55_26 Depth=2
	s_delay_alu instid0(SALU_CYCLE_1)
	s_and_not1_b32 vcc_lo, exec_lo, s44
	s_cbranch_vccnz .LBB55_34
; %bb.33:                               ;   in Loop: Header=BB55_26 Depth=2
	s_wait_xcnt 0x0
	s_add_co_i32 s43, s28, 1
	s_mov_b32 s42, s40
	s_mov_b32 s29, s39
.LBB55_34:                              ;   in Loop: Header=BB55_26 Depth=2
	s_cmp_le_i32 s43, s27
	s_cselect_b32 s28, -1, 0
	s_cmp_le_i32 s41, s26
	s_cselect_b32 s39, -1, 0
	s_delay_alu instid0(SALU_CYCLE_1) | instskip(NEXT) | instid1(SALU_CYCLE_1)
	s_and_b32 s28, s28, s39
	s_and_b32 vcc_lo, exec_lo, s28
	s_cbranch_vccz .LBB55_36
; %bb.35:                               ;   in Loop: Header=BB55_26 Depth=2
	s_mov_b32 s39, s29
	s_mov_b32 s28, s43
	;; [unrolled: 1-line block ×3, first 2 shown]
	s_branch .LBB55_26
.LBB55_36:                              ;   in Loop: Header=BB55_10 Depth=1
	s_add_nc_u64 s[24:25], s[10:11], s[24:25]
	s_wait_dscnt 0x0
.LBB55_37:                              ;   Parent Loop BB55_10 Depth=1
                                        ; =>  This Inner Loop Header: Depth=2
	global_load_b32 v2, v31, s[24:25] scope:SCOPE_DEV
	s_wait_loadcnt 0x0
	v_cmp_eq_u32_e32 vcc_lo, 0, v2
	s_cbranch_vccnz .LBB55_37
; %bb.38:                               ;   in Loop: Header=BB55_10 Depth=1
	global_inv scope:SCOPE_DEV
	s_wait_xcnt 0x0
	s_and_saveexec_b32 s24, s0
	s_cbranch_execz .LBB55_51
; %bb.39:                               ;   in Loop: Header=BB55_10 Depth=1
	s_mul_i32 s27, s27, s30
	s_delay_alu instid0(SALU_CYCLE_1) | instskip(SKIP_2) | instid1(VALU_DEP_2)
	v_dual_mov_b32 v6, v10 :: v_dual_add_nc_u32 v2, s27, v11
	v_mov_b32_e32 v5, v21
	s_mov_b32 s25, 0
	v_mul_lo_u32 v4, v2, s30
	s_branch .LBB55_41
.LBB55_40:                              ;   in Loop: Header=BB55_41 Depth=2
	s_wait_xcnt 0x0
	s_or_b32 exec_lo, exec_lo, s28
	v_add_nc_u32_e32 v6, 4, v6
	s_wait_loadcnt 0x0
	ds_store_b64 v5, v[2:3]
	v_add_nc_u32_e32 v5, 32, v5
	v_cmp_le_i32_e32 vcc_lo, s30, v6
	s_or_b32 s25, vcc_lo, s25
	s_delay_alu instid0(SALU_CYCLE_1)
	s_and_not1_b32 exec_lo, exec_lo, s25
	s_cbranch_execz .LBB55_51
.LBB55_41:                              ;   Parent Loop BB55_10 Depth=1
                                        ; =>  This Inner Loop Header: Depth=2
	s_and_b32 vcc_lo, exec_lo, s34
	s_cbranch_vccz .LBB55_48
; %bb.42:                               ;   in Loop: Header=BB55_41 Depth=2
	s_mov_b32 s28, 0
	s_mov_b32 s26, 0
                                        ; implicit-def: $vgpr7
	s_and_saveexec_b32 s39, s1
	s_delay_alu instid0(SALU_CYCLE_1)
	s_xor_b32 s39, exec_lo, s39
; %bb.43:                               ;   in Loop: Header=BB55_41 Depth=2
	v_add_nc_u32_e32 v2, s27, v6
	s_mov_b32 s26, exec_lo
	s_delay_alu instid0(VALU_DEP_1)
	v_mad_u32 v7, v2, s30, v11
; %bb.44:                               ;   in Loop: Header=BB55_41 Depth=2
	s_or_b32 exec_lo, exec_lo, s39
	s_delay_alu instid0(SALU_CYCLE_1)
	s_and_b32 vcc_lo, exec_lo, s28
	s_cbranch_vccz .LBB55_49
.LBB55_45:                              ;   in Loop: Header=BB55_41 Depth=2
                                        ; implicit-def: $vgpr7
	s_and_saveexec_b32 s28, s1
; %bb.46:                               ;   in Loop: Header=BB55_41 Depth=2
	s_delay_alu instid0(VALU_DEP_1)
	v_add_nc_u32_e32 v7, v4, v6
	s_or_b32 s26, s26, exec_lo
; %bb.47:                               ;   in Loop: Header=BB55_41 Depth=2
	s_or_b32 exec_lo, exec_lo, s28
	v_dual_mov_b32 v2, 0 :: v_dual_mov_b32 v3, 0
	s_and_saveexec_b32 s28, s26
	s_cbranch_execz .LBB55_40
	s_branch .LBB55_50
.LBB55_48:                              ;   in Loop: Header=BB55_41 Depth=2
	s_mov_b32 s26, 0
                                        ; implicit-def: $vgpr7
	s_cbranch_execnz .LBB55_45
.LBB55_49:                              ;   in Loop: Header=BB55_41 Depth=2
	v_dual_mov_b32 v2, 0 :: v_dual_mov_b32 v3, 0
	s_and_saveexec_b32 s28, s26
	s_cbranch_execz .LBB55_40
.LBB55_50:                              ;   in Loop: Header=BB55_41 Depth=2
	global_load_b64 v[2:3], v7, s[20:21] scale_offset
	s_branch .LBB55_40
.LBB55_51:                              ;   in Loop: Header=BB55_10 Depth=1
	s_or_b32 exec_lo, exec_lo, s24
	s_cmp_lt_i32 s29, 2
	s_cbranch_scc1 .LBB55_67
; %bb.52:                               ;   in Loop: Header=BB55_10 Depth=1
	s_add_co_i32 s24, s29, -2
	s_mov_b32 s25, 0
	s_branch .LBB55_54
.LBB55_53:                              ;   in Loop: Header=BB55_54 Depth=2
	s_or_b32 exec_lo, exec_lo, s26
	s_add_co_i32 s26, s25, 1
	s_cmp_eq_u32 s25, s24
	s_mov_b32 s25, s26
	s_cbranch_scc1 .LBB55_67
.LBB55_54:                              ;   Parent Loop BB55_10 Depth=1
                                        ; =>  This Loop Header: Depth=2
                                        ;       Child Loop BB55_56 Depth 3
	s_and_saveexec_b32 s26, s0
	s_cbranch_execz .LBB55_53
; %bb.55:                               ;   in Loop: Header=BB55_54 Depth=2
	s_lshl_b32 s27, s25, 2
	s_delay_alu instid0(SALU_CYCLE_1)
	v_dual_mov_b32 v34, v10 :: v_dual_mov_b32 v2, s27
	s_mov_b32 s27, 0
	ds_load_2addr_stride64_b32 v[2:3], v2 offset0:34 offset1:36
	s_wait_dscnt 0x0
	v_add_nc_u32_e32 v8, v3, v19
	v_dual_add_nc_u32 v9, v11, v3 :: v_dual_add_nc_u32 v32, v10, v2
	v_add_nc_u32_e32 v33, v24, v2
.LBB55_56:                              ;   Parent Loop BB55_10 Depth=1
                                        ;     Parent Loop BB55_54 Depth=2
                                        ; =>    This Inner Loop Header: Depth=3
	v_mov_b64_e32 v[2:3], 0
	s_delay_alu instid0(VALU_DEP_3)
	v_dual_mov_b32 v35, v32 :: v_dual_mov_b32 v36, v9
	s_mov_b32 s28, 0
	s_and_b32 vcc_lo, exec_lo, s34
	s_cbranch_vccnz .LBB55_59
	s_branch .LBB55_58
.LBB55_57:                              ;   in Loop: Header=BB55_56 Depth=3
	v_mov_b64_e32 v[2:3], v[4:5]
	s_and_b32 vcc_lo, exec_lo, s34
	s_cbranch_vccnz .LBB55_59
.LBB55_58:                              ;   in Loop: Header=BB55_56 Depth=3
                                        ; implicit-def: $vgpr4_vgpr5
	s_cbranch_execz .LBB55_65
	s_branch .LBB55_62
.LBB55_59:                              ;   in Loop: Header=BB55_56 Depth=3
	global_load_b64 v[4:5], v35, s[20:21] scale_offset
	v_dual_mov_b32 v6, 0 :: v_dual_mov_b32 v7, 0
	s_wait_xcnt 0x0
	s_and_saveexec_b32 s29, s1
	s_cbranch_execz .LBB55_61
; %bb.60:                               ;   in Loop: Header=BB55_56 Depth=3
	global_load_b64 v[6:7], v36, s[20:21] scale_offset
.LBB55_61:                              ;   in Loop: Header=BB55_56 Depth=3
	s_wait_xcnt 0x0
	s_or_b32 exec_lo, exec_lo, s29
	s_wait_loadcnt 0x0
	v_pk_add_f32 v[40:41], v[6:7], 0 neg_lo:[1,1] neg_hi:[1,1]
	v_pk_fma_f32 v[38:39], v[4:5], v[6:7], v[2:3] op_sel_hi:[1,0,1]
	v_mov_b32_e32 v40, v7
	s_delay_alu instid0(VALU_DEP_1)
	v_pk_fma_f32 v[4:5], v[4:5], v[40:41], v[38:39] op_sel:[1,0,0] op_sel_hi:[0,1,1]
	s_branch .LBB55_65
.LBB55_62:                              ;   in Loop: Header=BB55_56 Depth=3
	v_dual_add_nc_u32 v4, s28, v33 :: v_dual_mov_b32 v6, 0
	v_mov_b32_e32 v7, 0
	global_load_b64 v[4:5], v4, s[20:21] scale_offset
	s_wait_xcnt 0x0
	s_and_saveexec_b32 s29, s1
	s_cbranch_execz .LBB55_64
; %bb.63:                               ;   in Loop: Header=BB55_56 Depth=3
	v_add_nc_u32_e32 v6, s28, v8
	global_load_b64 v[6:7], v6, s[20:21] scale_offset
.LBB55_64:                              ;   in Loop: Header=BB55_56 Depth=3
	s_wait_xcnt 0x0
	s_or_b32 exec_lo, exec_lo, s29
	s_wait_loadcnt 0x0
	v_pk_add_f32 v[38:39], v[6:7], 0 neg_lo:[1,1] neg_hi:[1,1]
	v_pk_fma_f32 v[2:3], v[4:5], v[6:7], v[2:3] op_sel_hi:[1,0,1]
	v_mov_b32_e32 v38, v7
	s_delay_alu instid0(VALU_DEP_1)
	v_pk_fma_f32 v[4:5], v[4:5], v[38:39], v[2:3] op_sel:[1,0,0] op_sel_hi:[0,1,1]
.LBB55_65:                              ;   in Loop: Header=BB55_56 Depth=3
	v_dual_add_nc_u32 v36, s30, v36 :: v_dual_add_nc_u32 v35, s30, v35
	s_add_co_i32 s28, s28, 1
	s_delay_alu instid0(SALU_CYCLE_1)
	s_cmp_eq_u32 s30, s28
	s_cbranch_scc0 .LBB55_57
; %bb.66:                               ;   in Loop: Header=BB55_56 Depth=3
	v_lshl_add_u32 v6, v34, 3, v17
	v_dual_add_nc_u32 v34, 4, v34 :: v_dual_add_nc_u32 v32, 4, v32
	v_add_nc_u32_e32 v33, s37, v33
	ds_load_b64 v[2:3], v6
	v_cmp_le_i32_e32 vcc_lo, s30, v34
	s_or_b32 s27, vcc_lo, s27
	s_wait_dscnt 0x0
	v_pk_add_f32 v[2:3], v[4:5], v[2:3]
	ds_store_b64 v6, v[2:3]
	s_and_not1_b32 exec_lo, exec_lo, s27
	s_cbranch_execnz .LBB55_56
	s_branch .LBB55_53
.LBB55_67:                              ;   in Loop: Header=BB55_10 Depth=1
	s_and_not1_b32 vcc_lo, exec_lo, s35
	s_wait_loadcnt_dscnt 0x0
	s_cbranch_vccnz .LBB55_86
; %bb.68:                               ;   in Loop: Header=BB55_10 Depth=1
	v_mov_b32_e32 v32, v26
	s_mov_b32 s24, 0
	s_mov_b32 s25, 0
	;; [unrolled: 1-line block ×3, first 2 shown]
	s_branch .LBB55_70
.LBB55_69:                              ;   in Loop: Header=BB55_70 Depth=2
	s_or_b32 exec_lo, exec_lo, s27
	v_add_nc_u32_e32 v32, 8, v32
	s_add_co_i32 s26, s26, 1
	s_addk_co_i32 s25, 0x88
	s_add_co_i32 s24, s24, 8
	s_cmp_eq_u32 s26, s30
	s_wait_dscnt 0x0
	s_cbranch_scc1 .LBB55_86
.LBB55_70:                              ;   Parent Loop BB55_10 Depth=1
                                        ; =>  This Loop Header: Depth=2
                                        ;       Child Loop BB55_75 Depth 3
                                        ;       Child Loop BB55_79 Depth 3
	;; [unrolled: 1-line block ×3, first 2 shown]
	s_lshl_b32 s27, s26, 3
	s_mul_i32 s28, s26, 0x88
	v_add_nc_u32_e32 v5, s27, v16
	s_add_co_i32 s28, s28, s27
	s_delay_alu instid0(SALU_CYCLE_1)
	v_mov_b32_e32 v2, s28
	ds_load_b64 v[2:3], v2
	s_wait_dscnt 0x0
	v_readfirstlane_b32 s28, v2
	v_readfirstlane_b32 s27, v3
	ds_load_b64 v[2:3], v5
	s_cmp_neq_f32 s28, 0
	s_cselect_b32 s29, -1, 0
	s_cmp_neq_f32 s27, 0
	s_cselect_b32 s39, -1, 0
	s_delay_alu instid0(SALU_CYCLE_1) | instskip(NEXT) | instid1(SALU_CYCLE_1)
	s_or_b32 s29, s29, s39
	s_nor_b32 s39, s29, s2
	s_and_b32 s29, s29, exec_lo
	s_cselect_b32 s28, s28, 1.0
	s_cselect_b32 s27, s27, 0
	s_delay_alu instid0(SALU_CYCLE_1)
	v_dual_mov_b32 v4, s28 :: v_dual_mov_b32 v6, s27
	s_and_saveexec_b32 s27, s39
	s_cbranch_execz .LBB55_74
; %bb.71:                               ;   in Loop: Header=BB55_70 Depth=2
	v_mbcnt_lo_u32_b32 v4, exec_lo, 0
	s_mov_b32 s28, exec_lo
	s_delay_alu instid0(VALU_DEP_1)
	v_cmpx_eq_u32_e32 0, v4
	s_cbranch_execz .LBB55_73
; %bb.72:                               ;   in Loop: Header=BB55_70 Depth=2
	v_mov_b32_e32 v4, s38
	global_atomic_min_i32 v31, v4, s[14:15] scope:SCOPE_DEV
.LBB55_73:                              ;   in Loop: Header=BB55_70 Depth=2
	s_wait_xcnt 0x0
	s_or_b32 exec_lo, exec_lo, s28
	v_dual_mov_b32 v6, 0 :: v_dual_mov_b32 v4, 1.0
.LBB55_74:                              ;   in Loop: Header=BB55_70 Depth=2
	s_or_b32 exec_lo, exec_lo, s27
	v_lshl_add_u32 v7, s26, 3, v17
	s_cmp_eq_u32 s26, 0
	s_mov_b32 s27, s25
	s_mov_b32 s28, s26
	ds_load_b64 v[8:9], v7
	v_mov_b32_e32 v7, v16
	s_cbranch_scc1 .LBB55_76
.LBB55_75:                              ;   Parent Loop BB55_10 Depth=1
                                        ;     Parent Loop BB55_70 Depth=2
                                        ; =>    This Inner Loop Header: Depth=3
	v_mov_b32_e32 v33, s27
	s_add_co_i32 s28, s28, -1
	s_add_co_i32 s27, s27, 8
	s_cmp_eq_u32 s28, 0
	ds_load_b64 v[34:35], v7
	ds_load_b64 v[36:37], v33
	v_add_nc_u32_e32 v7, 8, v7
	s_wait_dscnt 0x0
	v_pk_fma_f32 v[8:9], v[36:37], v[34:35], v[8:9] op_sel_hi:[1,0,1]
	s_delay_alu instid0(VALU_DEP_1)
	v_pk_fma_f32 v[8:9], v[36:37], v[34:35], v[8:9] op_sel:[1,1,0] op_sel_hi:[0,1,1] neg_hi:[0,1,0]
	s_cbranch_scc0 .LBB55_75
.LBB55_76:                              ;   in Loop: Header=BB55_70 Depth=2
	v_mul_f32_e32 v33, v6, v6
	s_wait_dscnt 0x0
	s_delay_alu instid0(VALU_DEP_2) | instskip(NEXT) | instid1(VALU_DEP_2)
	v_pk_add_f32 v[2:3], v[2:3], v[8:9] neg_lo:[0,1] neg_hi:[0,1]
	v_fmac_f32_e32 v33, v4, v4
	s_delay_alu instid0(VALU_DEP_1) | instskip(NEXT) | instid1(VALU_DEP_1)
	v_div_scale_f32 v7, null, v33, v33, 1.0
	v_rcp_f32_e32 v34, v7
	v_nop
	s_delay_alu instid0(TRANS32_DEP_1) | instskip(NEXT) | instid1(VALU_DEP_1)
	v_fma_f32 v35, -v7, v34, 1.0
	v_fmac_f32_e32 v34, v35, v34
	v_div_scale_f32 v36, vcc_lo, 1.0, v33, 1.0
	s_delay_alu instid0(VALU_DEP_1) | instskip(NEXT) | instid1(VALU_DEP_1)
	v_mul_f32_e32 v35, v36, v34
	v_fma_f32 v37, -v7, v35, v36
	s_delay_alu instid0(VALU_DEP_1) | instskip(NEXT) | instid1(VALU_DEP_1)
	v_fmac_f32_e32 v35, v37, v34
	v_fma_f32 v8, -v7, v35, v36
	v_pk_mul_f32 v[6:7], v[6:7], v[2:3] op_sel:[0,1] op_sel_hi:[0,0] neg_hi:[0,1]
	s_delay_alu instid0(VALU_DEP_2) | instskip(NEXT) | instid1(VALU_DEP_2)
	v_div_fmas_f32 v8, v8, v34, v35
	v_pk_fma_f32 v[2:3], v[2:3], v[4:5], v[6:7] op_sel_hi:[1,0,1]
	s_delay_alu instid0(VALU_DEP_2) | instskip(NEXT) | instid1(VALU_DEP_1)
	v_div_fixup_f32 v4, v8, v33, 1.0
	v_pk_mul_f32 v[2:3], v[4:5], v[2:3] op_sel_hi:[0,1]
	ds_store_b64 v5, v[2:3]
	s_wait_storecnt_dscnt 0x0
	s_and_saveexec_b32 s27, s0
	s_cbranch_execz .LBB55_69
; %bb.77:                               ;   in Loop: Header=BB55_70 Depth=2
	v_dual_mov_b32 v4, v10 :: v_dual_mov_b32 v5, v18
	v_mov_b32_e32 v6, v25
	s_mov_b32 s29, -1
	s_and_saveexec_b32 s28, s3
	s_cbranch_execz .LBB55_83
; %bb.78:                               ;   in Loop: Header=BB55_70 Depth=2
	v_dual_mov_b32 v4, v2 :: v_dual_mov_b32 v5, v2
	v_dual_mov_b32 v6, v3 :: v_dual_mov_b32 v7, v3
	;; [unrolled: 1-line block ×3, first 2 shown]
	v_mov_b32_e32 v33, v32
	s_mov_b32 s29, 0
.LBB55_79:                              ;   Parent Loop BB55_10 Depth=1
                                        ;     Parent Loop BB55_70 Depth=2
                                        ; =>    This Inner Loop Header: Depth=3
	ds_load_2addr_b64 v[34:37], v33 offset1:68
	ds_load_2addr_b64 v[38:41], v9 offset1:4
	s_wait_dscnt 0x1
	v_dual_mov_b32 v42, v34 :: v_dual_add_nc_u32 v33, 0x440, v33
	s_wait_dscnt 0x0
	v_dual_mov_b32 v43, v36 :: v_dual_mov_b32 v44, v38
	v_dual_mov_b32 v45, v40 :: v_dual_mov_b32 v40, v39
	v_mov_b32_e32 v36, v35
	s_delay_alu instid0(VALU_DEP_2) | instskip(NEXT) | instid1(VALU_DEP_3)
	v_pk_fma_f32 v[34:35], v[4:5], v[42:43], v[44:45]
	v_pk_fma_f32 v[38:39], v[6:7], v[42:43], v[40:41]
	s_delay_alu instid0(VALU_DEP_2) | instskip(NEXT) | instid1(VALU_DEP_2)
	v_pk_fma_f32 v[34:35], v[6:7], v[36:37], v[34:35]
	v_pk_fma_f32 v[36:37], v[4:5], v[36:37], v[38:39] neg_lo:[0,1,0] neg_hi:[0,1,0]
	s_delay_alu instid0(VALU_DEP_2) | instskip(NEXT) | instid1(VALU_DEP_2)
	v_dual_add_nc_u32 v8, -2, v8 :: v_dual_mov_b32 v38, v34
	v_dual_mov_b32 v39, v36 :: v_dual_mov_b32 v36, v35
	s_delay_alu instid0(VALU_DEP_2) | instskip(SKIP_3) | instid1(SALU_CYCLE_1)
	v_cmp_eq_u32_e32 vcc_lo, 0, v8
	ds_store_2addr_b64 v9, v[38:39], v[36:37] offset1:4
	v_add_nc_u32_e32 v9, 64, v9
	s_or_b32 s29, vcc_lo, s29
	s_and_not1_b32 exec_lo, exec_lo, s29
	s_cbranch_execnz .LBB55_79
; %bb.80:                               ;   in Loop: Header=BB55_70 Depth=2
	s_or_b32 exec_lo, exec_lo, s29
	s_mov_b32 s29, 0
                                        ; implicit-def: $vgpr5
                                        ; implicit-def: $vgpr6
	s_and_saveexec_b32 s39, s4
; %bb.81:                               ;   in Loop: Header=BB55_70 Depth=2
	v_mul_lo_u32 v6, 0x88, v22
	v_lshlrev_b32_e32 v5, 3, v22
	s_mov_b32 s29, exec_lo
; %bb.82:                               ;   in Loop: Header=BB55_70 Depth=2
	s_or_b32 exec_lo, exec_lo, s39
	v_mov_b32_e32 v4, v22
	s_or_not1_b32 s29, s29, exec_lo
.LBB55_83:                              ;   in Loop: Header=BB55_70 Depth=2
	s_or_b32 exec_lo, exec_lo, s28
	s_delay_alu instid0(SALU_CYCLE_1)
	s_and_b32 exec_lo, exec_lo, s29
	s_cbranch_execz .LBB55_69
; %bb.84:                               ;   in Loop: Header=BB55_70 Depth=2
	s_delay_alu instid0(VALU_DEP_1)
	v_dual_add_nc_u32 v5, v29, v5 :: v_dual_add_nc_u32 v6, s24, v6
	s_mov_b32 s28, 0
.LBB55_85:                              ;   Parent Loop BB55_10 Depth=1
                                        ;     Parent Loop BB55_70 Depth=2
                                        ; =>    This Inner Loop Header: Depth=3
	ds_load_b64 v[8:9], v6 offset:4352
	ds_load_b64 v[34:35], v5
	v_add_nc_u32_e32 v6, 0x220, v6
	s_wait_dscnt 0x0
	v_pk_fma_f32 v[34:35], v[2:3], v[8:9], v[34:35] op_sel_hi:[1,0,1]
	s_delay_alu instid0(VALU_DEP_1) | instskip(NEXT) | instid1(VALU_DEP_1)
	v_pk_fma_f32 v[8:9], v[2:3], v[8:9], v[34:35] op_sel:[0,1,1] op_sel_hi:[1,1,0] neg_lo:[0,1,0]
	v_dual_add_nc_u32 v4, 4, v4 :: v_dual_mov_b32 v34, v9
	s_delay_alu instid0(VALU_DEP_2) | instskip(NEXT) | instid1(VALU_DEP_2)
	v_mov_b32_e32 v35, v8
	v_cmp_le_i32_e32 vcc_lo, s30, v4
	ds_store_b64 v5, v[34:35]
	v_add_nc_u32_e32 v5, 32, v5
	s_or_b32 s28, vcc_lo, s28
	s_delay_alu instid0(SALU_CYCLE_1)
	s_and_not1_b32 exec_lo, exec_lo, s28
	s_cbranch_execnz .LBB55_85
	s_branch .LBB55_69
.LBB55_86:                              ;   in Loop: Header=BB55_10 Depth=1
	s_and_saveexec_b32 s24, s0
	s_cbranch_execz .LBB55_9
; %bb.87:                               ;   in Loop: Header=BB55_10 Depth=1
	v_dual_mov_b32 v2, v30 :: v_dual_mov_b32 v3, v10
	s_mov_b32 s25, 0
	s_branch .LBB55_91
.LBB55_88:                              ;   in Loop: Header=BB55_91 Depth=2
	v_add_nc_u32_e32 v4, v27, v3
.LBB55_89:                              ;   in Loop: Header=BB55_91 Depth=2
	ds_load_b64 v[6:7], v2
	s_wait_dscnt 0x0
	global_store_b64 v4, v[6:7], s[20:21] scale_offset
.LBB55_90:                              ;   in Loop: Header=BB55_91 Depth=2
	s_wait_xcnt 0x0
	s_or_b32 exec_lo, exec_lo, s26
	v_dual_add_nc_u32 v3, 4, v3 :: v_dual_add_nc_u32 v2, 32, v2
	s_delay_alu instid0(VALU_DEP_1) | instskip(SKIP_1) | instid1(SALU_CYCLE_1)
	v_cmp_le_i32_e32 vcc_lo, s30, v3
	s_or_b32 s25, vcc_lo, s25
	s_and_not1_b32 exec_lo, exec_lo, s25
	s_cbranch_execz .LBB55_9
.LBB55_91:                              ;   Parent Loop BB55_10 Depth=1
                                        ; =>  This Inner Loop Header: Depth=2
	s_and_saveexec_b32 s26, s1
	s_cbranch_execz .LBB55_90
; %bb.92:                               ;   in Loop: Header=BB55_91 Depth=2
	s_and_b32 vcc_lo, exec_lo, s34
	s_cbranch_vccz .LBB55_94
; %bb.93:                               ;   in Loop: Header=BB55_91 Depth=2
	v_add_nc_u32_e32 v4, s23, v3
	s_delay_alu instid0(VALU_DEP_1)
	v_mad_u32 v4, v4, s30, v11
	s_cbranch_execnz .LBB55_89
	s_branch .LBB55_88
.LBB55_94:                              ;   in Loop: Header=BB55_91 Depth=2
                                        ; implicit-def: $vgpr4
	s_branch .LBB55_88
.LBB55_95:                              ;   in Loop: Header=BB55_10 Depth=1
                                        ; implicit-def: $sgpr22
                                        ; implicit-def: $vgpr27
	s_cbranch_execz .LBB55_10
.LBB55_96:
	v_cmp_gt_i32_e64 s0, s30, v10
	s_and_saveexec_b32 s2, s0
	s_cbranch_execz .LBB55_109
; %bb.97:
	s_mul_i32 s3, s13, s30
	v_cmp_gt_i32_e64 s1, s30, v11
	v_dual_add_nc_u32 v0, s3, v11 :: v_dual_mov_b32 v4, v10
	s_cmp_lg_u32 s31, 0
	s_mov_b32 s4, 0
	s_cselect_b32 s8, -1, 0
	s_delay_alu instid0(VALU_DEP_1) | instskip(SKIP_1) | instid1(VALU_DEP_1)
	v_mul_lo_u32 v2, v0, s30
	v_lshlrev_b32_e32 v0, 3, v10
	v_add3_u32 v3, v12, v0, 0x1100
	s_branch .LBB55_99
.LBB55_98:                              ;   in Loop: Header=BB55_99 Depth=1
	s_wait_xcnt 0x0
	s_or_b32 exec_lo, exec_lo, s16
	v_add_nc_u32_e32 v4, 4, v4
	s_wait_loadcnt 0x0
	ds_store_b64 v3, v[0:1]
	v_add_nc_u32_e32 v3, 32, v3
	v_cmp_le_i32_e32 vcc_lo, s30, v4
	s_or_b32 s4, vcc_lo, s4
	s_delay_alu instid0(SALU_CYCLE_1)
	s_and_not1_b32 exec_lo, exec_lo, s4
	s_cbranch_execz .LBB55_109
.LBB55_99:                              ; =>This Inner Loop Header: Depth=1
	s_and_b32 vcc_lo, exec_lo, s8
	s_cbranch_vccz .LBB55_106
; %bb.100:                              ;   in Loop: Header=BB55_99 Depth=1
	s_mov_b32 s16, 0
	s_mov_b32 s9, 0
                                        ; implicit-def: $vgpr5
	s_and_saveexec_b32 s17, s1
	s_delay_alu instid0(SALU_CYCLE_1)
	s_xor_b32 s17, exec_lo, s17
; %bb.101:                              ;   in Loop: Header=BB55_99 Depth=1
	v_add_nc_u32_e32 v0, s3, v4
	s_mov_b32 s9, exec_lo
	s_delay_alu instid0(VALU_DEP_1)
	v_mad_u32 v5, v0, s30, v11
; %bb.102:                              ;   in Loop: Header=BB55_99 Depth=1
	s_or_b32 exec_lo, exec_lo, s17
	s_delay_alu instid0(SALU_CYCLE_1)
	s_and_b32 vcc_lo, exec_lo, s16
	s_cbranch_vccz .LBB55_107
.LBB55_103:                             ;   in Loop: Header=BB55_99 Depth=1
                                        ; implicit-def: $vgpr5
	s_and_saveexec_b32 s16, s1
; %bb.104:                              ;   in Loop: Header=BB55_99 Depth=1
	s_delay_alu instid0(VALU_DEP_3)
	v_add_nc_u32_e32 v5, v2, v4
	s_or_b32 s9, s9, exec_lo
; %bb.105:                              ;   in Loop: Header=BB55_99 Depth=1
	s_or_b32 exec_lo, exec_lo, s16
	v_dual_mov_b32 v0, 0 :: v_dual_mov_b32 v1, 0
	s_and_saveexec_b32 s16, s9
	s_cbranch_execz .LBB55_98
	s_branch .LBB55_108
.LBB55_106:                             ;   in Loop: Header=BB55_99 Depth=1
	s_mov_b32 s9, 0
                                        ; implicit-def: $vgpr5
	s_cbranch_execnz .LBB55_103
.LBB55_107:                             ;   in Loop: Header=BB55_99 Depth=1
	v_dual_mov_b32 v0, 0 :: v_dual_mov_b32 v1, 0
	s_and_saveexec_b32 s16, s9
	s_cbranch_execz .LBB55_98
.LBB55_108:                             ;   in Loop: Header=BB55_99 Depth=1
	global_load_b64 v[0:1], v5, s[20:21] scale_offset
	s_branch .LBB55_98
.LBB55_109:
	s_or_b32 exec_lo, exec_lo, s2
	s_cmp_lt_i32 s30, 1
	s_wait_loadcnt_dscnt 0x0
	s_cbranch_scc1 .LBB55_135
; %bb.110:
	s_movk_i32 s4, 0x88
	v_lshlrev_b32_e32 v2, 3, v11
	v_mad_u32_u24 v8, v11, s4, 0x1100
	v_lshrrev_b32_e32 v0, 2, v15
	s_movk_i32 s1, 0x1980
	v_cmp_lt_u32_e64 s2, 3, v15
	v_mad_u32_u24 v16, 0x88, v11, s1
	s_delay_alu instid0(VALU_DEP_3)
	v_dual_add_nc_u32 v18, v8, v2 :: v_dual_add_nc_u32 v0, 1, v0
	v_or_b32_e32 v1, v10, v11
	v_mad_u32_u24 v15, v10, s4, 0x1100
	v_add3_u32 v21, v12, v13, 0x1980
	s_mov_b32 s8, 0
	v_and_b32_e32 v9, 0x7ffffffe, v0
	v_cmp_ne_u32_e64 s1, 0, v1
	v_mov_b32_e32 v1, 0
	s_add_co_i32 s9, s12, s5
	s_mov_b32 s16, 0
	v_lshl_add_u32 v17, v9, 2, v10
	v_add_nc_u32_e32 v19, v16, v2
	v_cmp_ne_u32_e64 s3, v0, v9
	s_delay_alu instid0(VALU_DEP_3)
	v_mul_lo_u32 v20, 0x88, v17
	v_lshlrev_b32_e32 v22, 3, v17
	s_branch .LBB55_112
.LBB55_111:                             ;   in Loop: Header=BB55_112 Depth=1
	s_or_b32 exec_lo, exec_lo, s4
	v_add_nc_u32_e32 v15, 8, v15
	s_add_co_i32 s16, s16, 1
	s_add_co_i32 s8, s8, 8
	s_cmp_eq_u32 s16, s30
	s_wait_storecnt_dscnt 0x0
	s_cbranch_scc1 .LBB55_135
.LBB55_112:                             ; =>This Loop Header: Depth=1
                                        ;     Child Loop BB55_128 Depth 2
                                        ;     Child Loop BB55_134 Depth 2
	s_mov_b32 s17, exec_lo
	v_cmpx_eq_u32_e64 s16, v11
	s_cbranch_execz .LBB55_120
; %bb.113:                              ;   in Loop: Header=BB55_112 Depth=1
	ds_load_b64 v[2:3], v18
	ds_load_b64 v[4:5], v19
	s_mov_b32 s4, exec_lo
	s_wait_dscnt 0x0
	v_dual_sub_f32 v0, v2, v4 :: v_dual_sub_f32 v4, v3, v5
                                        ; implicit-def: $vgpr3
	s_delay_alu instid0(VALU_DEP_1) | instskip(SKIP_1) | instid1(VALU_DEP_3)
	v_cmp_gt_f32_e32 vcc_lo, 0, v0
	v_cndmask_b32_e64 v0, v0, -v0, vcc_lo
	v_cmp_gt_f32_e32 vcc_lo, 0, v4
	v_cndmask_b32_e64 v2, v4, -v4, vcc_lo
	s_delay_alu instid0(VALU_DEP_1)
	v_cmpx_ngt_f32_e32 v0, v2
	s_xor_b32 s18, exec_lo, s4
	s_cbranch_execz .LBB55_117
; %bb.114:                              ;   in Loop: Header=BB55_112 Depth=1
	v_mov_b32_e32 v3, 0
	s_mov_b32 s19, exec_lo
	v_cmpx_neq_f32_e32 0, v4
	s_cbranch_execz .LBB55_116
; %bb.115:                              ;   in Loop: Header=BB55_112 Depth=1
	v_div_scale_f32 v3, null, v2, v2, v0
	v_div_scale_f32 v6, vcc_lo, v0, v2, v0
	s_delay_alu instid0(VALU_DEP_2) | instskip(SKIP_1) | instid1(TRANS32_DEP_1)
	v_rcp_f32_e32 v4, v3
	v_nop
	v_fma_f32 v5, -v3, v4, 1.0
	s_delay_alu instid0(VALU_DEP_1) | instskip(NEXT) | instid1(VALU_DEP_1)
	v_fmac_f32_e32 v4, v5, v4
	v_mul_f32_e32 v5, v6, v4
	s_delay_alu instid0(VALU_DEP_1) | instskip(NEXT) | instid1(VALU_DEP_1)
	v_fma_f32 v7, -v3, v5, v6
	v_fmac_f32_e32 v5, v7, v4
	s_delay_alu instid0(VALU_DEP_1) | instskip(NEXT) | instid1(VALU_DEP_1)
	v_fma_f32 v3, -v3, v5, v6
	v_div_fmas_f32 v3, v3, v4, v5
	s_delay_alu instid0(VALU_DEP_1) | instskip(NEXT) | instid1(VALU_DEP_1)
	v_div_fixup_f32 v0, v3, v2, v0
	v_fma_f32 v0, v0, v0, 1.0
	s_delay_alu instid0(VALU_DEP_1) | instskip(SKIP_1) | instid1(VALU_DEP_2)
	v_mul_f32_e32 v3, 0x4f800000, v0
	v_cmp_gt_f32_e32 vcc_lo, 0xf800000, v0
	v_cndmask_b32_e32 v0, v0, v3, vcc_lo
	s_delay_alu instid0(VALU_DEP_1) | instskip(SKIP_1) | instid1(TRANS32_DEP_1)
	v_sqrt_f32_e32 v3, v0
	v_nop
	v_dual_add_nc_u32 v4, -1, v3 :: v_dual_add_nc_u32 v5, 1, v3
	s_delay_alu instid0(VALU_DEP_1) | instskip(NEXT) | instid1(VALU_DEP_1)
	v_fma_f32 v6, -v4, v3, v0
	v_cmp_ge_f32_e64 s4, 0, v6
	s_delay_alu instid0(VALU_DEP_1) | instskip(NEXT) | instid1(VALU_DEP_1)
	v_dual_fma_f32 v7, -v5, v3, v0 :: v_dual_cndmask_b32 v3, v3, v4, s4
	v_cmp_lt_f32_e64 s4, 0, v7
	s_delay_alu instid0(VALU_DEP_1) | instskip(NEXT) | instid1(VALU_DEP_1)
	v_cndmask_b32_e64 v3, v3, v5, s4
	v_mul_f32_e32 v4, 0x37800000, v3
	s_delay_alu instid0(VALU_DEP_1) | instskip(SKIP_1) | instid1(VALU_DEP_2)
	v_cndmask_b32_e32 v3, v3, v4, vcc_lo
	v_cmp_class_f32_e64 vcc_lo, v0, 0x260
	v_cndmask_b32_e32 v0, v3, v0, vcc_lo
	s_delay_alu instid0(VALU_DEP_1)
	v_mul_f32_e32 v3, v2, v0
.LBB55_116:                             ;   in Loop: Header=BB55_112 Depth=1
	s_or_b32 exec_lo, exec_lo, s19
                                        ; implicit-def: $vgpr0
                                        ; implicit-def: $vgpr2
.LBB55_117:                             ;   in Loop: Header=BB55_112 Depth=1
	s_and_not1_saveexec_b32 s18, s18
	s_cbranch_execz .LBB55_119
; %bb.118:                              ;   in Loop: Header=BB55_112 Depth=1
	v_div_scale_f32 v3, null, v0, v0, v2
	v_div_scale_f32 v6, vcc_lo, v2, v0, v2
	s_delay_alu instid0(VALU_DEP_2) | instskip(SKIP_1) | instid1(TRANS32_DEP_1)
	v_rcp_f32_e32 v4, v3
	v_nop
	v_fma_f32 v5, -v3, v4, 1.0
	s_delay_alu instid0(VALU_DEP_1) | instskip(NEXT) | instid1(VALU_DEP_1)
	v_fmac_f32_e32 v4, v5, v4
	v_mul_f32_e32 v5, v6, v4
	s_delay_alu instid0(VALU_DEP_1) | instskip(NEXT) | instid1(VALU_DEP_1)
	v_fma_f32 v7, -v3, v5, v6
	v_fmac_f32_e32 v5, v7, v4
	s_delay_alu instid0(VALU_DEP_1) | instskip(NEXT) | instid1(VALU_DEP_1)
	v_fma_f32 v3, -v3, v5, v6
	v_div_fmas_f32 v3, v3, v4, v5
	s_delay_alu instid0(VALU_DEP_1) | instskip(NEXT) | instid1(VALU_DEP_1)
	v_div_fixup_f32 v2, v3, v0, v2
	v_fma_f32 v2, v2, v2, 1.0
	s_delay_alu instid0(VALU_DEP_1) | instskip(SKIP_1) | instid1(VALU_DEP_2)
	v_mul_f32_e32 v3, 0x4f800000, v2
	v_cmp_gt_f32_e32 vcc_lo, 0xf800000, v2
	v_cndmask_b32_e32 v2, v2, v3, vcc_lo
	s_delay_alu instid0(VALU_DEP_1) | instskip(SKIP_1) | instid1(TRANS32_DEP_1)
	v_sqrt_f32_e32 v3, v2
	v_nop
	v_dual_add_nc_u32 v4, -1, v3 :: v_dual_add_nc_u32 v5, 1, v3
	s_delay_alu instid0(VALU_DEP_1) | instskip(NEXT) | instid1(VALU_DEP_1)
	v_fma_f32 v6, -v4, v3, v2
	v_cmp_ge_f32_e64 s4, 0, v6
	s_delay_alu instid0(VALU_DEP_1) | instskip(NEXT) | instid1(VALU_DEP_1)
	v_dual_fma_f32 v7, -v5, v3, v2 :: v_dual_cndmask_b32 v3, v3, v4, s4
	v_cmp_lt_f32_e64 s4, 0, v7
	s_delay_alu instid0(VALU_DEP_1) | instskip(NEXT) | instid1(VALU_DEP_1)
	v_cndmask_b32_e64 v3, v3, v5, s4
	v_mul_f32_e32 v4, 0x37800000, v3
	s_delay_alu instid0(VALU_DEP_1) | instskip(SKIP_1) | instid1(VALU_DEP_2)
	v_cndmask_b32_e32 v3, v3, v4, vcc_lo
	v_cmp_class_f32_e64 vcc_lo, v2, 0x260
	v_cndmask_b32_e32 v2, v3, v2, vcc_lo
	s_delay_alu instid0(VALU_DEP_1)
	v_mul_f32_e32 v3, v0, v2
.LBB55_119:                             ;   in Loop: Header=BB55_112 Depth=1
	s_or_b32 exec_lo, exec_lo, s18
	s_delay_alu instid0(VALU_DEP_1) | instskip(SKIP_1) | instid1(VALU_DEP_2)
	v_mul_f32_e32 v0, 0x4f800000, v3
	v_cmp_gt_f32_e32 vcc_lo, 0xf800000, v3
	v_cndmask_b32_e32 v0, v3, v0, vcc_lo
	s_delay_alu instid0(VALU_DEP_1) | instskip(SKIP_1) | instid1(TRANS32_DEP_1)
	v_sqrt_f32_e32 v2, v0
	v_nop
	v_dual_add_nc_u32 v3, -1, v2 :: v_dual_add_nc_u32 v4, 1, v2
	s_delay_alu instid0(VALU_DEP_1) | instskip(NEXT) | instid1(VALU_DEP_1)
	v_dual_fma_f32 v5, -v3, v2, v0 :: v_dual_fma_f32 v6, -v4, v2, v0
	v_cmp_ge_f32_e64 s4, 0, v5
	s_delay_alu instid0(VALU_DEP_1) | instskip(NEXT) | instid1(VALU_DEP_3)
	v_cndmask_b32_e64 v2, v2, v3, s4
	v_cmp_lt_f32_e64 s4, 0, v6
	s_delay_alu instid0(VALU_DEP_1) | instskip(NEXT) | instid1(VALU_DEP_1)
	v_cndmask_b32_e64 v2, v2, v4, s4
	v_mul_f32_e32 v3, 0x37800000, v2
	s_delay_alu instid0(VALU_DEP_1) | instskip(SKIP_1) | instid1(VALU_DEP_2)
	v_cndmask_b32_e32 v2, v2, v3, vcc_lo
	v_cmp_class_f32_e64 vcc_lo, v0, 0x260
	v_cndmask_b32_e32 v0, v2, v0, vcc_lo
	ds_store_b64 v18, v[0:1]
.LBB55_120:                             ;   in Loop: Header=BB55_112 Depth=1
	s_or_b32 exec_lo, exec_lo, s17
	s_lshl_b32 s4, s16, 3
	s_mul_i32 s17, s16, 0x88
	s_wait_dscnt 0x0
	s_add_co_i32 s17, s17, s4
	s_delay_alu instid0(SALU_CYCLE_1)
	v_dual_mov_b32 v0, s17 :: v_dual_add_nc_u32 v5, s4, v8
	ds_load_b64 v[2:3], v0 offset:4352
	s_wait_dscnt 0x0
	v_readfirstlane_b32 s17, v2
	v_readfirstlane_b32 s4, v3
	ds_load_b64 v[2:3], v5
	s_cmp_neq_f32 s17, 0
	s_cselect_b32 s18, -1, 0
	s_cmp_neq_f32 s4, 0
	s_cselect_b32 s19, -1, 0
	s_delay_alu instid0(SALU_CYCLE_1) | instskip(NEXT) | instid1(SALU_CYCLE_1)
	s_or_b32 s18, s18, s19
	s_nor_b32 s19, s18, s1
	s_and_b32 s18, s18, exec_lo
	s_cselect_b32 s4, s4, 0
	s_cselect_b32 s17, s17, 1.0
	s_delay_alu instid0(SALU_CYCLE_1)
	v_dual_mov_b32 v4, s4 :: v_dual_mov_b32 v0, s17
	s_and_saveexec_b32 s4, s19
	s_cbranch_execz .LBB55_124
; %bb.121:                              ;   in Loop: Header=BB55_112 Depth=1
	v_mbcnt_lo_u32_b32 v0, exec_lo, 0
	s_mov_b32 s17, exec_lo
	s_delay_alu instid0(VALU_DEP_1)
	v_cmpx_eq_u32_e32 0, v0
	s_cbranch_execz .LBB55_123
; %bb.122:                              ;   in Loop: Header=BB55_112 Depth=1
	v_mov_b32_e32 v0, s9
	global_atomic_min_i32 v1, v0, s[14:15] scope:SCOPE_DEV
.LBB55_123:                             ;   in Loop: Header=BB55_112 Depth=1
	s_wait_xcnt 0x0
	s_or_b32 exec_lo, exec_lo, s17
	v_dual_mov_b32 v0, 1.0 :: v_dual_mov_b32 v4, 0
.LBB55_124:                             ;   in Loop: Header=BB55_112 Depth=1
	s_or_b32 exec_lo, exec_lo, s4
	s_delay_alu instid0(SALU_CYCLE_1)
	s_mov_b32 s4, exec_lo
	v_cmpx_lt_u32_e64 s16, v11
	s_cbranch_execz .LBB55_111
; %bb.125:                              ;   in Loop: Header=BB55_112 Depth=1
	v_mul_f32_e32 v23, v4, v4
	v_lshl_add_u32 v6, s16, 3, v16
	s_wait_dscnt 0x0
	s_delay_alu instid0(VALU_DEP_2) | instskip(SKIP_2) | instid1(VALU_DEP_1)
	v_dual_mov_b32 v25, v2 :: v_dual_fmac_f32 v23, v0, v0
	ds_load_b64 v[6:7], v6
	v_div_scale_f32 v26, null, v23, v23, 1.0
	v_rcp_f32_e32 v27, v26
	v_nop
	s_delay_alu instid0(TRANS32_DEP_1) | instskip(NEXT) | instid1(VALU_DEP_1)
	v_fma_f32 v24, -v26, v27, 1.0
	v_dual_fmac_f32 v27, v24, v27 :: v_dual_mov_b32 v24, v3
	v_div_scale_f32 v28, vcc_lo, 1.0, v23, 1.0
	s_wait_dscnt 0x0
	s_delay_alu instid0(VALU_DEP_2) | instskip(NEXT) | instid1(VALU_DEP_2)
	v_pk_add_f32 v[2:3], v[24:25], v[6:7] op_sel:[0,1] op_sel_hi:[1,0] neg_lo:[0,1] neg_hi:[0,1]
	v_mul_f32_e32 v29, v28, v27
	s_delay_alu instid0(VALU_DEP_2) | instskip(NEXT) | instid1(VALU_DEP_2)
	v_pk_mul_f32 v[6:7], v[4:5], v[2:3] op_sel:[0,1] op_sel_hi:[0,0] neg_lo:[0,1]
	v_fma_f32 v30, -v26, v29, v28
	s_delay_alu instid0(VALU_DEP_2) | instskip(NEXT) | instid1(VALU_DEP_2)
	v_pk_fma_f32 v[2:3], v[2:3], v[0:1], v[6:7] op_sel_hi:[1,0,1]
	v_fmac_f32_e32 v29, v30, v27
	s_delay_alu instid0(VALU_DEP_1) | instskip(NEXT) | instid1(VALU_DEP_1)
	v_fma_f32 v24, -v26, v29, v28
	v_div_fmas_f32 v4, v24, v27, v29
	s_delay_alu instid0(VALU_DEP_1) | instskip(NEXT) | instid1(VALU_DEP_1)
	v_div_fixup_f32 v0, v4, v23, 1.0
	v_pk_mul_f32 v[2:3], v[0:1], v[2:3] op_sel_hi:[0,1]
	s_delay_alu instid0(VALU_DEP_1)
	v_dual_mov_b32 v6, v3 :: v_dual_mov_b32 v7, v2
	ds_store_b64 v5, v[6:7]
	s_wait_storecnt_dscnt 0x0
	s_and_b32 exec_lo, exec_lo, s0
	s_cbranch_execz .LBB55_111
; %bb.126:                              ;   in Loop: Header=BB55_112 Depth=1
	v_dual_mov_b32 v0, v10 :: v_dual_mov_b32 v6, v13
	v_mov_b32_e32 v7, v14
	s_mov_b32 s18, -1
	s_and_saveexec_b32 s17, s2
	s_cbranch_execz .LBB55_132
; %bb.127:                              ;   in Loop: Header=BB55_112 Depth=1
	v_dual_mov_b32 v4, v3 :: v_dual_mov_b32 v5, v3
	v_dual_mov_b32 v6, v2 :: v_dual_mov_b32 v7, v2
	;; [unrolled: 1-line block ×3, first 2 shown]
	v_mov_b32_e32 v24, v15
	s_mov_b32 s18, 0
.LBB55_128:                             ;   Parent Loop BB55_112 Depth=1
                                        ; =>  This Inner Loop Header: Depth=2
	ds_load_2addr_b64 v[26:29], v24 offset1:68
	ds_load_2addr_b64 v[30:33], v23 offset1:4
	v_add_nc_u32_e32 v24, 0x440, v24
	s_wait_dscnt 0x1
	v_dual_mov_b32 v34, v26 :: v_dual_mov_b32 v35, v28
	s_wait_dscnt 0x0
	v_dual_mov_b32 v36, v30 :: v_dual_mov_b32 v37, v32
	v_dual_mov_b32 v32, v31 :: v_dual_mov_b32 v28, v27
	s_delay_alu instid0(VALU_DEP_2) | instskip(NEXT) | instid1(VALU_DEP_2)
	v_pk_fma_f32 v[26:27], v[4:5], v[34:35], v[36:37]
	v_pk_fma_f32 v[30:31], v[6:7], v[34:35], v[32:33]
	s_delay_alu instid0(VALU_DEP_2) | instskip(NEXT) | instid1(VALU_DEP_2)
	v_pk_fma_f32 v[26:27], v[6:7], v[28:29], v[26:27]
	v_pk_fma_f32 v[28:29], v[4:5], v[28:29], v[30:31] neg_lo:[0,1,0] neg_hi:[0,1,0]
	s_delay_alu instid0(VALU_DEP_2) | instskip(NEXT) | instid1(VALU_DEP_2)
	v_dual_add_nc_u32 v0, -2, v0 :: v_dual_mov_b32 v30, v26
	v_dual_mov_b32 v31, v28 :: v_dual_mov_b32 v28, v27
	s_delay_alu instid0(VALU_DEP_2) | instskip(SKIP_3) | instid1(SALU_CYCLE_1)
	v_cmp_eq_u32_e32 vcc_lo, 0, v0
	ds_store_2addr_b64 v23, v[30:31], v[28:29] offset1:4
	v_add_nc_u32_e32 v23, 64, v23
	s_or_b32 s18, vcc_lo, s18
	s_and_not1_b32 exec_lo, exec_lo, s18
	s_cbranch_execnz .LBB55_128
; %bb.129:                              ;   in Loop: Header=BB55_112 Depth=1
	s_or_b32 exec_lo, exec_lo, s18
	s_mov_b32 s18, 0
	s_and_saveexec_b32 s19, s3
; %bb.130:                              ;   in Loop: Header=BB55_112 Depth=1
	s_mov_b32 s18, exec_lo
; %bb.131:                              ;   in Loop: Header=BB55_112 Depth=1
	s_or_b32 exec_lo, exec_lo, s19
	v_dual_mov_b32 v0, v17 :: v_dual_mov_b32 v6, v22
	v_mov_b32_e32 v7, v20
	s_or_not1_b32 s18, s18, exec_lo
.LBB55_132:                             ;   in Loop: Header=BB55_112 Depth=1
	s_or_b32 exec_lo, exec_lo, s17
	s_delay_alu instid0(SALU_CYCLE_1)
	s_and_b32 exec_lo, exec_lo, s18
	s_cbranch_execz .LBB55_111
; %bb.133:                              ;   in Loop: Header=BB55_112 Depth=1
	v_dual_mov_b32 v4, v3 :: v_dual_mov_b32 v5, v2
	v_dual_add_nc_u32 v6, v16, v6 :: v_dual_add_nc_u32 v7, s8, v7
	s_mov_b32 s17, 0
.LBB55_134:                             ;   Parent Loop BB55_112 Depth=1
                                        ; =>  This Inner Loop Header: Depth=2
	ds_load_b64 v[24:25], v7 offset:4352
	ds_load_b64 v[26:27], v6
	v_add_nc_u32_e32 v0, 4, v0
	v_add_nc_u32_e32 v7, 0x220, v7
	s_wait_dscnt 0x0
	v_pk_fma_f32 v[26:27], v[4:5], v[24:25], v[26:27] op_sel_hi:[1,0,1]
	s_delay_alu instid0(VALU_DEP_1) | instskip(SKIP_4) | instid1(SALU_CYCLE_1)
	v_pk_fma_f32 v[24:25], v[2:3], v[24:25], v[26:27] op_sel:[0,1,0] neg_hi:[0,1,0]
	ds_store_b64 v6, v[24:25]
	v_add_nc_u32_e32 v6, 32, v6
	v_cmp_le_i32_e32 vcc_lo, s30, v0
	s_or_b32 s17, vcc_lo, s17
	s_and_not1_b32 exec_lo, exec_lo, s17
	s_cbranch_execnz .LBB55_134
	s_branch .LBB55_111
.LBB55_135:
	s_and_saveexec_b32 s1, s0
	s_cbranch_execz .LBB55_144
; %bb.136:
	s_mul_i32 s13, s13, s30
	v_cmp_gt_i32_e64 s0, s30, v11
	v_dual_add_nc_u32 v0, s13, v11 :: v_dual_mov_b32 v2, v10
	v_add3_u32 v1, v12, v13, 0x1100
	s_cmp_lg_u32 s31, 0
	s_mov_b32 s2, 0
	s_delay_alu instid0(VALU_DEP_2)
	v_mul_lo_u32 v0, v0, s30
	s_cselect_b32 s3, -1, 0
	s_branch .LBB55_140
.LBB55_137:                             ;   in Loop: Header=BB55_140 Depth=1
	s_delay_alu instid0(VALU_DEP_1)
	v_add_nc_u32_e32 v3, v0, v2
.LBB55_138:                             ;   in Loop: Header=BB55_140 Depth=1
	ds_load_b64 v[4:5], v1
	s_wait_dscnt 0x0
	global_store_b64 v3, v[4:5], s[20:21] scale_offset
.LBB55_139:                             ;   in Loop: Header=BB55_140 Depth=1
	s_wait_xcnt 0x0
	s_or_b32 exec_lo, exec_lo, s4
	v_dual_add_nc_u32 v2, 4, v2 :: v_dual_add_nc_u32 v1, 32, v1
	s_delay_alu instid0(VALU_DEP_1) | instskip(SKIP_1) | instid1(SALU_CYCLE_1)
	v_cmp_le_i32_e32 vcc_lo, s30, v2
	s_or_b32 s2, vcc_lo, s2
	s_and_not1_b32 exec_lo, exec_lo, s2
	s_cbranch_execz .LBB55_144
.LBB55_140:                             ; =>This Inner Loop Header: Depth=1
	s_and_saveexec_b32 s4, s0
	s_cbranch_execz .LBB55_139
; %bb.141:                              ;   in Loop: Header=BB55_140 Depth=1
	s_and_b32 vcc_lo, exec_lo, s3
	s_cbranch_vccz .LBB55_143
; %bb.142:                              ;   in Loop: Header=BB55_140 Depth=1
	v_add_nc_u32_e32 v3, s13, v2
	s_delay_alu instid0(VALU_DEP_1)
	v_mad_u32 v3, v3, s30, v11
	s_cbranch_execnz .LBB55_138
	s_branch .LBB55_137
.LBB55_143:                             ;   in Loop: Header=BB55_140 Depth=1
                                        ; implicit-def: $vgpr3
	s_branch .LBB55_137
.LBB55_144:
	s_or_b32 exec_lo, exec_lo, s1
	v_or_b32_e32 v0, v10, v11
	s_mov_b32 s0, 0
	s_mov_b32 s1, exec_lo
	s_delay_alu instid0(VALU_DEP_1)
	v_cmpx_eq_u32_e32 0, v0
	s_cbranch_execz .LBB55_146
; %bb.145:
	v_dual_mov_b32 v0, 0 :: v_dual_mov_b32 v1, 1
	s_add_nc_u64 s[2:3], s[10:11], s[6:7]
	global_wb scope:SCOPE_DEV
	s_wait_storecnt 0x0
	global_store_b32 v0, v1, s[2:3] scope:SCOPE_DEV
.LBB55_146:
	s_wait_xcnt 0x0
	s_or_b32 exec_lo, exec_lo, s1
	s_delay_alu instid0(SALU_CYCLE_1)
	s_and_b32 vcc_lo, exec_lo, s0
	s_cbranch_vccnz .LBB55_149
.LBB55_147:
	s_endpgm
.LBB55_148:
	s_cbranch_execz .LBB55_147
.LBB55_149:
	v_or_b32_e32 v0, v10, v11
	s_mov_b32 s0, exec_lo
	s_delay_alu instid0(VALU_DEP_1)
	v_cmpx_eq_u32_e32 0, v0
	s_cbranch_execz .LBB55_147
; %bb.150:
	v_mbcnt_lo_u32_b32 v0, exec_lo, 0
	s_mov_b32 s0, exec_lo
	s_delay_alu instid0(VALU_DEP_1)
	v_cmpx_eq_u32_e32 0, v0
	s_cbranch_execz .LBB55_152
; %bb.151:
	s_add_co_i32 s1, s12, s5
	s_delay_alu instid0(SALU_CYCLE_1)
	v_dual_mov_b32 v0, 0 :: v_dual_mov_b32 v1, s1
	global_atomic_min_i32 v0, v1, s[14:15] scope:SCOPE_DEV
.LBB55_152:
	s_wait_xcnt 0x0
	s_or_b32 exec_lo, exec_lo, s0
	v_dual_mov_b32 v0, 0 :: v_dual_mov_b32 v1, 1
	s_add_nc_u64 s[0:1], s[10:11], s[6:7]
	global_wb scope:SCOPE_DEV
	s_wait_storecnt 0x0
	global_store_b32 v0, v1, s[0:1] scope:SCOPE_DEV
	s_endpgm
	.section	.rodata,"a",@progbits
	.p2align	6, 0x0
	.amdhsa_kernel _ZN9rocsparseL18bsric0_9_16_kernelILi64ELi128ELi16E21rocsparse_complex_numIfEEEv20rocsparse_direction_iiPKiS5_PT2_S5_PiS5_S8_21rocsparse_index_base_
		.amdhsa_group_segment_fixed_size 10240
		.amdhsa_private_segment_fixed_size 0
		.amdhsa_kernarg_size 76
		.amdhsa_user_sgpr_count 2
		.amdhsa_user_sgpr_dispatch_ptr 0
		.amdhsa_user_sgpr_queue_ptr 0
		.amdhsa_user_sgpr_kernarg_segment_ptr 1
		.amdhsa_user_sgpr_dispatch_id 0
		.amdhsa_user_sgpr_kernarg_preload_length 0
		.amdhsa_user_sgpr_kernarg_preload_offset 0
		.amdhsa_user_sgpr_private_segment_size 0
		.amdhsa_wavefront_size32 1
		.amdhsa_uses_dynamic_stack 0
		.amdhsa_enable_private_segment 0
		.amdhsa_system_sgpr_workgroup_id_x 1
		.amdhsa_system_sgpr_workgroup_id_y 0
		.amdhsa_system_sgpr_workgroup_id_z 0
		.amdhsa_system_sgpr_workgroup_info 0
		.amdhsa_system_vgpr_workitem_id 1
		.amdhsa_next_free_vgpr 113
		.amdhsa_next_free_sgpr 46
		.amdhsa_named_barrier_count 0
		.amdhsa_reserve_vcc 1
		.amdhsa_float_round_mode_32 0
		.amdhsa_float_round_mode_16_64 0
		.amdhsa_float_denorm_mode_32 3
		.amdhsa_float_denorm_mode_16_64 3
		.amdhsa_fp16_overflow 0
		.amdhsa_memory_ordered 1
		.amdhsa_forward_progress 1
		.amdhsa_inst_pref_size 45
		.amdhsa_round_robin_scheduling 0
		.amdhsa_exception_fp_ieee_invalid_op 0
		.amdhsa_exception_fp_denorm_src 0
		.amdhsa_exception_fp_ieee_div_zero 0
		.amdhsa_exception_fp_ieee_overflow 0
		.amdhsa_exception_fp_ieee_underflow 0
		.amdhsa_exception_fp_ieee_inexact 0
		.amdhsa_exception_int_div_zero 0
	.end_amdhsa_kernel
	.section	.text._ZN9rocsparseL18bsric0_9_16_kernelILi64ELi128ELi16E21rocsparse_complex_numIfEEEv20rocsparse_direction_iiPKiS5_PT2_S5_PiS5_S8_21rocsparse_index_base_,"axG",@progbits,_ZN9rocsparseL18bsric0_9_16_kernelILi64ELi128ELi16E21rocsparse_complex_numIfEEEv20rocsparse_direction_iiPKiS5_PT2_S5_PiS5_S8_21rocsparse_index_base_,comdat
.Lfunc_end55:
	.size	_ZN9rocsparseL18bsric0_9_16_kernelILi64ELi128ELi16E21rocsparse_complex_numIfEEEv20rocsparse_direction_iiPKiS5_PT2_S5_PiS5_S8_21rocsparse_index_base_, .Lfunc_end55-_ZN9rocsparseL18bsric0_9_16_kernelILi64ELi128ELi16E21rocsparse_complex_numIfEEEv20rocsparse_direction_iiPKiS5_PT2_S5_PiS5_S8_21rocsparse_index_base_
                                        ; -- End function
	.set _ZN9rocsparseL18bsric0_9_16_kernelILi64ELi128ELi16E21rocsparse_complex_numIfEEEv20rocsparse_direction_iiPKiS5_PT2_S5_PiS5_S8_21rocsparse_index_base_.num_vgpr, 46
	.set _ZN9rocsparseL18bsric0_9_16_kernelILi64ELi128ELi16E21rocsparse_complex_numIfEEEv20rocsparse_direction_iiPKiS5_PT2_S5_PiS5_S8_21rocsparse_index_base_.num_agpr, 0
	.set _ZN9rocsparseL18bsric0_9_16_kernelILi64ELi128ELi16E21rocsparse_complex_numIfEEEv20rocsparse_direction_iiPKiS5_PT2_S5_PiS5_S8_21rocsparse_index_base_.numbered_sgpr, 46
	.set _ZN9rocsparseL18bsric0_9_16_kernelILi64ELi128ELi16E21rocsparse_complex_numIfEEEv20rocsparse_direction_iiPKiS5_PT2_S5_PiS5_S8_21rocsparse_index_base_.num_named_barrier, 0
	.set _ZN9rocsparseL18bsric0_9_16_kernelILi64ELi128ELi16E21rocsparse_complex_numIfEEEv20rocsparse_direction_iiPKiS5_PT2_S5_PiS5_S8_21rocsparse_index_base_.private_seg_size, 0
	.set _ZN9rocsparseL18bsric0_9_16_kernelILi64ELi128ELi16E21rocsparse_complex_numIfEEEv20rocsparse_direction_iiPKiS5_PT2_S5_PiS5_S8_21rocsparse_index_base_.uses_vcc, 1
	.set _ZN9rocsparseL18bsric0_9_16_kernelILi64ELi128ELi16E21rocsparse_complex_numIfEEEv20rocsparse_direction_iiPKiS5_PT2_S5_PiS5_S8_21rocsparse_index_base_.uses_flat_scratch, 0
	.set _ZN9rocsparseL18bsric0_9_16_kernelILi64ELi128ELi16E21rocsparse_complex_numIfEEEv20rocsparse_direction_iiPKiS5_PT2_S5_PiS5_S8_21rocsparse_index_base_.has_dyn_sized_stack, 0
	.set _ZN9rocsparseL18bsric0_9_16_kernelILi64ELi128ELi16E21rocsparse_complex_numIfEEEv20rocsparse_direction_iiPKiS5_PT2_S5_PiS5_S8_21rocsparse_index_base_.has_recursion, 0
	.set _ZN9rocsparseL18bsric0_9_16_kernelILi64ELi128ELi16E21rocsparse_complex_numIfEEEv20rocsparse_direction_iiPKiS5_PT2_S5_PiS5_S8_21rocsparse_index_base_.has_indirect_call, 0
	.section	.AMDGPU.csdata,"",@progbits
; Kernel info:
; codeLenInByte = 5648
; TotalNumSgprs: 48
; NumVgprs: 46
; ScratchSize: 0
; MemoryBound: 0
; FloatMode: 240
; IeeeMode: 1
; LDSByteSize: 10240 bytes/workgroup (compile time only)
; SGPRBlocks: 0
; VGPRBlocks: 7
; NumSGPRsForWavesPerEU: 48
; NumVGPRsForWavesPerEU: 113
; NamedBarCnt: 0
; Occupancy: 8
; WaveLimiterHint : 1
; COMPUTE_PGM_RSRC2:SCRATCH_EN: 0
; COMPUTE_PGM_RSRC2:USER_SGPR: 2
; COMPUTE_PGM_RSRC2:TRAP_HANDLER: 0
; COMPUTE_PGM_RSRC2:TGID_X_EN: 1
; COMPUTE_PGM_RSRC2:TGID_Y_EN: 0
; COMPUTE_PGM_RSRC2:TGID_Z_EN: 0
; COMPUTE_PGM_RSRC2:TIDIG_COMP_CNT: 1
	.section	.text._ZN9rocsparseL19bsric0_17_32_kernelILi64ELi128ELi32E21rocsparse_complex_numIfEEEv20rocsparse_direction_iiPKiS5_PT2_S5_PiS5_S8_21rocsparse_index_base_,"axG",@progbits,_ZN9rocsparseL19bsric0_17_32_kernelILi64ELi128ELi32E21rocsparse_complex_numIfEEEv20rocsparse_direction_iiPKiS5_PT2_S5_PiS5_S8_21rocsparse_index_base_,comdat
	.globl	_ZN9rocsparseL19bsric0_17_32_kernelILi64ELi128ELi32E21rocsparse_complex_numIfEEEv20rocsparse_direction_iiPKiS5_PT2_S5_PiS5_S8_21rocsparse_index_base_ ; -- Begin function _ZN9rocsparseL19bsric0_17_32_kernelILi64ELi128ELi32E21rocsparse_complex_numIfEEEv20rocsparse_direction_iiPKiS5_PT2_S5_PiS5_S8_21rocsparse_index_base_
	.p2align	8
	.type	_ZN9rocsparseL19bsric0_17_32_kernelILi64ELi128ELi32E21rocsparse_complex_numIfEEEv20rocsparse_direction_iiPKiS5_PT2_S5_PiS5_S8_21rocsparse_index_base_,@function
_ZN9rocsparseL19bsric0_17_32_kernelILi64ELi128ELi32E21rocsparse_complex_numIfEEEv20rocsparse_direction_iiPKiS5_PT2_S5_PiS5_S8_21rocsparse_index_base_: ; @_ZN9rocsparseL19bsric0_17_32_kernelILi64ELi128ELi32E21rocsparse_complex_numIfEEEv20rocsparse_direction_iiPKiS5_PT2_S5_PiS5_S8_21rocsparse_index_base_
; %bb.0:
	s_load_b256 s[8:15], s[0:1], 0x28
	s_bfe_u32 s2, ttmp6, 0x4000c
	s_and_b32 s3, ttmp6, 15
	s_add_co_i32 s2, s2, 1
	s_getreg_b32 s4, hwreg(HW_REG_IB_STS2, 6, 4)
	s_mul_i32 s2, ttmp9, s2
	v_and_b32_e32 v10, 0x3ff, v0
	s_add_co_i32 s3, s3, s2
	s_cmp_eq_u32 s4, 0
	v_bfe_u32 v11, v0, 10, 10
	s_cselect_b32 s2, ttmp9, s3
	s_wait_kmcnt 0x0
	s_load_b32 s12, s[12:13], s2 offset:0x0 scale_offset
	s_wait_kmcnt 0x0
	s_ashr_i32 s13, s12, 31
	s_delay_alu instid0(SALU_CYCLE_1) | instskip(NEXT) | instid1(SALU_CYCLE_1)
	s_lshl_b64 s[6:7], s[12:13], 2
	s_add_nc_u64 s[2:3], s[8:9], s[6:7]
	s_load_b32 s13, s[2:3], 0x0
	s_load_b32 s5, s[0:1], 0x48
	s_wait_kmcnt 0x0
	s_cmp_lg_u32 s13, -1
	s_cbranch_scc0 .LBB56_138
; %bb.1:
	s_clause 0x1
	s_load_b128 s[16:19], s[0:1], 0x10
	s_load_b64 s[20:21], s[0:1], 0x20
	v_dual_lshlrev_b32 v0, 1, v11 :: v_dual_lshlrev_b32 v15, 3, v11
	s_wait_kmcnt 0x0
	s_add_nc_u64 s[2:3], s[16:17], s[6:7]
	s_load_b32 s2, s[2:3], 0x0
	s_wait_kmcnt 0x0
	s_sub_co_i32 s33, s2, s5
	s_mov_b32 s2, exec_lo
	v_add3_u32 v0, v0, v10, s33
	s_delay_alu instid0(VALU_DEP_1)
	v_cmpx_ge_i32_e64 s13, v0
	s_cbranch_execz .LBB56_4
; %bb.2:
	v_lshlrev_b32_e32 v1, 2, v10
	s_mov_b32 s3, 0
	s_delay_alu instid0(VALU_DEP_1)
	v_add3_u32 v1, v15, v1, 0x6700
.LBB56_3:                               ; =>This Inner Loop Header: Depth=1
	global_load_b32 v2, v0, s[18:19] scale_offset
	s_wait_xcnt 0x0
	v_add_nc_u32_e32 v0, 64, v0
	s_delay_alu instid0(VALU_DEP_1)
	v_cmp_lt_i32_e32 vcc_lo, s13, v0
	s_or_b32 s3, vcc_lo, s3
	s_wait_loadcnt 0x0
	v_subrev_nc_u32_e32 v2, s5, v2
	ds_store_b32 v1, v2
	v_add_nc_u32_e32 v1, 0x100, v1
	s_and_not1_b32 exec_lo, exec_lo, s3
	s_cbranch_execnz .LBB56_3
.LBB56_4:
	s_or_b32 exec_lo, exec_lo, s2
	v_mul_u32_u24_e32 v12, 0x108, v11
	v_lshlrev_b32_e32 v13, 3, v10
	s_mov_b32 s2, exec_lo
	v_cmpx_gt_u32_e32 32, v10
	s_cbranch_execz .LBB56_7
; %bb.5:
	v_dual_lshlrev_b32 v3, 3, v10 :: v_dual_add_nc_u32 v2, -2, v10
	v_mov_b64_e32 v[0:1], 0
	s_mov_b32 s3, 0
	s_delay_alu instid0(VALU_DEP_2)
	v_add3_u32 v3, v12, v3, 0x4200
.LBB56_6:                               ; =>This Inner Loop Header: Depth=1
	s_delay_alu instid0(VALU_DEP_3) | instskip(SKIP_4) | instid1(SALU_CYCLE_1)
	v_add_nc_u32_e32 v2, 2, v2
	ds_store_b64 v3, v[0:1]
	v_add_nc_u32_e32 v3, 16, v3
	v_cmp_lt_u32_e32 vcc_lo, 29, v2
	s_or_b32 s3, vcc_lo, s3
	s_and_not1_b32 exec_lo, exec_lo, s3
	s_cbranch_execnz .LBB56_6
.LBB56_7:
	s_or_b32 exec_lo, exec_lo, s2
	s_clause 0x1
	s_load_b32 s30, s[0:1], 0x8
	s_load_b32 s31, s[0:1], 0x0
	v_mul_u32_u24_e32 v14, 0x108, v10
	s_cmp_ge_i32 s33, s13
	s_wait_dscnt 0x0
	s_wait_kmcnt 0x0
	v_cmp_gt_i32_e64 s0, s30, v10
	v_xad_u32 v16, v10, -1, s30
	s_cbranch_scc1 .LBB56_86
; %bb.8:
	s_delay_alu instid0(VALU_DEP_1) | instskip(SKIP_3) | instid1(VALU_DEP_4)
	v_dual_lshrrev_b32 v0, 1, v16 :: v_dual_bitop2_b32 v2, v10, v11 bitop3:0x54
	v_mad_u32 v1, s30, s33, v11
	v_mul_lo_u32 v18, s30, v11
	v_mul_lo_u32 v23, v10, s30
	v_dual_add_nc_u32 v0, 1, v0 :: v_dual_lshlrev_b32 v20, 3, v10
	s_movk_i32 s22, 0x2100
	s_cmp_eq_u32 s31, 0
	v_mad_u32_u24 v17, 0x108, v11, s22
	s_delay_alu instid0(VALU_DEP_2) | instskip(SKIP_3) | instid1(VALU_DEP_4)
	v_dual_mov_b32 v31, 0 :: v_dual_bitop2_b32 v19, -2, v0 bitop3:0x40
	v_mad_u32_u24 v22, 0x108, v11, v20
	v_mul_lo_u32 v26, s30, v1
	v_mad_u32_u24 v25, 0x108, v10, s22
	v_lshl_add_u32 v21, v19, 1, v10
	v_cmp_ne_u32_e64 s4, v0, v19
	s_movk_i32 s22, 0x4200
	v_mov_b64_e32 v[0:1], 0
	s_cselect_b32 s34, -1, 0
	v_mul_lo_u32 v30, 0x108, v21
	s_cmp_lg_u32 s31, 0
	v_cmp_gt_i32_e64 s1, s30, v11
	v_cmp_ne_u32_e64 s2, 0, v2
	v_cmp_lt_u32_e64 s3, 1, v16
	v_mul_u32_u24_e32 v24, 0x108, v10
	v_add_nc_u32_e32 v27, 0x4200, v22
	v_mad_u32_u24 v28, 0x108, v11, s22
	v_add_nc_u32_e32 v29, 0x2100, v22
	v_lshlrev_b32_e32 v32, 3, v21
	s_cselect_b32 s35, -1, 0
	s_cmp_gt_i32 s30, 0
	s_mul_i32 s37, s30, s30
	s_cselect_b32 s36, -1, 0
	s_lshl_b32 s38, s30, 1
	s_mov_b32 s22, s33
	s_branch .LBB56_10
.LBB56_9:                               ;   in Loop: Header=BB56_10 Depth=1
	s_or_b32 exec_lo, exec_lo, s24
	s_add_co_i32 s22, s22, 1
	v_add_nc_u32_e32 v26, s37, v26
	s_cmp_ge_i32 s22, s13
	global_wb scope:SCOPE_DEV
	s_wait_storecnt 0x0
	global_inv scope:SCOPE_DEV
	s_cselect_b32 s23, -1, 0
	s_delay_alu instid0(SALU_CYCLE_1)
	s_and_b32 vcc_lo, exec_lo, s23
	s_cbranch_vccnz .LBB56_86
.LBB56_10:                              ; =>This Loop Header: Depth=1
                                        ;     Child Loop BB56_14 Depth 2
                                        ;     Child Loop BB56_26 Depth 2
	;; [unrolled: 1-line block ×4, first 2 shown]
                                        ;       Child Loop BB56_43 Depth 3
                                        ;         Child Loop BB56_48 Depth 4
                                        ;     Child Loop BB56_57 Depth 2
                                        ;       Child Loop BB56_64 Depth 3
                                        ;       Child Loop BB56_69 Depth 3
	;; [unrolled: 1-line block ×3, first 2 shown]
                                        ;     Child Loop BB56_80 Depth 2
	s_ashr_i32 s23, s22, 31
	s_delay_alu instid0(SALU_CYCLE_1) | instskip(NEXT) | instid1(SALU_CYCLE_1)
	s_lshl_b64 s[24:25], s[22:23], 2
	s_add_nc_u64 s[24:25], s[18:19], s[24:25]
	s_load_b32 s39, s[24:25], 0x0
	s_wait_kmcnt 0x0
	s_sub_co_i32 s26, s39, s5
	s_delay_alu instid0(SALU_CYCLE_1) | instskip(SKIP_2) | instid1(SALU_CYCLE_1)
	s_ashr_i32 s27, s26, 31
	s_wait_xcnt 0x0
	s_lshl_b64 s[24:25], s[26:27], 2
	s_add_nc_u64 s[28:29], s[8:9], s[24:25]
	s_load_b32 s27, s[28:29], 0x0
	s_wait_kmcnt 0x0
	s_cmp_eq_u32 s27, -1
	s_cbranch_scc1 .LBB56_85
; %bb.11:                               ;   in Loop: Header=BB56_10 Depth=1
	s_wait_xcnt 0x0
	s_add_nc_u64 s[28:29], s[16:17], s[24:25]
	s_mul_i32 s23, s22, s30
	s_load_b32 s28, s[28:29], 0x0
	s_wait_xcnt 0x0
	s_and_saveexec_b32 s29, s0
	s_cbranch_execz .LBB56_24
; %bb.12:                               ;   in Loop: Header=BB56_10 Depth=1
	v_dual_mov_b32 v4, v22 :: v_dual_mov_b32 v5, v10
	s_mov_b32 s40, 0
	s_branch .LBB56_14
.LBB56_13:                              ;   in Loop: Header=BB56_14 Depth=2
	s_wait_xcnt 0x0
	s_or_b32 exec_lo, exec_lo, s42
	v_add_nc_u32_e32 v5, 2, v5
	s_wait_loadcnt 0x0
	ds_store_b64 v4, v[2:3] offset:8448
	ds_store_b64 v4, v[0:1]
	v_add_nc_u32_e32 v4, 16, v4
	v_cmp_le_i32_e32 vcc_lo, s30, v5
	s_or_b32 s40, vcc_lo, s40
	s_delay_alu instid0(SALU_CYCLE_1)
	s_and_not1_b32 exec_lo, exec_lo, s40
	s_cbranch_execz .LBB56_24
.LBB56_14:                              ;   Parent Loop BB56_10 Depth=1
                                        ; =>  This Inner Loop Header: Depth=2
	s_mov_b32 s42, -1
	s_and_b32 vcc_lo, exec_lo, s35
	s_mov_b32 s41, 0
                                        ; implicit-def: $vgpr6
	s_cbranch_vccz .LBB56_19
; %bb.15:                               ;   in Loop: Header=BB56_14 Depth=2
	s_mov_b32 s42, 0
                                        ; implicit-def: $vgpr6
	s_and_saveexec_b32 s43, s1
	s_delay_alu instid0(SALU_CYCLE_1)
	s_xor_b32 s43, exec_lo, s43
; %bb.16:                               ;   in Loop: Header=BB56_14 Depth=2
	v_add_nc_u32_e32 v2, s23, v5
	s_mov_b32 s41, exec_lo
	s_delay_alu instid0(VALU_DEP_1)
	v_mad_u32 v6, v2, s30, v11
; %bb.17:                               ;   in Loop: Header=BB56_14 Depth=2
	s_or_b32 exec_lo, exec_lo, s43
	s_delay_alu instid0(SALU_CYCLE_1)
	s_and_b32 vcc_lo, exec_lo, s42
	s_cbranch_vccnz .LBB56_20
.LBB56_18:                              ;   in Loop: Header=BB56_14 Depth=2
	v_dual_mov_b32 v2, 0 :: v_dual_mov_b32 v3, 0
	s_and_saveexec_b32 s42, s41
	s_cbranch_execz .LBB56_13
	s_branch .LBB56_23
.LBB56_19:                              ;   in Loop: Header=BB56_14 Depth=2
	s_and_b32 vcc_lo, exec_lo, s42
	s_cbranch_vccz .LBB56_18
.LBB56_20:                              ;   in Loop: Header=BB56_14 Depth=2
                                        ; implicit-def: $vgpr6
	s_and_saveexec_b32 s42, s1
; %bb.21:                               ;   in Loop: Header=BB56_14 Depth=2
	v_add_nc_u32_e32 v6, v26, v5
	s_or_b32 s41, s41, exec_lo
; %bb.22:                               ;   in Loop: Header=BB56_14 Depth=2
	s_or_b32 exec_lo, exec_lo, s42
	v_dual_mov_b32 v2, 0 :: v_dual_mov_b32 v3, 0
	s_and_saveexec_b32 s42, s41
	s_cbranch_execz .LBB56_13
.LBB56_23:                              ;   in Loop: Header=BB56_14 Depth=2
	global_load_b64 v[2:3], v6, s[20:21] scale_offset
	s_branch .LBB56_13
.LBB56_24:                              ;   in Loop: Header=BB56_10 Depth=1
	s_or_b32 exec_lo, exec_lo, s29
	ds_load_b32 v2, v31 offset:26368
	s_wait_kmcnt 0x0
	s_sub_co_i32 s28, s28, s5
	s_delay_alu instid0(SALU_CYCLE_1) | instskip(SKIP_4) | instid1(SALU_CYCLE_1)
	s_cmp_le_i32 s28, s27
	s_cselect_b32 s29, -1, 0
	s_wait_dscnt 0x0
	v_cmp_ge_i32_e32 vcc_lo, s26, v2
	s_and_b32 s29, s29, vcc_lo
	s_and_not1_b32 vcc_lo, exec_lo, s29
	s_mov_b32 s29, 0
	s_cbranch_vccnz .LBB56_36
; %bb.25:                               ;   in Loop: Header=BB56_10 Depth=1
	s_mov_b32 s40, 0
	s_mov_b32 s41, 0
.LBB56_26:                              ;   Parent Loop BB56_10 Depth=1
                                        ; =>  This Inner Loop Header: Depth=2
	s_ashr_i32 s29, s28, 31
	s_lshl_b32 s44, s41, 2
	s_lshl_b64 s[42:43], s[28:29], 2
	v_mov_b32_e32 v2, s44
	s_add_nc_u64 s[42:43], s[18:19], s[42:43]
	s_mov_b32 s45, -1
	s_load_b32 s29, s[42:43], 0x0
                                        ; implicit-def: $sgpr44
                                        ; implicit-def: $sgpr43
	ds_load_b32 v2, v2 offset:26368
	s_wait_kmcnt 0x0
	s_sub_co_i32 s46, s29, s5
                                        ; implicit-def: $sgpr29
	s_wait_dscnt 0x0
	s_wait_xcnt 0x0
	v_readfirstlane_b32 s42, v2
	v_cmp_ge_i32_e32 vcc_lo, s46, v2
	s_cbranch_vccz .LBB56_32
; %bb.27:                               ;   in Loop: Header=BB56_26 Depth=2
	s_cmp_le_i32 s46, s42
                                        ; implicit-def: $sgpr29
                                        ; implicit-def: $sgpr44
                                        ; implicit-def: $sgpr43
	s_cbranch_scc0 .LBB56_29
; %bb.28:                               ;   in Loop: Header=BB56_26 Depth=2
	s_add_co_i32 s29, s41, s33
	s_lshl_b32 s43, s40, 2
	s_mul_i32 s29, s29, s37
	s_delay_alu instid0(SALU_CYCLE_1)
	v_dual_mov_b32 v2, s43 :: v_dual_mov_b32 v3, s29
	s_mul_i32 s43, s28, s37
	s_add_co_i32 s44, s28, 1
	v_mov_b32_e32 v4, s43
	s_add_co_i32 s43, s41, 1
	s_add_co_i32 s29, s40, 1
	s_mov_b32 s45, 0
	ds_store_2addr_stride64_b32 v2, v4, v3 offset0:99 offset1:101
.LBB56_29:                              ;   in Loop: Header=BB56_26 Depth=2
	s_and_not1_b32 vcc_lo, exec_lo, s45
	s_cbranch_vccnz .LBB56_31
; %bb.30:                               ;   in Loop: Header=BB56_26 Depth=2
	s_add_co_i32 s43, s41, 1
	s_mov_b32 s29, s40
	s_mov_b32 s44, s28
.LBB56_31:                              ;   in Loop: Header=BB56_26 Depth=2
	s_mov_b32 s45, 0
.LBB56_32:                              ;   in Loop: Header=BB56_26 Depth=2
	s_delay_alu instid0(SALU_CYCLE_1)
	s_and_not1_b32 vcc_lo, exec_lo, s45
	s_cbranch_vccnz .LBB56_34
; %bb.33:                               ;   in Loop: Header=BB56_26 Depth=2
	s_add_co_i32 s44, s28, 1
	s_mov_b32 s43, s41
	s_mov_b32 s29, s40
.LBB56_34:                              ;   in Loop: Header=BB56_26 Depth=2
	s_cmp_le_i32 s44, s27
	s_cselect_b32 s28, -1, 0
	s_cmp_le_i32 s42, s26
	s_cselect_b32 s40, -1, 0
	s_delay_alu instid0(SALU_CYCLE_1) | instskip(NEXT) | instid1(SALU_CYCLE_1)
	s_and_b32 s28, s28, s40
	s_and_b32 vcc_lo, exec_lo, s28
	s_cbranch_vccz .LBB56_36
; %bb.35:                               ;   in Loop: Header=BB56_26 Depth=2
	s_mov_b32 s40, s29
	s_mov_b32 s28, s44
	;; [unrolled: 1-line block ×3, first 2 shown]
	s_branch .LBB56_26
.LBB56_36:                              ;   in Loop: Header=BB56_10 Depth=1
	s_add_nc_u64 s[24:25], s[10:11], s[24:25]
	s_wait_dscnt 0x0
.LBB56_37:                              ;   Parent Loop BB56_10 Depth=1
                                        ; =>  This Inner Loop Header: Depth=2
	global_load_b32 v2, v31, s[24:25] scope:SCOPE_DEV
	s_wait_loadcnt 0x0
	v_cmp_eq_u32_e32 vcc_lo, 0, v2
	s_cbranch_vccnz .LBB56_37
; %bb.38:                               ;   in Loop: Header=BB56_10 Depth=1
	s_cmp_lt_i32 s29, 2
	global_inv scope:SCOPE_DEV
	s_cbranch_scc1 .LBB56_54
; %bb.39:                               ;   in Loop: Header=BB56_10 Depth=1
	s_wait_xcnt 0x0
	s_add_co_i32 s24, s29, -2
	s_mov_b32 s25, 0
	s_branch .LBB56_41
.LBB56_40:                              ;   in Loop: Header=BB56_41 Depth=2
	s_or_b32 exec_lo, exec_lo, s26
	s_add_co_i32 s26, s25, 1
	s_cmp_eq_u32 s25, s24
	s_mov_b32 s25, s26
	s_cbranch_scc1 .LBB56_54
.LBB56_41:                              ;   Parent Loop BB56_10 Depth=1
                                        ; =>  This Loop Header: Depth=2
                                        ;       Child Loop BB56_43 Depth 3
                                        ;         Child Loop BB56_48 Depth 4
	s_and_saveexec_b32 s26, s0
	s_cbranch_execz .LBB56_40
; %bb.42:                               ;   in Loop: Header=BB56_41 Depth=2
	s_lshl_b32 s28, s25, 2
	s_delay_alu instid0(SALU_CYCLE_1)
	v_dual_mov_b32 v35, v10 :: v_dual_mov_b32 v2, s28
	s_mov_b32 s28, 0
	ds_load_2addr_stride64_b32 v[2:3], v2 offset0:99 offset1:101
	s_wait_dscnt 0x0
	v_add_nc_u32_e32 v8, v3, v18
	v_dual_add_nc_u32 v9, v11, v3 :: v_dual_add_nc_u32 v33, v10, v2
	v_add_nc_u32_e32 v34, v23, v2
.LBB56_43:                              ;   Parent Loop BB56_10 Depth=1
                                        ;     Parent Loop BB56_41 Depth=2
                                        ; =>    This Loop Header: Depth=3
                                        ;         Child Loop BB56_48 Depth 4
	v_mov_b64_e32 v[2:3], 0
	s_delay_alu instid0(VALU_DEP_3)
	v_dual_mov_b32 v36, v33 :: v_dual_mov_b32 v37, v9
	s_mov_b32 s29, 0
	s_and_b32 vcc_lo, exec_lo, s35
	s_mov_b32 s40, -1
                                        ; implicit-def: $vgpr4_vgpr5
	s_cbranch_vccz .LBB56_48
	s_branch .LBB56_45
.LBB56_44:                              ;   in Loop: Header=BB56_48 Depth=4
	v_mov_b64_e32 v[2:3], v[4:5]
	s_and_b32 vcc_lo, exec_lo, s35
	s_mov_b32 s40, -1
                                        ; implicit-def: $vgpr4_vgpr5
	s_cbranch_vccz .LBB56_48
.LBB56_45:                              ;   in Loop: Header=BB56_43 Depth=3
	global_load_b64 v[4:5], v36, s[20:21] scale_offset
	v_dual_mov_b32 v6, 0 :: v_dual_mov_b32 v7, 0
	s_wait_xcnt 0x0
	s_and_saveexec_b32 s40, s1
	s_cbranch_execz .LBB56_47
; %bb.46:                               ;   in Loop: Header=BB56_43 Depth=3
	global_load_b64 v[6:7], v37, s[20:21] scale_offset
.LBB56_47:                              ;   in Loop: Header=BB56_43 Depth=3
	s_wait_xcnt 0x0
	s_or_b32 exec_lo, exec_lo, s40
	s_wait_loadcnt 0x0
	v_pk_add_f32 v[40:41], v[6:7], 0 neg_lo:[1,1] neg_hi:[1,1]
	v_pk_fma_f32 v[38:39], v[4:5], v[6:7], v[2:3] op_sel_hi:[1,0,1]
	v_mov_b32_e32 v40, v7
	s_mov_b32 s40, 0
	s_delay_alu instid0(VALU_DEP_1)
	v_pk_fma_f32 v[4:5], v[4:5], v[40:41], v[38:39] op_sel:[1,0,0] op_sel_hi:[0,1,1]
.LBB56_48:                              ;   Parent Loop BB56_10 Depth=1
                                        ;     Parent Loop BB56_41 Depth=2
                                        ;       Parent Loop BB56_43 Depth=3
                                        ; =>      This Inner Loop Header: Depth=4
	s_and_b32 vcc_lo, exec_lo, s40
	s_cbranch_vccz .LBB56_52
; %bb.49:                               ;   in Loop: Header=BB56_48 Depth=4
	v_dual_add_nc_u32 v4, s29, v34 :: v_dual_mov_b32 v6, 0
	v_mov_b32_e32 v7, 0
	global_load_b64 v[4:5], v4, s[20:21] scale_offset
	s_wait_xcnt 0x0
	s_and_saveexec_b32 s40, s1
	s_cbranch_execz .LBB56_51
; %bb.50:                               ;   in Loop: Header=BB56_48 Depth=4
	v_add_nc_u32_e32 v6, s29, v8
	global_load_b64 v[6:7], v6, s[20:21] scale_offset
.LBB56_51:                              ;   in Loop: Header=BB56_48 Depth=4
	s_wait_xcnt 0x0
	s_or_b32 exec_lo, exec_lo, s40
	s_wait_loadcnt 0x0
	v_pk_add_f32 v[38:39], v[6:7], 0 neg_lo:[1,1] neg_hi:[1,1]
	v_pk_fma_f32 v[2:3], v[4:5], v[6:7], v[2:3] op_sel_hi:[1,0,1]
	v_mov_b32_e32 v38, v7
	s_delay_alu instid0(VALU_DEP_1)
	v_pk_fma_f32 v[4:5], v[4:5], v[38:39], v[2:3] op_sel:[1,0,0] op_sel_hi:[0,1,1]
.LBB56_52:                              ;   in Loop: Header=BB56_48 Depth=4
	v_dual_add_nc_u32 v37, s30, v37 :: v_dual_add_nc_u32 v36, s30, v36
	s_add_co_i32 s29, s29, 1
	s_delay_alu instid0(SALU_CYCLE_1)
	s_cmp_eq_u32 s30, s29
	s_cbranch_scc0 .LBB56_44
; %bb.53:                               ;   in Loop: Header=BB56_43 Depth=3
	v_lshl_add_u32 v6, v35, 3, v12
	v_dual_add_nc_u32 v35, 2, v35 :: v_dual_add_nc_u32 v33, 2, v33
	v_add_nc_u32_e32 v34, s38, v34
	ds_load_b64 v[2:3], v6
	v_cmp_le_i32_e32 vcc_lo, s30, v35
	s_or_b32 s28, vcc_lo, s28
	s_wait_dscnt 0x0
	v_pk_add_f32 v[2:3], v[4:5], v[2:3]
	ds_store_b64 v6, v[2:3]
	s_and_not1_b32 exec_lo, exec_lo, s28
	s_cbranch_execnz .LBB56_43
	s_branch .LBB56_40
.LBB56_54:                              ;   in Loop: Header=BB56_10 Depth=1
	s_and_not1_b32 vcc_lo, exec_lo, s36
	s_wait_loadcnt_dscnt 0x0
	s_cbranch_vccnz .LBB56_76
; %bb.55:                               ;   in Loop: Header=BB56_10 Depth=1
	v_mov_b32_e32 v33, v25
	s_wait_xcnt 0x0
	s_mul_i32 s24, s37, s27
	s_mov_b32 s25, 0
	s_mov_b32 s26, s24
	;; [unrolled: 1-line block ×3, first 2 shown]
	s_branch .LBB56_57
.LBB56_56:                              ;   in Loop: Header=BB56_57 Depth=2
	s_or_b32 exec_lo, exec_lo, s28
	v_add_nc_u32_e32 v33, 8, v33
	s_add_co_i32 s27, s27, 1
	s_add_co_i32 s26, s26, 1
	;; [unrolled: 1-line block ×3, first 2 shown]
	s_cmp_eq_u32 s27, s30
	s_wait_dscnt 0x0
	s_cbranch_scc1 .LBB56_76
.LBB56_57:                              ;   Parent Loop BB56_10 Depth=1
                                        ; =>  This Loop Header: Depth=2
                                        ;       Child Loop BB56_64 Depth 3
                                        ;       Child Loop BB56_69 Depth 3
	;; [unrolled: 1-line block ×3, first 2 shown]
	s_mul_i32 s28, s27, s30
	v_lshl_add_u32 v5, s27, 3, v17
	s_add_co_i32 s28, s28, s24
	s_delay_alu instid0(SALU_CYCLE_1) | instskip(NEXT) | instid1(SALU_CYCLE_1)
	s_add_co_i32 s29, s28, s27
	v_mov_b32_e32 v2, s29
	global_load_b64 v[2:3], v2, s[20:21] scale_offset
	s_wait_loadcnt 0x0
	v_readfirstlane_b32 s29, v2
	v_readfirstlane_b32 s40, v3
	ds_load_b64 v[2:3], v5
	s_cmp_neq_f32 s29, 0
	s_cselect_b32 s41, -1, 0
	s_cmp_neq_f32 s40, 0
	s_cselect_b32 s42, -1, 0
	s_delay_alu instid0(SALU_CYCLE_1) | instskip(NEXT) | instid1(SALU_CYCLE_1)
	s_or_b32 s41, s41, s42
	s_nor_b32 s42, s41, s2
	s_and_b32 s41, s41, exec_lo
	s_cselect_b32 s29, s29, 1.0
	s_cselect_b32 s40, s40, 0
	s_delay_alu instid0(SALU_CYCLE_1)
	v_dual_mov_b32 v4, s29 :: v_dual_mov_b32 v6, s40
	s_and_saveexec_b32 s29, s42
	s_cbranch_execz .LBB56_61
; %bb.58:                               ;   in Loop: Header=BB56_57 Depth=2
	v_mbcnt_lo_u32_b32 v4, exec_lo, 0
	s_mov_b32 s40, exec_lo
	s_delay_alu instid0(VALU_DEP_1)
	v_cmpx_eq_u32_e32 0, v4
	s_cbranch_execz .LBB56_60
; %bb.59:                               ;   in Loop: Header=BB56_57 Depth=2
	v_mov_b32_e32 v4, s39
	global_atomic_min_i32 v31, v4, s[14:15] scope:SCOPE_DEV
.LBB56_60:                              ;   in Loop: Header=BB56_57 Depth=2
	s_wait_xcnt 0x0
	s_or_b32 exec_lo, exec_lo, s40
	v_dual_mov_b32 v6, 0 :: v_dual_mov_b32 v4, 1.0
.LBB56_61:                              ;   in Loop: Header=BB56_57 Depth=2
	s_or_b32 exec_lo, exec_lo, s29
	v_lshl_add_u32 v7, s27, 3, v12
	s_cmp_eq_u32 s27, 0
	ds_load_b64 v[8:9], v7
	s_cbranch_scc1 .LBB56_66
; %bb.62:                               ;   in Loop: Header=BB56_57 Depth=2
	v_mov_b32_e32 v7, v17
	s_mov_b32 s29, 0
	s_mov_b32 s40, s27
	;; [unrolled: 1-line block ×3, first 2 shown]
	s_branch .LBB56_64
.LBB56_63:                              ;   in Loop: Header=BB56_64 Depth=3
	s_wait_xcnt 0x0
	v_mov_b32_e32 v34, s42
	ds_load_b64 v[36:37], v7
	v_add_nc_u32_e32 v7, 8, v7
	s_add_co_i32 s40, s40, -1
	s_add_co_i32 s29, s29, 1
	global_load_b64 v[34:35], v34, s[20:21] scale_offset
	s_add_co_i32 s41, s41, s30
	s_cmp_eq_u32 s40, 0
	s_wait_loadcnt_dscnt 0x0
	v_pk_fma_f32 v[8:9], v[34:35], v[36:37], v[8:9] op_sel_hi:[1,0,1]
	s_delay_alu instid0(VALU_DEP_1)
	v_pk_fma_f32 v[8:9], v[34:35], v[36:37], v[8:9] op_sel:[1,1,0] op_sel_hi:[0,1,1] neg_hi:[0,1,0]
	s_cbranch_scc1 .LBB56_66
.LBB56_64:                              ;   Parent Loop BB56_10 Depth=1
                                        ;     Parent Loop BB56_57 Depth=2
                                        ; =>    This Inner Loop Header: Depth=3
	s_and_not1_b32 vcc_lo, exec_lo, s34
	s_mov_b32 s42, s41
	s_cbranch_vccnz .LBB56_63
; %bb.65:                               ;   in Loop: Header=BB56_64 Depth=3
	s_add_co_i32 s42, s29, s28
	s_branch .LBB56_63
.LBB56_66:                              ;   in Loop: Header=BB56_57 Depth=2
	s_wait_xcnt 0x0
	v_mul_f32_e32 v34, v6, v6
	s_wait_dscnt 0x0
	v_pk_add_f32 v[2:3], v[2:3], v[8:9] neg_lo:[0,1] neg_hi:[0,1]
	s_delay_alu instid0(VALU_DEP_2) | instskip(NEXT) | instid1(VALU_DEP_1)
	v_fmac_f32_e32 v34, v4, v4
	v_div_scale_f32 v7, null, v34, v34, 1.0
	v_div_scale_f32 v37, vcc_lo, 1.0, v34, 1.0
	s_delay_alu instid0(VALU_DEP_2) | instskip(SKIP_1) | instid1(TRANS32_DEP_1)
	v_rcp_f32_e32 v35, v7
	v_nop
	v_fma_f32 v36, -v7, v35, 1.0
	s_delay_alu instid0(VALU_DEP_1) | instskip(NEXT) | instid1(VALU_DEP_1)
	v_fmac_f32_e32 v35, v36, v35
	v_mul_f32_e32 v36, v37, v35
	s_delay_alu instid0(VALU_DEP_1) | instskip(NEXT) | instid1(VALU_DEP_1)
	v_fma_f32 v38, -v7, v36, v37
	v_fmac_f32_e32 v36, v38, v35
	s_delay_alu instid0(VALU_DEP_1) | instskip(SKIP_1) | instid1(VALU_DEP_2)
	v_fma_f32 v8, -v7, v36, v37
	v_pk_mul_f32 v[6:7], v[6:7], v[2:3] op_sel:[0,1] op_sel_hi:[0,0] neg_hi:[0,1]
	v_div_fmas_f32 v8, v8, v35, v36
	s_delay_alu instid0(VALU_DEP_2) | instskip(NEXT) | instid1(VALU_DEP_2)
	v_pk_fma_f32 v[2:3], v[2:3], v[4:5], v[6:7] op_sel_hi:[1,0,1]
	v_div_fixup_f32 v4, v8, v34, 1.0
	s_delay_alu instid0(VALU_DEP_1)
	v_pk_mul_f32 v[2:3], v[4:5], v[2:3] op_sel_hi:[0,1]
	ds_store_b64 v5, v[2:3]
	s_wait_storecnt_dscnt 0x0
	s_and_saveexec_b32 s28, s0
	s_cbranch_execz .LBB56_56
; %bb.67:                               ;   in Loop: Header=BB56_57 Depth=2
	v_dual_mov_b32 v4, v10 :: v_dual_mov_b32 v5, v20
	v_mov_b32_e32 v6, v24
	s_mov_b32 s40, -1
	s_and_saveexec_b32 s29, s3
	s_cbranch_execz .LBB56_73
; %bb.68:                               ;   in Loop: Header=BB56_57 Depth=2
	v_dual_mov_b32 v4, v2 :: v_dual_mov_b32 v5, v2
	v_dual_mov_b32 v6, v3 :: v_dual_mov_b32 v7, v3
	;; [unrolled: 1-line block ×3, first 2 shown]
	v_mov_b32_e32 v34, v33
	s_mov_b32 s40, 0
.LBB56_69:                              ;   Parent Loop BB56_10 Depth=1
                                        ;     Parent Loop BB56_57 Depth=2
                                        ; =>    This Inner Loop Header: Depth=3
	ds_load_2addr_b64 v[36:39], v34 offset1:66
	ds_load_2addr_b64 v[40:43], v9 offset1:2
	v_add_nc_u32_e32 v34, 0x420, v34
	s_wait_dscnt 0x1
	v_dual_mov_b32 v44, v36 :: v_dual_mov_b32 v45, v38
	s_wait_dscnt 0x0
	v_dual_mov_b32 v46, v40 :: v_dual_mov_b32 v47, v42
	v_dual_mov_b32 v42, v41 :: v_dual_mov_b32 v38, v37
	s_delay_alu instid0(VALU_DEP_2) | instskip(NEXT) | instid1(VALU_DEP_2)
	v_pk_fma_f32 v[36:37], v[4:5], v[44:45], v[46:47]
	v_pk_fma_f32 v[40:41], v[6:7], v[44:45], v[42:43]
	s_delay_alu instid0(VALU_DEP_2) | instskip(NEXT) | instid1(VALU_DEP_2)
	v_pk_fma_f32 v[36:37], v[6:7], v[38:39], v[36:37]
	v_pk_fma_f32 v[38:39], v[4:5], v[38:39], v[40:41] neg_lo:[0,1,0] neg_hi:[0,1,0]
	s_delay_alu instid0(VALU_DEP_2) | instskip(NEXT) | instid1(VALU_DEP_2)
	v_dual_add_nc_u32 v8, -2, v8 :: v_dual_mov_b32 v40, v36
	v_dual_mov_b32 v41, v38 :: v_dual_mov_b32 v38, v37
	s_delay_alu instid0(VALU_DEP_2) | instskip(SKIP_3) | instid1(SALU_CYCLE_1)
	v_cmp_eq_u32_e32 vcc_lo, 0, v8
	ds_store_2addr_b64 v9, v[40:41], v[38:39] offset1:2
	v_add_nc_u32_e32 v9, 32, v9
	s_or_b32 s40, vcc_lo, s40
	s_and_not1_b32 exec_lo, exec_lo, s40
	s_cbranch_execnz .LBB56_69
; %bb.70:                               ;   in Loop: Header=BB56_57 Depth=2
	s_or_b32 exec_lo, exec_lo, s40
	s_mov_b32 s40, 0
	s_and_saveexec_b32 s41, s4
; %bb.71:                               ;   in Loop: Header=BB56_57 Depth=2
	s_mov_b32 s40, exec_lo
; %bb.72:                               ;   in Loop: Header=BB56_57 Depth=2
	s_or_b32 exec_lo, exec_lo, s41
	v_dual_mov_b32 v4, v21 :: v_dual_mov_b32 v5, v32
	v_mov_b32_e32 v6, v30
	s_or_not1_b32 s40, s40, exec_lo
.LBB56_73:                              ;   in Loop: Header=BB56_57 Depth=2
	s_or_b32 exec_lo, exec_lo, s29
	s_delay_alu instid0(SALU_CYCLE_1)
	s_and_b32 exec_lo, exec_lo, s40
	s_cbranch_execz .LBB56_56
; %bb.74:                               ;   in Loop: Header=BB56_57 Depth=2
	v_dual_add_nc_u32 v5, v28, v5 :: v_dual_add_nc_u32 v6, s25, v6
	s_mov_b32 s29, 0
.LBB56_75:                              ;   Parent Loop BB56_10 Depth=1
                                        ;     Parent Loop BB56_57 Depth=2
                                        ; =>    This Inner Loop Header: Depth=3
	ds_load_b64 v[8:9], v6 offset:8448
	ds_load_b64 v[34:35], v5
	v_add_nc_u32_e32 v6, 0x210, v6
	s_wait_dscnt 0x0
	v_pk_fma_f32 v[34:35], v[2:3], v[8:9], v[34:35] op_sel_hi:[1,0,1]
	s_delay_alu instid0(VALU_DEP_1) | instskip(NEXT) | instid1(VALU_DEP_1)
	v_pk_fma_f32 v[8:9], v[2:3], v[8:9], v[34:35] op_sel:[0,1,1] op_sel_hi:[1,1,0] neg_lo:[0,1,0]
	v_dual_add_nc_u32 v4, 2, v4 :: v_dual_mov_b32 v34, v9
	s_delay_alu instid0(VALU_DEP_2) | instskip(NEXT) | instid1(VALU_DEP_2)
	v_mov_b32_e32 v35, v8
	v_cmp_le_i32_e32 vcc_lo, s30, v4
	ds_store_b64 v5, v[34:35]
	v_add_nc_u32_e32 v5, 16, v5
	s_or_b32 s29, vcc_lo, s29
	s_delay_alu instid0(SALU_CYCLE_1)
	s_and_not1_b32 exec_lo, exec_lo, s29
	s_cbranch_execnz .LBB56_75
	s_branch .LBB56_56
.LBB56_76:                              ;   in Loop: Header=BB56_10 Depth=1
	s_wait_xcnt 0x0
	s_and_saveexec_b32 s24, s0
	s_cbranch_execz .LBB56_9
; %bb.77:                               ;   in Loop: Header=BB56_10 Depth=1
	v_dual_mov_b32 v2, v29 :: v_dual_mov_b32 v3, v10
	s_mov_b32 s25, 0
	s_branch .LBB56_80
.LBB56_78:                              ;   in Loop: Header=BB56_80 Depth=2
	ds_load_b64 v[6:7], v2
	s_wait_dscnt 0x0
	global_store_b64 v4, v[6:7], s[20:21] scale_offset
.LBB56_79:                              ;   in Loop: Header=BB56_80 Depth=2
	s_wait_xcnt 0x0
	s_or_b32 exec_lo, exec_lo, s26
	v_dual_add_nc_u32 v3, 2, v3 :: v_dual_add_nc_u32 v2, 16, v2
	s_delay_alu instid0(VALU_DEP_1) | instskip(SKIP_1) | instid1(SALU_CYCLE_1)
	v_cmp_le_i32_e32 vcc_lo, s30, v3
	s_or_b32 s25, vcc_lo, s25
	s_and_not1_b32 exec_lo, exec_lo, s25
	s_cbranch_execz .LBB56_9
.LBB56_80:                              ;   Parent Loop BB56_10 Depth=1
                                        ; =>  This Inner Loop Header: Depth=2
	s_and_saveexec_b32 s26, s1
	s_cbranch_execz .LBB56_79
; %bb.81:                               ;   in Loop: Header=BB56_80 Depth=2
	s_and_b32 vcc_lo, exec_lo, s35
	s_mov_b32 s27, -1
                                        ; implicit-def: $vgpr4
	s_cbranch_vccz .LBB56_83
; %bb.82:                               ;   in Loop: Header=BB56_80 Depth=2
	v_add_nc_u32_e32 v4, s23, v3
	s_mov_b32 s27, 0
	s_delay_alu instid0(VALU_DEP_1)
	v_mad_u32 v4, v4, s30, v11
.LBB56_83:                              ;   in Loop: Header=BB56_80 Depth=2
	s_and_not1_b32 vcc_lo, exec_lo, s27
	s_cbranch_vccnz .LBB56_78
; %bb.84:                               ;   in Loop: Header=BB56_80 Depth=2
	v_add_nc_u32_e32 v4, v26, v3
	s_branch .LBB56_78
.LBB56_85:                              ;   in Loop: Header=BB56_10 Depth=1
                                        ; implicit-def: $sgpr22
                                        ; implicit-def: $vgpr26
	s_cbranch_execz .LBB56_10
.LBB56_86:
	v_cmp_gt_i32_e64 s0, s30, v10
	s_and_saveexec_b32 s2, s0
	s_cbranch_execz .LBB56_99
; %bb.87:
	s_mul_i32 s3, s13, s30
	v_cmp_gt_i32_e64 s1, s30, v11
	v_dual_add_nc_u32 v0, s3, v11 :: v_dual_mov_b32 v4, v10
	s_cmp_lg_u32 s31, 0
	s_mov_b32 s4, 0
	s_cselect_b32 s8, -1, 0
	s_delay_alu instid0(VALU_DEP_1) | instskip(SKIP_1) | instid1(VALU_DEP_1)
	v_mul_lo_u32 v2, v0, s30
	v_lshlrev_b32_e32 v0, 3, v10
	v_add3_u32 v3, v12, v0, 0x2100
	s_branch .LBB56_89
.LBB56_88:                              ;   in Loop: Header=BB56_89 Depth=1
	s_wait_xcnt 0x0
	s_or_b32 exec_lo, exec_lo, s16
	v_add_nc_u32_e32 v4, 2, v4
	s_wait_loadcnt 0x0
	ds_store_b64 v3, v[0:1]
	v_add_nc_u32_e32 v3, 16, v3
	v_cmp_le_i32_e32 vcc_lo, s30, v4
	s_or_b32 s4, vcc_lo, s4
	s_delay_alu instid0(SALU_CYCLE_1)
	s_and_not1_b32 exec_lo, exec_lo, s4
	s_cbranch_execz .LBB56_99
.LBB56_89:                              ; =>This Inner Loop Header: Depth=1
	s_and_b32 vcc_lo, exec_lo, s8
	s_cbranch_vccz .LBB56_96
; %bb.90:                               ;   in Loop: Header=BB56_89 Depth=1
	s_mov_b32 s16, 0
	s_mov_b32 s9, 0
                                        ; implicit-def: $vgpr5
	s_and_saveexec_b32 s17, s1
	s_delay_alu instid0(SALU_CYCLE_1)
	s_xor_b32 s17, exec_lo, s17
; %bb.91:                               ;   in Loop: Header=BB56_89 Depth=1
	v_add_nc_u32_e32 v0, s3, v4
	s_mov_b32 s9, exec_lo
	s_delay_alu instid0(VALU_DEP_1)
	v_mad_u32 v5, v0, s30, v11
; %bb.92:                               ;   in Loop: Header=BB56_89 Depth=1
	s_or_b32 exec_lo, exec_lo, s17
	s_delay_alu instid0(SALU_CYCLE_1)
	s_and_b32 vcc_lo, exec_lo, s16
	s_cbranch_vccz .LBB56_97
.LBB56_93:                              ;   in Loop: Header=BB56_89 Depth=1
                                        ; implicit-def: $vgpr5
	s_and_saveexec_b32 s16, s1
; %bb.94:                               ;   in Loop: Header=BB56_89 Depth=1
	s_delay_alu instid0(VALU_DEP_3)
	v_add_nc_u32_e32 v5, v2, v4
	s_or_b32 s9, s9, exec_lo
; %bb.95:                               ;   in Loop: Header=BB56_89 Depth=1
	s_or_b32 exec_lo, exec_lo, s16
	v_dual_mov_b32 v0, 0 :: v_dual_mov_b32 v1, 0
	s_and_saveexec_b32 s16, s9
	s_cbranch_execz .LBB56_88
	s_branch .LBB56_98
.LBB56_96:                              ;   in Loop: Header=BB56_89 Depth=1
	s_mov_b32 s9, 0
                                        ; implicit-def: $vgpr5
	s_cbranch_execnz .LBB56_93
.LBB56_97:                              ;   in Loop: Header=BB56_89 Depth=1
	v_dual_mov_b32 v0, 0 :: v_dual_mov_b32 v1, 0
	s_and_saveexec_b32 s16, s9
	s_cbranch_execz .LBB56_88
.LBB56_98:                              ;   in Loop: Header=BB56_89 Depth=1
	global_load_b64 v[0:1], v5, s[20:21] scale_offset
	s_branch .LBB56_88
.LBB56_99:
	s_or_b32 exec_lo, exec_lo, s2
	s_cmp_lt_i32 s30, 1
	s_wait_loadcnt_dscnt 0x0
	s_cbranch_scc1 .LBB56_125
; %bb.100:
	v_dual_lshrrev_b32 v0, 1, v16 :: v_dual_bitop2_b32 v1, v10, v11 bitop3:0x54
	s_movk_i32 s4, 0x108
	s_movk_i32 s1, 0x4200
	v_mad_u32_u24 v9, v11, s4, 0x2100
	s_delay_alu instid0(VALU_DEP_2) | instskip(SKIP_3) | instid1(VALU_DEP_4)
	v_add_nc_u32_e32 v0, 1, v0
	v_mad_u32_u24 v17, 0x108, v11, s1
	v_cmp_ne_u32_e64 s1, 0, v1
	v_cmp_lt_u32_e64 s2, 1, v16
	v_dual_add_nc_u32 v19, v9, v15 :: v_dual_bitop2_b32 v8, -2, v0 bitop3:0x40
	s_delay_alu instid0(VALU_DEP_4)
	v_add_nc_u32_e32 v15, v17, v15
	v_mad_u32_u24 v16, v10, s4, 0x2100
	v_add3_u32 v21, v12, v13, 0x4200
	s_mov_b32 s8, 0
	v_lshl_add_u32 v18, v8, 1, v10
	v_cmp_ne_u32_e64 s3, v0, v8
	v_mov_b32_e32 v1, 0
	s_add_co_i32 s9, s12, s5
	s_mov_b32 s16, 0
	v_mul_lo_u32 v20, 0x108, v18
	v_lshlrev_b32_e32 v22, 3, v18
	s_branch .LBB56_102
.LBB56_101:                             ;   in Loop: Header=BB56_102 Depth=1
	s_or_b32 exec_lo, exec_lo, s4
	v_add_nc_u32_e32 v16, 8, v16
	s_add_co_i32 s16, s16, 1
	s_add_co_i32 s8, s8, 8
	s_cmp_eq_u32 s16, s30
	s_wait_storecnt_dscnt 0x0
	s_cbranch_scc1 .LBB56_125
.LBB56_102:                             ; =>This Loop Header: Depth=1
                                        ;     Child Loop BB56_118 Depth 2
                                        ;     Child Loop BB56_124 Depth 2
	s_mov_b32 s17, exec_lo
	v_cmpx_eq_u32_e64 s16, v11
	s_cbranch_execz .LBB56_110
; %bb.103:                              ;   in Loop: Header=BB56_102 Depth=1
	ds_load_b64 v[2:3], v19
	ds_load_b64 v[4:5], v15
	s_mov_b32 s4, exec_lo
	s_wait_dscnt 0x0
	v_dual_sub_f32 v0, v2, v4 :: v_dual_sub_f32 v4, v3, v5
                                        ; implicit-def: $vgpr3
	s_delay_alu instid0(VALU_DEP_1) | instskip(SKIP_1) | instid1(VALU_DEP_3)
	v_cmp_gt_f32_e32 vcc_lo, 0, v0
	v_cndmask_b32_e64 v0, v0, -v0, vcc_lo
	v_cmp_gt_f32_e32 vcc_lo, 0, v4
	v_cndmask_b32_e64 v2, v4, -v4, vcc_lo
	s_delay_alu instid0(VALU_DEP_1)
	v_cmpx_ngt_f32_e32 v0, v2
	s_xor_b32 s18, exec_lo, s4
	s_cbranch_execz .LBB56_107
; %bb.104:                              ;   in Loop: Header=BB56_102 Depth=1
	v_mov_b32_e32 v3, 0
	s_mov_b32 s19, exec_lo
	v_cmpx_neq_f32_e32 0, v4
	s_cbranch_execz .LBB56_106
; %bb.105:                              ;   in Loop: Header=BB56_102 Depth=1
	v_div_scale_f32 v3, null, v2, v2, v0
	v_div_scale_f32 v6, vcc_lo, v0, v2, v0
	s_delay_alu instid0(VALU_DEP_2) | instskip(SKIP_1) | instid1(TRANS32_DEP_1)
	v_rcp_f32_e32 v4, v3
	v_nop
	v_fma_f32 v5, -v3, v4, 1.0
	s_delay_alu instid0(VALU_DEP_1) | instskip(NEXT) | instid1(VALU_DEP_1)
	v_fmac_f32_e32 v4, v5, v4
	v_mul_f32_e32 v5, v6, v4
	s_delay_alu instid0(VALU_DEP_1) | instskip(NEXT) | instid1(VALU_DEP_1)
	v_fma_f32 v7, -v3, v5, v6
	v_fmac_f32_e32 v5, v7, v4
	s_delay_alu instid0(VALU_DEP_1) | instskip(NEXT) | instid1(VALU_DEP_1)
	v_fma_f32 v3, -v3, v5, v6
	v_div_fmas_f32 v3, v3, v4, v5
	s_delay_alu instid0(VALU_DEP_1) | instskip(NEXT) | instid1(VALU_DEP_1)
	v_div_fixup_f32 v0, v3, v2, v0
	v_fma_f32 v0, v0, v0, 1.0
	s_delay_alu instid0(VALU_DEP_1) | instskip(SKIP_1) | instid1(VALU_DEP_2)
	v_mul_f32_e32 v3, 0x4f800000, v0
	v_cmp_gt_f32_e32 vcc_lo, 0xf800000, v0
	v_cndmask_b32_e32 v0, v0, v3, vcc_lo
	s_delay_alu instid0(VALU_DEP_1) | instskip(SKIP_1) | instid1(TRANS32_DEP_1)
	v_sqrt_f32_e32 v3, v0
	v_nop
	v_dual_add_nc_u32 v4, -1, v3 :: v_dual_add_nc_u32 v5, 1, v3
	s_delay_alu instid0(VALU_DEP_1) | instskip(NEXT) | instid1(VALU_DEP_1)
	v_fma_f32 v6, -v4, v3, v0
	v_cmp_ge_f32_e64 s4, 0, v6
	s_delay_alu instid0(VALU_DEP_1) | instskip(NEXT) | instid1(VALU_DEP_1)
	v_dual_fma_f32 v7, -v5, v3, v0 :: v_dual_cndmask_b32 v3, v3, v4, s4
	v_cmp_lt_f32_e64 s4, 0, v7
	s_delay_alu instid0(VALU_DEP_1) | instskip(NEXT) | instid1(VALU_DEP_1)
	v_cndmask_b32_e64 v3, v3, v5, s4
	v_mul_f32_e32 v4, 0x37800000, v3
	s_delay_alu instid0(VALU_DEP_1) | instskip(SKIP_1) | instid1(VALU_DEP_2)
	v_cndmask_b32_e32 v3, v3, v4, vcc_lo
	v_cmp_class_f32_e64 vcc_lo, v0, 0x260
	v_cndmask_b32_e32 v0, v3, v0, vcc_lo
	s_delay_alu instid0(VALU_DEP_1)
	v_mul_f32_e32 v3, v2, v0
.LBB56_106:                             ;   in Loop: Header=BB56_102 Depth=1
	s_or_b32 exec_lo, exec_lo, s19
                                        ; implicit-def: $vgpr0
                                        ; implicit-def: $vgpr2
.LBB56_107:                             ;   in Loop: Header=BB56_102 Depth=1
	s_and_not1_saveexec_b32 s18, s18
	s_cbranch_execz .LBB56_109
; %bb.108:                              ;   in Loop: Header=BB56_102 Depth=1
	v_div_scale_f32 v3, null, v0, v0, v2
	v_div_scale_f32 v6, vcc_lo, v2, v0, v2
	s_delay_alu instid0(VALU_DEP_2) | instskip(SKIP_1) | instid1(TRANS32_DEP_1)
	v_rcp_f32_e32 v4, v3
	v_nop
	v_fma_f32 v5, -v3, v4, 1.0
	s_delay_alu instid0(VALU_DEP_1) | instskip(NEXT) | instid1(VALU_DEP_1)
	v_fmac_f32_e32 v4, v5, v4
	v_mul_f32_e32 v5, v6, v4
	s_delay_alu instid0(VALU_DEP_1) | instskip(NEXT) | instid1(VALU_DEP_1)
	v_fma_f32 v7, -v3, v5, v6
	v_fmac_f32_e32 v5, v7, v4
	s_delay_alu instid0(VALU_DEP_1) | instskip(NEXT) | instid1(VALU_DEP_1)
	v_fma_f32 v3, -v3, v5, v6
	v_div_fmas_f32 v3, v3, v4, v5
	s_delay_alu instid0(VALU_DEP_1) | instskip(NEXT) | instid1(VALU_DEP_1)
	v_div_fixup_f32 v2, v3, v0, v2
	v_fma_f32 v2, v2, v2, 1.0
	s_delay_alu instid0(VALU_DEP_1) | instskip(SKIP_1) | instid1(VALU_DEP_2)
	v_mul_f32_e32 v3, 0x4f800000, v2
	v_cmp_gt_f32_e32 vcc_lo, 0xf800000, v2
	v_cndmask_b32_e32 v2, v2, v3, vcc_lo
	s_delay_alu instid0(VALU_DEP_1) | instskip(SKIP_1) | instid1(TRANS32_DEP_1)
	v_sqrt_f32_e32 v3, v2
	v_nop
	v_dual_add_nc_u32 v4, -1, v3 :: v_dual_add_nc_u32 v5, 1, v3
	s_delay_alu instid0(VALU_DEP_1) | instskip(NEXT) | instid1(VALU_DEP_1)
	v_fma_f32 v6, -v4, v3, v2
	v_cmp_ge_f32_e64 s4, 0, v6
	s_delay_alu instid0(VALU_DEP_1) | instskip(NEXT) | instid1(VALU_DEP_1)
	v_dual_fma_f32 v7, -v5, v3, v2 :: v_dual_cndmask_b32 v3, v3, v4, s4
	v_cmp_lt_f32_e64 s4, 0, v7
	s_delay_alu instid0(VALU_DEP_1) | instskip(NEXT) | instid1(VALU_DEP_1)
	v_cndmask_b32_e64 v3, v3, v5, s4
	v_mul_f32_e32 v4, 0x37800000, v3
	s_delay_alu instid0(VALU_DEP_1) | instskip(SKIP_1) | instid1(VALU_DEP_2)
	v_cndmask_b32_e32 v3, v3, v4, vcc_lo
	v_cmp_class_f32_e64 vcc_lo, v2, 0x260
	v_cndmask_b32_e32 v2, v3, v2, vcc_lo
	s_delay_alu instid0(VALU_DEP_1)
	v_mul_f32_e32 v3, v0, v2
.LBB56_109:                             ;   in Loop: Header=BB56_102 Depth=1
	s_or_b32 exec_lo, exec_lo, s18
	s_delay_alu instid0(VALU_DEP_1) | instskip(SKIP_1) | instid1(VALU_DEP_2)
	v_mul_f32_e32 v0, 0x4f800000, v3
	v_cmp_gt_f32_e32 vcc_lo, 0xf800000, v3
	v_cndmask_b32_e32 v0, v3, v0, vcc_lo
	s_delay_alu instid0(VALU_DEP_1) | instskip(SKIP_1) | instid1(TRANS32_DEP_1)
	v_sqrt_f32_e32 v2, v0
	v_nop
	v_dual_add_nc_u32 v3, -1, v2 :: v_dual_add_nc_u32 v4, 1, v2
	s_delay_alu instid0(VALU_DEP_1) | instskip(NEXT) | instid1(VALU_DEP_1)
	v_dual_fma_f32 v5, -v3, v2, v0 :: v_dual_fma_f32 v6, -v4, v2, v0
	v_cmp_ge_f32_e64 s4, 0, v5
	s_delay_alu instid0(VALU_DEP_1) | instskip(NEXT) | instid1(VALU_DEP_3)
	v_cndmask_b32_e64 v2, v2, v3, s4
	v_cmp_lt_f32_e64 s4, 0, v6
	s_delay_alu instid0(VALU_DEP_1) | instskip(NEXT) | instid1(VALU_DEP_1)
	v_cndmask_b32_e64 v2, v2, v4, s4
	v_mul_f32_e32 v3, 0x37800000, v2
	s_delay_alu instid0(VALU_DEP_1) | instskip(SKIP_1) | instid1(VALU_DEP_2)
	v_cndmask_b32_e32 v2, v2, v3, vcc_lo
	v_cmp_class_f32_e64 vcc_lo, v0, 0x260
	v_cndmask_b32_e32 v0, v2, v0, vcc_lo
	ds_store_b64 v19, v[0:1]
.LBB56_110:                             ;   in Loop: Header=BB56_102 Depth=1
	s_or_b32 exec_lo, exec_lo, s17
	s_lshl_b32 s4, s16, 3
	s_mul_i32 s17, s16, 0x108
	s_wait_dscnt 0x0
	s_add_co_i32 s17, s17, s4
	s_delay_alu instid0(SALU_CYCLE_1)
	v_dual_mov_b32 v0, s17 :: v_dual_add_nc_u32 v5, s4, v9
	ds_load_b64 v[2:3], v0 offset:8448
	s_wait_dscnt 0x0
	v_readfirstlane_b32 s17, v2
	v_readfirstlane_b32 s4, v3
	ds_load_b64 v[2:3], v5
	s_cmp_neq_f32 s17, 0
	s_cselect_b32 s18, -1, 0
	s_cmp_neq_f32 s4, 0
	s_cselect_b32 s19, -1, 0
	s_delay_alu instid0(SALU_CYCLE_1) | instskip(NEXT) | instid1(SALU_CYCLE_1)
	s_or_b32 s18, s18, s19
	s_nor_b32 s19, s18, s1
	s_and_b32 s18, s18, exec_lo
	s_cselect_b32 s4, s4, 0
	s_cselect_b32 s17, s17, 1.0
	s_delay_alu instid0(SALU_CYCLE_1)
	v_dual_mov_b32 v4, s4 :: v_dual_mov_b32 v0, s17
	s_and_saveexec_b32 s4, s19
	s_cbranch_execz .LBB56_114
; %bb.111:                              ;   in Loop: Header=BB56_102 Depth=1
	v_mbcnt_lo_u32_b32 v0, exec_lo, 0
	s_mov_b32 s17, exec_lo
	s_delay_alu instid0(VALU_DEP_1)
	v_cmpx_eq_u32_e32 0, v0
	s_cbranch_execz .LBB56_113
; %bb.112:                              ;   in Loop: Header=BB56_102 Depth=1
	v_mov_b32_e32 v0, s9
	global_atomic_min_i32 v1, v0, s[14:15] scope:SCOPE_DEV
.LBB56_113:                             ;   in Loop: Header=BB56_102 Depth=1
	s_wait_xcnt 0x0
	s_or_b32 exec_lo, exec_lo, s17
	v_dual_mov_b32 v0, 1.0 :: v_dual_mov_b32 v4, 0
.LBB56_114:                             ;   in Loop: Header=BB56_102 Depth=1
	s_or_b32 exec_lo, exec_lo, s4
	s_delay_alu instid0(SALU_CYCLE_1)
	s_mov_b32 s4, exec_lo
	v_cmpx_lt_u32_e64 s16, v11
	s_cbranch_execz .LBB56_101
; %bb.115:                              ;   in Loop: Header=BB56_102 Depth=1
	v_mul_f32_e32 v23, v4, v4
	v_lshl_add_u32 v6, s16, 3, v17
	s_wait_dscnt 0x0
	s_delay_alu instid0(VALU_DEP_2) | instskip(SKIP_2) | instid1(VALU_DEP_1)
	v_dual_mov_b32 v25, v2 :: v_dual_fmac_f32 v23, v0, v0
	ds_load_b64 v[6:7], v6
	v_div_scale_f32 v26, null, v23, v23, 1.0
	v_rcp_f32_e32 v27, v26
	v_nop
	s_delay_alu instid0(TRANS32_DEP_1) | instskip(NEXT) | instid1(VALU_DEP_1)
	v_fma_f32 v24, -v26, v27, 1.0
	v_dual_fmac_f32 v27, v24, v27 :: v_dual_mov_b32 v24, v3
	v_div_scale_f32 v28, vcc_lo, 1.0, v23, 1.0
	s_wait_dscnt 0x0
	s_delay_alu instid0(VALU_DEP_2) | instskip(NEXT) | instid1(VALU_DEP_2)
	v_pk_add_f32 v[2:3], v[24:25], v[6:7] op_sel:[0,1] op_sel_hi:[1,0] neg_lo:[0,1] neg_hi:[0,1]
	v_mul_f32_e32 v29, v28, v27
	s_delay_alu instid0(VALU_DEP_2) | instskip(NEXT) | instid1(VALU_DEP_2)
	v_pk_mul_f32 v[6:7], v[4:5], v[2:3] op_sel:[0,1] op_sel_hi:[0,0] neg_lo:[0,1]
	v_fma_f32 v30, -v26, v29, v28
	s_delay_alu instid0(VALU_DEP_2) | instskip(NEXT) | instid1(VALU_DEP_2)
	v_pk_fma_f32 v[2:3], v[2:3], v[0:1], v[6:7] op_sel_hi:[1,0,1]
	v_fmac_f32_e32 v29, v30, v27
	s_delay_alu instid0(VALU_DEP_1) | instskip(NEXT) | instid1(VALU_DEP_1)
	v_fma_f32 v24, -v26, v29, v28
	v_div_fmas_f32 v4, v24, v27, v29
	s_delay_alu instid0(VALU_DEP_1) | instskip(NEXT) | instid1(VALU_DEP_1)
	v_div_fixup_f32 v0, v4, v23, 1.0
	v_pk_mul_f32 v[2:3], v[0:1], v[2:3] op_sel_hi:[0,1]
	s_delay_alu instid0(VALU_DEP_1)
	v_dual_mov_b32 v6, v3 :: v_dual_mov_b32 v7, v2
	ds_store_b64 v5, v[6:7]
	s_wait_storecnt_dscnt 0x0
	s_and_b32 exec_lo, exec_lo, s0
	s_cbranch_execz .LBB56_101
; %bb.116:                              ;   in Loop: Header=BB56_102 Depth=1
	v_dual_mov_b32 v0, v10 :: v_dual_mov_b32 v6, v13
	v_mov_b32_e32 v7, v14
	s_mov_b32 s18, -1
	s_and_saveexec_b32 s17, s2
	s_cbranch_execz .LBB56_122
; %bb.117:                              ;   in Loop: Header=BB56_102 Depth=1
	v_dual_mov_b32 v4, v3 :: v_dual_mov_b32 v5, v3
	v_dual_mov_b32 v6, v2 :: v_dual_mov_b32 v7, v2
	;; [unrolled: 1-line block ×3, first 2 shown]
	v_mov_b32_e32 v24, v16
	s_mov_b32 s18, 0
.LBB56_118:                             ;   Parent Loop BB56_102 Depth=1
                                        ; =>  This Inner Loop Header: Depth=2
	ds_load_2addr_b64 v[26:29], v24 offset1:66
	ds_load_2addr_b64 v[30:33], v23 offset1:2
	v_add_nc_u32_e32 v24, 0x420, v24
	s_wait_dscnt 0x1
	v_dual_mov_b32 v34, v26 :: v_dual_mov_b32 v35, v28
	s_wait_dscnt 0x0
	v_dual_mov_b32 v36, v30 :: v_dual_mov_b32 v37, v32
	v_dual_mov_b32 v32, v31 :: v_dual_mov_b32 v28, v27
	s_delay_alu instid0(VALU_DEP_2) | instskip(NEXT) | instid1(VALU_DEP_2)
	v_pk_fma_f32 v[26:27], v[4:5], v[34:35], v[36:37]
	v_pk_fma_f32 v[30:31], v[6:7], v[34:35], v[32:33]
	s_delay_alu instid0(VALU_DEP_2) | instskip(NEXT) | instid1(VALU_DEP_2)
	v_pk_fma_f32 v[26:27], v[6:7], v[28:29], v[26:27]
	v_pk_fma_f32 v[28:29], v[4:5], v[28:29], v[30:31] neg_lo:[0,1,0] neg_hi:[0,1,0]
	s_delay_alu instid0(VALU_DEP_2) | instskip(NEXT) | instid1(VALU_DEP_2)
	v_dual_add_nc_u32 v0, -2, v0 :: v_dual_mov_b32 v30, v26
	v_dual_mov_b32 v31, v28 :: v_dual_mov_b32 v28, v27
	s_delay_alu instid0(VALU_DEP_2) | instskip(SKIP_3) | instid1(SALU_CYCLE_1)
	v_cmp_eq_u32_e32 vcc_lo, 0, v0
	ds_store_2addr_b64 v23, v[30:31], v[28:29] offset1:2
	v_add_nc_u32_e32 v23, 32, v23
	s_or_b32 s18, vcc_lo, s18
	s_and_not1_b32 exec_lo, exec_lo, s18
	s_cbranch_execnz .LBB56_118
; %bb.119:                              ;   in Loop: Header=BB56_102 Depth=1
	s_or_b32 exec_lo, exec_lo, s18
	s_mov_b32 s18, 0
	s_and_saveexec_b32 s19, s3
; %bb.120:                              ;   in Loop: Header=BB56_102 Depth=1
	s_mov_b32 s18, exec_lo
; %bb.121:                              ;   in Loop: Header=BB56_102 Depth=1
	s_or_b32 exec_lo, exec_lo, s19
	v_dual_mov_b32 v0, v18 :: v_dual_mov_b32 v6, v22
	v_mov_b32_e32 v7, v20
	s_or_not1_b32 s18, s18, exec_lo
.LBB56_122:                             ;   in Loop: Header=BB56_102 Depth=1
	s_or_b32 exec_lo, exec_lo, s17
	s_delay_alu instid0(SALU_CYCLE_1)
	s_and_b32 exec_lo, exec_lo, s18
	s_cbranch_execz .LBB56_101
; %bb.123:                              ;   in Loop: Header=BB56_102 Depth=1
	v_dual_mov_b32 v4, v3 :: v_dual_mov_b32 v5, v2
	v_dual_add_nc_u32 v6, v17, v6 :: v_dual_add_nc_u32 v7, s8, v7
	s_mov_b32 s17, 0
.LBB56_124:                             ;   Parent Loop BB56_102 Depth=1
                                        ; =>  This Inner Loop Header: Depth=2
	ds_load_b64 v[24:25], v7 offset:8448
	ds_load_b64 v[26:27], v6
	v_add_nc_u32_e32 v0, 2, v0
	v_add_nc_u32_e32 v7, 0x210, v7
	s_wait_dscnt 0x0
	v_pk_fma_f32 v[26:27], v[4:5], v[24:25], v[26:27] op_sel_hi:[1,0,1]
	s_delay_alu instid0(VALU_DEP_1) | instskip(SKIP_4) | instid1(SALU_CYCLE_1)
	v_pk_fma_f32 v[24:25], v[2:3], v[24:25], v[26:27] op_sel:[0,1,0] neg_hi:[0,1,0]
	ds_store_b64 v6, v[24:25]
	v_add_nc_u32_e32 v6, 16, v6
	v_cmp_le_i32_e32 vcc_lo, s30, v0
	s_or_b32 s17, vcc_lo, s17
	s_and_not1_b32 exec_lo, exec_lo, s17
	s_cbranch_execnz .LBB56_124
	s_branch .LBB56_101
.LBB56_125:
	s_and_saveexec_b32 s1, s0
	s_cbranch_execz .LBB56_134
; %bb.126:
	s_mul_i32 s13, s13, s30
	v_cmp_gt_i32_e64 s0, s30, v11
	v_dual_add_nc_u32 v0, s13, v11 :: v_dual_mov_b32 v2, v10
	v_add3_u32 v1, v12, v13, 0x2100
	s_cmp_lg_u32 s31, 0
	s_mov_b32 s2, 0
	s_delay_alu instid0(VALU_DEP_2)
	v_mul_lo_u32 v0, v0, s30
	s_cselect_b32 s3, -1, 0
	s_branch .LBB56_130
.LBB56_127:                             ;   in Loop: Header=BB56_130 Depth=1
	s_delay_alu instid0(VALU_DEP_1)
	v_add_nc_u32_e32 v3, v0, v2
.LBB56_128:                             ;   in Loop: Header=BB56_130 Depth=1
	ds_load_b64 v[4:5], v1
	s_wait_dscnt 0x0
	global_store_b64 v3, v[4:5], s[20:21] scale_offset
.LBB56_129:                             ;   in Loop: Header=BB56_130 Depth=1
	s_wait_xcnt 0x0
	s_or_b32 exec_lo, exec_lo, s4
	v_dual_add_nc_u32 v2, 2, v2 :: v_dual_add_nc_u32 v1, 16, v1
	s_delay_alu instid0(VALU_DEP_1) | instskip(SKIP_1) | instid1(SALU_CYCLE_1)
	v_cmp_le_i32_e32 vcc_lo, s30, v2
	s_or_b32 s2, vcc_lo, s2
	s_and_not1_b32 exec_lo, exec_lo, s2
	s_cbranch_execz .LBB56_134
.LBB56_130:                             ; =>This Inner Loop Header: Depth=1
	s_and_saveexec_b32 s4, s0
	s_cbranch_execz .LBB56_129
; %bb.131:                              ;   in Loop: Header=BB56_130 Depth=1
	s_and_b32 vcc_lo, exec_lo, s3
	s_cbranch_vccz .LBB56_133
; %bb.132:                              ;   in Loop: Header=BB56_130 Depth=1
	v_add_nc_u32_e32 v3, s13, v2
	s_delay_alu instid0(VALU_DEP_1)
	v_mad_u32 v3, v3, s30, v11
	s_cbranch_execnz .LBB56_128
	s_branch .LBB56_127
.LBB56_133:                             ;   in Loop: Header=BB56_130 Depth=1
                                        ; implicit-def: $vgpr3
	s_branch .LBB56_127
.LBB56_134:
	s_or_b32 exec_lo, exec_lo, s1
	v_or_b32_e32 v0, v10, v11
	s_mov_b32 s0, 0
	s_mov_b32 s1, exec_lo
	s_delay_alu instid0(VALU_DEP_1)
	v_cmpx_eq_u32_e32 0, v0
	s_cbranch_execz .LBB56_136
; %bb.135:
	v_dual_mov_b32 v0, 0 :: v_dual_mov_b32 v1, 1
	s_add_nc_u64 s[2:3], s[10:11], s[6:7]
	global_wb scope:SCOPE_DEV
	s_wait_storecnt 0x0
	global_store_b32 v0, v1, s[2:3] scope:SCOPE_DEV
.LBB56_136:
	s_wait_xcnt 0x0
	s_or_b32 exec_lo, exec_lo, s1
	s_delay_alu instid0(SALU_CYCLE_1)
	s_and_b32 vcc_lo, exec_lo, s0
	s_cbranch_vccnz .LBB56_139
.LBB56_137:
	s_endpgm
.LBB56_138:
	s_cbranch_execz .LBB56_137
.LBB56_139:
	v_or_b32_e32 v0, v10, v11
	s_mov_b32 s0, exec_lo
	s_delay_alu instid0(VALU_DEP_1)
	v_cmpx_eq_u32_e32 0, v0
	s_cbranch_execz .LBB56_137
; %bb.140:
	v_mbcnt_lo_u32_b32 v0, exec_lo, 0
	s_mov_b32 s0, exec_lo
	s_delay_alu instid0(VALU_DEP_1)
	v_cmpx_eq_u32_e32 0, v0
	s_cbranch_execz .LBB56_142
; %bb.141:
	s_add_co_i32 s1, s12, s5
	s_delay_alu instid0(SALU_CYCLE_1)
	v_dual_mov_b32 v0, 0 :: v_dual_mov_b32 v1, s1
	global_atomic_min_i32 v0, v1, s[14:15] scope:SCOPE_DEV
.LBB56_142:
	s_wait_xcnt 0x0
	s_or_b32 exec_lo, exec_lo, s0
	v_dual_mov_b32 v0, 0 :: v_dual_mov_b32 v1, 1
	s_add_nc_u64 s[0:1], s[10:11], s[6:7]
	global_wb scope:SCOPE_DEV
	s_wait_storecnt 0x0
	global_store_b32 v0, v1, s[0:1] scope:SCOPE_DEV
	s_endpgm
	.section	.rodata,"a",@progbits
	.p2align	6, 0x0
	.amdhsa_kernel _ZN9rocsparseL19bsric0_17_32_kernelILi64ELi128ELi32E21rocsparse_complex_numIfEEEv20rocsparse_direction_iiPKiS5_PT2_S5_PiS5_S8_21rocsparse_index_base_
		.amdhsa_group_segment_fixed_size 26880
		.amdhsa_private_segment_fixed_size 0
		.amdhsa_kernarg_size 76
		.amdhsa_user_sgpr_count 2
		.amdhsa_user_sgpr_dispatch_ptr 0
		.amdhsa_user_sgpr_queue_ptr 0
		.amdhsa_user_sgpr_kernarg_segment_ptr 1
		.amdhsa_user_sgpr_dispatch_id 0
		.amdhsa_user_sgpr_kernarg_preload_length 0
		.amdhsa_user_sgpr_kernarg_preload_offset 0
		.amdhsa_user_sgpr_private_segment_size 0
		.amdhsa_wavefront_size32 1
		.amdhsa_uses_dynamic_stack 0
		.amdhsa_enable_private_segment 0
		.amdhsa_system_sgpr_workgroup_id_x 1
		.amdhsa_system_sgpr_workgroup_id_y 0
		.amdhsa_system_sgpr_workgroup_id_z 0
		.amdhsa_system_sgpr_workgroup_info 0
		.amdhsa_system_vgpr_workitem_id 1
		.amdhsa_next_free_vgpr 145
		.amdhsa_next_free_sgpr 47
		.amdhsa_named_barrier_count 0
		.amdhsa_reserve_vcc 1
		.amdhsa_float_round_mode_32 0
		.amdhsa_float_round_mode_16_64 0
		.amdhsa_float_denorm_mode_32 3
		.amdhsa_float_denorm_mode_16_64 3
		.amdhsa_fp16_overflow 0
		.amdhsa_memory_ordered 1
		.amdhsa_forward_progress 1
		.amdhsa_inst_pref_size 43
		.amdhsa_round_robin_scheduling 0
		.amdhsa_exception_fp_ieee_invalid_op 0
		.amdhsa_exception_fp_denorm_src 0
		.amdhsa_exception_fp_ieee_div_zero 0
		.amdhsa_exception_fp_ieee_overflow 0
		.amdhsa_exception_fp_ieee_underflow 0
		.amdhsa_exception_fp_ieee_inexact 0
		.amdhsa_exception_int_div_zero 0
	.end_amdhsa_kernel
	.section	.text._ZN9rocsparseL19bsric0_17_32_kernelILi64ELi128ELi32E21rocsparse_complex_numIfEEEv20rocsparse_direction_iiPKiS5_PT2_S5_PiS5_S8_21rocsparse_index_base_,"axG",@progbits,_ZN9rocsparseL19bsric0_17_32_kernelILi64ELi128ELi32E21rocsparse_complex_numIfEEEv20rocsparse_direction_iiPKiS5_PT2_S5_PiS5_S8_21rocsparse_index_base_,comdat
.Lfunc_end56:
	.size	_ZN9rocsparseL19bsric0_17_32_kernelILi64ELi128ELi32E21rocsparse_complex_numIfEEEv20rocsparse_direction_iiPKiS5_PT2_S5_PiS5_S8_21rocsparse_index_base_, .Lfunc_end56-_ZN9rocsparseL19bsric0_17_32_kernelILi64ELi128ELi32E21rocsparse_complex_numIfEEEv20rocsparse_direction_iiPKiS5_PT2_S5_PiS5_S8_21rocsparse_index_base_
                                        ; -- End function
	.set _ZN9rocsparseL19bsric0_17_32_kernelILi64ELi128ELi32E21rocsparse_complex_numIfEEEv20rocsparse_direction_iiPKiS5_PT2_S5_PiS5_S8_21rocsparse_index_base_.num_vgpr, 48
	.set _ZN9rocsparseL19bsric0_17_32_kernelILi64ELi128ELi32E21rocsparse_complex_numIfEEEv20rocsparse_direction_iiPKiS5_PT2_S5_PiS5_S8_21rocsparse_index_base_.num_agpr, 0
	.set _ZN9rocsparseL19bsric0_17_32_kernelILi64ELi128ELi32E21rocsparse_complex_numIfEEEv20rocsparse_direction_iiPKiS5_PT2_S5_PiS5_S8_21rocsparse_index_base_.numbered_sgpr, 47
	.set _ZN9rocsparseL19bsric0_17_32_kernelILi64ELi128ELi32E21rocsparse_complex_numIfEEEv20rocsparse_direction_iiPKiS5_PT2_S5_PiS5_S8_21rocsparse_index_base_.num_named_barrier, 0
	.set _ZN9rocsparseL19bsric0_17_32_kernelILi64ELi128ELi32E21rocsparse_complex_numIfEEEv20rocsparse_direction_iiPKiS5_PT2_S5_PiS5_S8_21rocsparse_index_base_.private_seg_size, 0
	.set _ZN9rocsparseL19bsric0_17_32_kernelILi64ELi128ELi32E21rocsparse_complex_numIfEEEv20rocsparse_direction_iiPKiS5_PT2_S5_PiS5_S8_21rocsparse_index_base_.uses_vcc, 1
	.set _ZN9rocsparseL19bsric0_17_32_kernelILi64ELi128ELi32E21rocsparse_complex_numIfEEEv20rocsparse_direction_iiPKiS5_PT2_S5_PiS5_S8_21rocsparse_index_base_.uses_flat_scratch, 0
	.set _ZN9rocsparseL19bsric0_17_32_kernelILi64ELi128ELi32E21rocsparse_complex_numIfEEEv20rocsparse_direction_iiPKiS5_PT2_S5_PiS5_S8_21rocsparse_index_base_.has_dyn_sized_stack, 0
	.set _ZN9rocsparseL19bsric0_17_32_kernelILi64ELi128ELi32E21rocsparse_complex_numIfEEEv20rocsparse_direction_iiPKiS5_PT2_S5_PiS5_S8_21rocsparse_index_base_.has_recursion, 0
	.set _ZN9rocsparseL19bsric0_17_32_kernelILi64ELi128ELi32E21rocsparse_complex_numIfEEEv20rocsparse_direction_iiPKiS5_PT2_S5_PiS5_S8_21rocsparse_index_base_.has_indirect_call, 0
	.section	.AMDGPU.csdata,"",@progbits
; Kernel info:
; codeLenInByte = 5456
; TotalNumSgprs: 49
; NumVgprs: 48
; ScratchSize: 0
; MemoryBound: 0
; FloatMode: 240
; IeeeMode: 1
; LDSByteSize: 26880 bytes/workgroup (compile time only)
; SGPRBlocks: 0
; VGPRBlocks: 9
; NumSGPRsForWavesPerEU: 49
; NumVGPRsForWavesPerEU: 145
; NamedBarCnt: 0
; Occupancy: 6
; WaveLimiterHint : 1
; COMPUTE_PGM_RSRC2:SCRATCH_EN: 0
; COMPUTE_PGM_RSRC2:USER_SGPR: 2
; COMPUTE_PGM_RSRC2:TRAP_HANDLER: 0
; COMPUTE_PGM_RSRC2:TGID_X_EN: 1
; COMPUTE_PGM_RSRC2:TGID_Y_EN: 0
; COMPUTE_PGM_RSRC2:TGID_Z_EN: 0
; COMPUTE_PGM_RSRC2:TIDIG_COMP_CNT: 1
	.section	.text._ZN9rocsparseL23bsric0_binsearch_kernelILj32ELj32ELb0E21rocsparse_complex_numIdEEEv20rocsparse_direction_iiPKiS5_PT2_S5_PiS5_S8_21rocsparse_index_base_,"axG",@progbits,_ZN9rocsparseL23bsric0_binsearch_kernelILj32ELj32ELb0E21rocsparse_complex_numIdEEEv20rocsparse_direction_iiPKiS5_PT2_S5_PiS5_S8_21rocsparse_index_base_,comdat
	.globl	_ZN9rocsparseL23bsric0_binsearch_kernelILj32ELj32ELb0E21rocsparse_complex_numIdEEEv20rocsparse_direction_iiPKiS5_PT2_S5_PiS5_S8_21rocsparse_index_base_ ; -- Begin function _ZN9rocsparseL23bsric0_binsearch_kernelILj32ELj32ELb0E21rocsparse_complex_numIdEEEv20rocsparse_direction_iiPKiS5_PT2_S5_PiS5_S8_21rocsparse_index_base_
	.p2align	8
	.type	_ZN9rocsparseL23bsric0_binsearch_kernelILj32ELj32ELb0E21rocsparse_complex_numIdEEEv20rocsparse_direction_iiPKiS5_PT2_S5_PiS5_S8_21rocsparse_index_base_,@function
_ZN9rocsparseL23bsric0_binsearch_kernelILj32ELj32ELb0E21rocsparse_complex_numIdEEEv20rocsparse_direction_iiPKiS5_PT2_S5_PiS5_S8_21rocsparse_index_base_: ; @_ZN9rocsparseL23bsric0_binsearch_kernelILj32ELj32ELb0E21rocsparse_complex_numIdEEEv20rocsparse_direction_iiPKiS5_PT2_S5_PiS5_S8_21rocsparse_index_base_
; %bb.0:
	s_load_b256 s[8:15], s[0:1], 0x28
	s_bfe_u32 s2, ttmp6, 0x4000c
	s_and_b32 s3, ttmp6, 15
	s_add_co_i32 s2, s2, 1
	s_getreg_b32 s4, hwreg(HW_REG_IB_STS2, 6, 4)
	s_mul_i32 s2, ttmp9, s2
	s_load_b32 s7, s[0:1], 0x48
	s_add_co_i32 s3, s3, s2
	s_cmp_eq_u32 s4, 0
	s_cselect_b32 s2, ttmp9, s3
	s_delay_alu instid0(SALU_CYCLE_1)
	v_mov_b32_e32 v1, s2
	s_wait_kmcnt 0x0
	global_load_b32 v10, v1, s[12:13] scale_offset
	s_wait_loadcnt 0x0
	global_load_b32 v1, v10, s[8:9] scale_offset
	v_ashrrev_i32_e32 v11, 31, v10
	s_wait_loadcnt 0x0
	v_readfirstlane_b32 s2, v1
	s_cmp_lg_u32 s2, -1
	s_cselect_b32 s2, -1, 0
	s_delay_alu instid0(SALU_CYCLE_1) | instskip(NEXT) | instid1(SALU_CYCLE_1)
	s_and_saveexec_b32 s3, s2
	s_xor_b32 s20, exec_lo, s3
	s_cbranch_execz .LBB57_76
; %bb.1:
	s_load_b32 s21, s[0:1], 0x8
	s_mov_b32 s22, exec_lo
	s_wait_kmcnt 0x0
	v_cmpx_gt_i32_e64 s21, v0
	s_cbranch_execz .LBB57_73
; %bb.2:
	s_clause 0x2
	s_load_b128 s[16:19], s[0:1], 0x10
	s_load_b32 s5, s[0:1], 0x0
	s_load_b64 s[12:13], s[0:1], 0x20
	s_mul_i32 s23, s21, s21
	s_wait_xcnt 0x0
	v_cmp_ne_u32_e64 s0, 0, v0
	v_mul_lo_u32 v32, v1, s23
	s_mov_b32 s24, 0
	v_dual_mov_b32 v4, 0 :: v_dual_add_nc_u32 v31, s7, v10
	s_wait_kmcnt 0x0
	v_lshl_add_u64 v[2:3], v[10:11], 2, s[16:17]
	s_cmp_eq_u32 s5, 0
	s_cselect_b32 s1, -1, 0
	s_cmp_lg_u32 s5, 0
	global_load_b64 v[2:3], v[2:3], off
	s_cselect_b32 s25, -1, 0
	s_wait_loadcnt 0x0
	v_subrev_nc_u32_e32 v28, s7, v2
	v_xad_u32 v29, s7, -1, v3
	s_delay_alu instid0(VALU_DEP_2) | instskip(NEXT) | instid1(VALU_DEP_2)
	v_mul_lo_u32 v30, s23, v28
	v_add_nc_u32_e32 v2, v29, v28
	v_cmp_lt_i32_e64 s2, v28, v1
	v_cmp_ge_i32_e64 s3, v28, v1
	v_cmp_lt_i32_e64 s4, v28, v29
	s_delay_alu instid0(VALU_DEP_4) | instskip(NEXT) | instid1(VALU_DEP_1)
	v_ashrrev_i32_e32 v12, 1, v2
	v_ashrrev_i32_e32 v13, 31, v12
	v_add_nc_u32_e32 v33, v30, v0
	s_delay_alu instid0(VALU_DEP_2)
	v_lshl_add_u64 v[14:15], v[12:13], 2, s[18:19]
	v_mov_b32_e32 v13, v0
	s_branch .LBB57_4
.LBB57_3:                               ;   in Loop: Header=BB57_4 Depth=1
	v_add_nc_u32_e32 v13, 32, v13
	v_add_nc_u32_e32 v33, 32, v33
	s_delay_alu instid0(VALU_DEP_2) | instskip(SKIP_1) | instid1(SALU_CYCLE_1)
	v_cmp_le_i32_e32 vcc_lo, s21, v13
	s_or_b32 s24, vcc_lo, s24
	s_and_not1_b32 exec_lo, exec_lo, s24
	s_cbranch_execz .LBB57_73
.LBB57_4:                               ; =>This Loop Header: Depth=1
                                        ;     Child Loop BB57_10 Depth 2
                                        ;       Child Loop BB57_13 Depth 3
                                        ;       Child Loop BB57_17 Depth 3
                                        ;         Child Loop BB57_19 Depth 4
                                        ;         Child Loop BB57_26 Depth 4
                                        ;           Child Loop BB57_28 Depth 5
                                        ;           Child Loop BB57_34 Depth 5
                                        ;     Child Loop BB57_41 Depth 2
                                        ;       Child Loop BB57_51 Depth 3
                                        ;       Child Loop BB57_59 Depth 3
                                        ;         Child Loop BB57_61 Depth 4
                                        ;       Child Loop BB57_69 Depth 3
	s_delay_alu instid0(VALU_DEP_1) | instskip(SKIP_1) | instid1(SALU_CYCLE_1)
	v_mul_lo_u32 v34, v13, s21
	s_and_saveexec_b32 s5, s3
	s_xor_b32 s5, exec_lo, s5
; %bb.5:                                ;   in Loop: Header=BB57_4 Depth=1
	v_mul_lo_u32 v34, v13, s21
; %bb.6:                                ;   in Loop: Header=BB57_4 Depth=1
	s_or_saveexec_b32 s26, s5
	v_mov_b64_e32 v[16:17], 0
	v_mov_b64_e32 v[18:19], 0
	s_xor_b32 exec_lo, exec_lo, s26
	s_cbranch_execz .LBB57_38
; %bb.7:                                ;   in Loop: Header=BB57_4 Depth=1
	v_mov_b64_e32 v[16:17], 0
	v_mov_b64_e32 v[18:19], 0
	v_mov_b32_e32 v5, v28
	s_mov_b32 s27, 0
                                        ; implicit-def: $sgpr28
	s_branch .LBB57_10
.LBB57_8:                               ;   in Loop: Header=BB57_10 Depth=2
	v_add_nc_u32_e32 v5, 1, v5
	s_and_not1_b32 s5, s28, exec_lo
	s_delay_alu instid0(VALU_DEP_1) | instskip(SKIP_1) | instid1(SALU_CYCLE_1)
	v_cmp_ge_i32_e32 vcc_lo, v5, v1
	s_and_b32 s6, vcc_lo, exec_lo
	s_or_b32 s28, s5, s6
.LBB57_9:                               ;   in Loop: Header=BB57_10 Depth=2
	s_wait_xcnt 0x0
	s_or_b32 exec_lo, exec_lo, s29
	s_delay_alu instid0(SALU_CYCLE_1) | instskip(NEXT) | instid1(SALU_CYCLE_1)
	s_and_b32 s5, exec_lo, s28
	s_or_b32 s27, s5, s27
	s_delay_alu instid0(SALU_CYCLE_1)
	s_and_not1_b32 exec_lo, exec_lo, s27
	s_cbranch_execz .LBB57_37
.LBB57_10:                              ;   Parent Loop BB57_4 Depth=1
                                        ; =>  This Loop Header: Depth=2
                                        ;       Child Loop BB57_13 Depth 3
                                        ;       Child Loop BB57_17 Depth 3
                                        ;         Child Loop BB57_19 Depth 4
                                        ;         Child Loop BB57_26 Depth 4
                                        ;           Child Loop BB57_28 Depth 5
                                        ;           Child Loop BB57_34 Depth 5
	global_load_b32 v35, v5, s[18:19] scale_offset
	s_or_b32 s28, s28, exec_lo
	s_mov_b32 s29, exec_lo
	s_wait_loadcnt 0x0
	v_subrev_nc_u32_e32 v2, s7, v35
	global_load_b32 v36, v2, s[8:9] scale_offset
	s_wait_loadcnt 0x0
	s_wait_xcnt 0x0
	v_cmpx_ne_u32_e32 -1, v36
	s_cbranch_execz .LBB57_9
; %bb.11:                               ;   in Loop: Header=BB57_10 Depth=2
	v_ashrrev_i32_e32 v3, 31, v2
	s_mov_b32 s5, exec_lo
	s_delay_alu instid0(VALU_DEP_1) | instskip(NEXT) | instid1(VALU_DEP_1)
	v_lshlrev_b64_e32 v[6:7], 2, v[2:3]
	v_add_nc_u64_e32 v[8:9], s[16:17], v[6:7]
	v_add_nc_u64_e32 v[6:7], s[10:11], v[6:7]
	global_load_b32 v3, v[8:9], off
	global_load_b32 v20, v[6:7], off scope:SCOPE_DEV
	s_wait_loadcnt 0x0
	s_wait_xcnt 0x0
	v_cmpx_eq_u32_e32 0, v20
	s_cbranch_execz .LBB57_14
; %bb.12:                               ;   in Loop: Header=BB57_10 Depth=2
	s_mov_b32 s6, 0
.LBB57_13:                              ;   Parent Loop BB57_4 Depth=1
                                        ;     Parent Loop BB57_10 Depth=2
                                        ; =>    This Inner Loop Header: Depth=3
	global_load_b32 v8, v[6:7], off scope:SCOPE_DEV
	s_wait_loadcnt 0x0
	v_cmp_ne_u32_e32 vcc_lo, 0, v8
	s_or_b32 s6, vcc_lo, s6
	s_wait_xcnt 0x0
	s_and_not1_b32 exec_lo, exec_lo, s6
	s_cbranch_execnz .LBB57_13
.LBB57_14:                              ;   in Loop: Header=BB57_10 Depth=2
	s_or_b32 exec_lo, exec_lo, s5
	v_mul_lo_u32 v6, v5, s23
	v_subrev_nc_u32_e32 v37, s7, v3
	v_mul_lo_u32 v38, v2, s21
	v_mul_lo_u32 v39, v36, s23
	s_mov_b32 s30, 0
	global_inv scope:SCOPE_DEV
	v_mul_lo_u32 v40, s23, v37
	v_cmp_le_i32_e64 s5, v37, v36
	v_dual_add_nc_u32 v41, v6, v13 :: v_dual_add_nc_u32 v42, v6, v34
	s_branch .LBB57_17
.LBB57_15:                              ;   in Loop: Header=BB57_17 Depth=3
	s_or_b32 exec_lo, exec_lo, s33
.LBB57_16:                              ;   in Loop: Header=BB57_17 Depth=3
	s_delay_alu instid0(SALU_CYCLE_1) | instskip(SKIP_4) | instid1(VALU_DEP_3)
	s_or_b32 exec_lo, exec_lo, s6
	v_dual_mul_f64 v[44:45], v[20:21], v[20:21] :: v_dual_ashrrev_i32 v27, 31, v26
	s_wait_loadcnt 0x0
	v_dual_add_f64 v[8:9], v[8:9], -v[22:23] :: v_dual_add_nc_u32 v40, 1, v40
	v_add_f64_e64 v[6:7], v[6:7], -v[24:25]
	v_lshl_add_u64 v[26:27], v[26:27], 4, s[12:13]
	s_add_co_i32 s30, s30, 1
	s_delay_alu instid0(SALU_CYCLE_1) | instskip(NEXT) | instid1(VALU_DEP_4)
	s_cmp_eq_u32 s30, s21
	v_fmac_f64_e32 v[44:45], v[2:3], v[2:3]
	s_delay_alu instid0(VALU_DEP_4) | instskip(NEXT) | instid1(VALU_DEP_4)
	v_mul_f64_e32 v[24:25], v[20:21], v[8:9]
	v_mul_f64_e64 v[20:21], v[20:21], -v[6:7]
	s_delay_alu instid0(VALU_DEP_3) | instskip(SKIP_1) | instid1(VALU_DEP_4)
	v_div_scale_f64 v[46:47], null, v[44:45], v[44:45], 1.0
	v_div_scale_f64 v[52:53], vcc_lo, 1.0, v[44:45], 1.0
	v_fmac_f64_e32 v[24:25], v[6:7], v[2:3]
	s_delay_alu instid0(VALU_DEP_4) | instskip(NEXT) | instid1(VALU_DEP_4)
	v_fmac_f64_e32 v[20:21], v[8:9], v[2:3]
	v_rcp_f64_e32 v[48:49], v[46:47]
	v_nop
	s_delay_alu instid0(TRANS32_DEP_1) | instskip(NEXT) | instid1(VALU_DEP_1)
	v_fma_f64 v[50:51], -v[46:47], v[48:49], 1.0
	v_fmac_f64_e32 v[48:49], v[48:49], v[50:51]
	s_delay_alu instid0(VALU_DEP_1) | instskip(NEXT) | instid1(VALU_DEP_1)
	v_fma_f64 v[50:51], -v[46:47], v[48:49], 1.0
	v_fmac_f64_e32 v[48:49], v[48:49], v[50:51]
	s_delay_alu instid0(VALU_DEP_1) | instskip(NEXT) | instid1(VALU_DEP_1)
	v_mul_f64_e32 v[50:51], v[52:53], v[48:49]
	v_fma_f64 v[22:23], -v[46:47], v[50:51], v[52:53]
	s_delay_alu instid0(VALU_DEP_1) | instskip(NEXT) | instid1(VALU_DEP_1)
	v_div_fmas_f64 v[22:23], v[22:23], v[48:49], v[50:51]
	v_div_fixup_f64 v[22:23], v[22:23], v[44:45], 1.0
	s_delay_alu instid0(VALU_DEP_1) | instskip(SKIP_1) | instid1(VALU_DEP_2)
	v_mul_f64_e32 v[6:7], v[22:23], v[24:25]
	v_mul_f64_e32 v[8:9], v[22:23], v[20:21]
	v_fmac_f64_e32 v[18:19], v[6:7], v[6:7]
	s_delay_alu instid0(VALU_DEP_2)
	v_fmac_f64_e32 v[16:17], v[8:9], v[6:7]
	global_store_b128 v[26:27], v[6:9], off
	v_fmac_f64_e32 v[18:19], v[8:9], v[8:9]
	v_fma_f64 v[16:17], v[6:7], -v[8:9], v[16:17]
	s_cbranch_scc1 .LBB57_8
.LBB57_17:                              ;   Parent Loop BB57_4 Depth=1
                                        ;     Parent Loop BB57_10 Depth=2
                                        ; =>    This Loop Header: Depth=3
                                        ;         Child Loop BB57_19 Depth 4
                                        ;         Child Loop BB57_26 Depth 4
                                        ;           Child Loop BB57_28 Depth 5
                                        ;           Child Loop BB57_34 Depth 5
	s_mul_i32 s31, s30, s21
	s_delay_alu instid0(SALU_CYCLE_1)
	v_add3_u32 v2, s31, s30, v39
	global_load_b128 v[6:9], v2, s[12:13] scale_offset
	s_wait_loadcnt 0x0
	v_cmp_neq_f64_e32 vcc_lo, 0, v[6:7]
	v_cmp_neq_f64_e64 s6, 0, v[8:9]
	s_or_b32 vcc_lo, vcc_lo, s6
	v_cndmask_b32_e32 v3, 0x3ff00000, v7, vcc_lo
	s_wait_xcnt 0x0
	v_dual_cndmask_b32 v2, 0, v6 :: v_dual_cndmask_b32 v21, 0, v9
	v_cndmask_b32_e32 v20, 0, v8, vcc_lo
	s_nor_b32 s33, vcc_lo, s0
	s_delay_alu instid0(SALU_CYCLE_1)
	s_and_saveexec_b32 s6, s33
	s_cbranch_execz .LBB57_23
; %bb.18:                               ;   in Loop: Header=BB57_17 Depth=3
	s_mov_b32 s34, exec_lo
	s_brev_b32 s33, -2
.LBB57_19:                              ;   Parent Loop BB57_4 Depth=1
                                        ;     Parent Loop BB57_10 Depth=2
                                        ;       Parent Loop BB57_17 Depth=3
                                        ; =>      This Inner Loop Header: Depth=4
	s_ctz_i32_b32 s35, s34
	s_delay_alu instid0(SALU_CYCLE_1) | instskip(SKIP_1) | instid1(SALU_CYCLE_1)
	v_readlane_b32 s36, v35, s35
	s_lshl_b32 s35, 1, s35
	s_and_not1_b32 s34, s34, s35
	s_min_i32 s33, s33, s36
	s_cmp_lg_u32 s34, 0
	s_cbranch_scc1 .LBB57_19
; %bb.20:                               ;   in Loop: Header=BB57_17 Depth=3
	v_mbcnt_lo_u32_b32 v2, exec_lo, 0
	s_mov_b32 s34, exec_lo
	s_delay_alu instid0(VALU_DEP_1)
	v_cmpx_eq_u32_e32 0, v2
	s_xor_b32 s34, exec_lo, s34
	s_cbranch_execz .LBB57_22
; %bb.21:                               ;   in Loop: Header=BB57_17 Depth=3
	v_mov_b32_e32 v2, s33
	global_atomic_min_i32 v4, v2, s[14:15] scope:SCOPE_DEV
.LBB57_22:                              ;   in Loop: Header=BB57_17 Depth=3
	s_wait_xcnt 0x0
	s_or_b32 exec_lo, exec_lo, s34
	v_mov_b64_e32 v[2:3], 1.0
	v_mov_b64_e32 v[20:21], 0
.LBB57_23:                              ;   in Loop: Header=BB57_17 Depth=3
	s_or_b32 exec_lo, exec_lo, s6
	v_dual_add_nc_u32 v6, s30, v42 :: v_dual_add_nc_u32 v7, s31, v41
	v_mov_b64_e32 v[22:23], 0
	v_mov_b64_e32 v[24:25], 0
	s_delay_alu instid0(VALU_DEP_3)
	v_cndmask_b32_e64 v26, v7, v6, s1
	global_load_b128 v[6:9], v26, s[12:13] scale_offset
	s_wait_xcnt 0x0
	s_and_saveexec_b32 s6, s5
	s_cbranch_execz .LBB57_16
; %bb.24:                               ;   in Loop: Header=BB57_17 Depth=3
	global_load_b32 v27, v[14:15], off
	v_mov_b64_e32 v[22:23], 0
	v_mov_b64_e32 v[24:25], 0
	v_dual_mov_b32 v44, v40 :: v_dual_add_nc_u32 v43, s30, v38
	v_mov_b32_e32 v45, v37
	s_mov_b32 s33, 0
	s_branch .LBB57_26
.LBB57_25:                              ;   in Loop: Header=BB57_26 Depth=4
	s_or_b32 exec_lo, exec_lo, s34
	v_dual_add_nc_u32 v46, 1, v45 :: v_dual_add_nc_u32 v44, s23, v44
	v_cmp_ge_i32_e32 vcc_lo, v45, v36
	s_delay_alu instid0(VALU_DEP_2) | instskip(SKIP_1) | instid1(SALU_CYCLE_1)
	v_mov_b32_e32 v45, v46
	s_or_b32 s33, vcc_lo, s33
	s_and_not1_b32 exec_lo, exec_lo, s33
	s_cbranch_execz .LBB57_15
.LBB57_26:                              ;   Parent Loop BB57_4 Depth=1
                                        ;     Parent Loop BB57_10 Depth=2
                                        ;       Parent Loop BB57_17 Depth=3
                                        ; =>      This Loop Header: Depth=4
                                        ;           Child Loop BB57_28 Depth 5
                                        ;           Child Loop BB57_34 Depth 5
	global_load_b32 v46, v45, s[18:19] scale_offset
	s_wait_loadcnt 0x1
	v_dual_mov_b32 v48, v27 :: v_dual_mov_b32 v47, v12
	s_wait_xcnt 0x0
	s_and_saveexec_b32 s34, s4
	s_cbranch_execz .LBB57_30
; %bb.27:                               ;   in Loop: Header=BB57_26 Depth=4
	v_dual_mov_b32 v48, v27 :: v_dual_mov_b32 v47, v12
	v_dual_mov_b32 v49, v28 :: v_dual_mov_b32 v50, v29
	s_mov_b32 s35, 0
.LBB57_28:                              ;   Parent Loop BB57_4 Depth=1
                                        ;     Parent Loop BB57_10 Depth=2
                                        ;       Parent Loop BB57_17 Depth=3
                                        ;         Parent Loop BB57_26 Depth=4
                                        ; =>        This Inner Loop Header: Depth=5
	s_wait_loadcnt 0x0
	s_delay_alu instid0(VALU_DEP_2) | instskip(NEXT) | instid1(VALU_DEP_2)
	v_cmp_lt_i32_e32 vcc_lo, v48, v46
	v_dual_cndmask_b32 v50, v47, v50 :: v_dual_add_nc_u32 v51, 1, v47
	s_delay_alu instid0(VALU_DEP_1) | instskip(NEXT) | instid1(VALU_DEP_1)
	v_cndmask_b32_e32 v49, v49, v51, vcc_lo
	v_add_nc_u32_e32 v47, v50, v49
	v_cmp_ge_i32_e32 vcc_lo, v49, v50
	s_delay_alu instid0(VALU_DEP_2)
	v_ashrrev_i32_e32 v47, 1, v47
	s_or_b32 s35, vcc_lo, s35
	global_load_b32 v48, v47, s[18:19] scale_offset
	s_wait_xcnt 0x0
	s_and_not1_b32 exec_lo, exec_lo, s35
	s_cbranch_execnz .LBB57_28
; %bb.29:                               ;   in Loop: Header=BB57_26 Depth=4
	s_or_b32 exec_lo, exec_lo, s35
.LBB57_30:                              ;   in Loop: Header=BB57_26 Depth=4
	s_delay_alu instid0(SALU_CYCLE_1) | instskip(NEXT) | instid1(SALU_CYCLE_1)
	s_or_b32 exec_lo, exec_lo, s34
	s_mov_b32 s34, exec_lo
	s_wait_loadcnt 0x0
	v_cmpx_eq_u32_e64 v48, v46
	s_cbranch_execz .LBB57_25
; %bb.31:                               ;   in Loop: Header=BB57_26 Depth=4
	v_mul_lo_u32 v49, v47, s23
	v_subrev_nc_u32_e32 v47, s7, v46
	v_mad_u32 v46, v45, s23, s31
	s_mov_b32 s35, 0
	v_mov_b32_e32 v50, v44
	s_delay_alu instid0(VALU_DEP_3)
	v_mul_lo_u32 v47, v47, s21
	v_add_nc_u32_e32 v48, v49, v34
	v_add_nc_u32_e32 v49, v13, v49
	s_branch .LBB57_34
.LBB57_32:                              ;   in Loop: Header=BB57_34 Depth=5
	s_clause 0x1
	global_load_b128 v[54:57], v51, s[12:13] scale_offset
	global_load_b128 v[58:61], v52, s[12:13] scale_offset
	s_wait_loadcnt 0x0
	v_fmac_f64_e32 v[24:25], v[54:55], v[58:59]
	v_fmac_f64_e32 v[22:23], v[56:57], v[58:59]
	s_delay_alu instid0(VALU_DEP_2) | instskip(NEXT) | instid1(VALU_DEP_2)
	v_fmac_f64_e32 v[24:25], v[56:57], v[60:61]
	v_fma_f64 v[22:23], v[54:55], -v[60:61], v[22:23]
.LBB57_33:                              ;   in Loop: Header=BB57_34 Depth=5
	s_wait_xcnt 0x0
	s_or_b32 exec_lo, exec_lo, s36
	v_dual_add_nc_u32 v49, s21, v49 :: v_dual_add_nc_u32 v50, s21, v50
	s_add_co_i32 s35, s35, 1
	s_delay_alu instid0(SALU_CYCLE_1)
	s_cmp_lg_u32 s21, s35
	s_cbranch_scc0 .LBB57_25
.LBB57_34:                              ;   Parent Loop BB57_4 Depth=1
                                        ;     Parent Loop BB57_10 Depth=2
                                        ;       Parent Loop BB57_17 Depth=3
                                        ;         Parent Loop BB57_26 Depth=4
                                        ; =>        This Inner Loop Header: Depth=5
	s_delay_alu instid0(VALU_DEP_3) | instskip(SKIP_1) | instid1(VALU_DEP_1)
	v_add_nc_u32_e32 v51, s35, v47
	s_mov_b32 s36, exec_lo
	v_cmpx_lt_i32_e64 v51, v43
	s_cbranch_execz .LBB57_33
; %bb.35:                               ;   in Loop: Header=BB57_34 Depth=5
	v_dual_mov_b32 v52, v49 :: v_dual_mov_b32 v51, v50
	s_and_not1_b32 vcc_lo, exec_lo, s1
	s_cbranch_vccnz .LBB57_32
; %bb.36:                               ;   in Loop: Header=BB57_34 Depth=5
	v_dual_add_nc_u32 v51, s35, v46 :: v_dual_add_nc_u32 v52, s35, v48
	s_branch .LBB57_32
.LBB57_37:                              ;   in Loop: Header=BB57_4 Depth=1
	s_or_b32 exec_lo, exec_lo, s27
.LBB57_38:                              ;   in Loop: Header=BB57_4 Depth=1
	s_delay_alu instid0(SALU_CYCLE_1) | instskip(NEXT) | instid1(VALU_DEP_3)
	s_or_b32 exec_lo, exec_lo, s26
	v_add_nc_u32_e32 v35, v34, v32
	v_mov_b32_e32 v36, v30
	s_mov_b32 s6, 0
	s_branch .LBB57_41
.LBB57_39:                              ;   in Loop: Header=BB57_41 Depth=2
	s_wait_xcnt 0x0
	v_mul_f64_e32 v[38:39], v[2:3], v[2:3]
	s_wait_loadcnt 0x0
	s_delay_alu instid0(VALU_DEP_2) | instskip(NEXT) | instid1(VALU_DEP_4)
	v_add_f64_e64 v[8:9], v[8:9], -v[24:25]
	v_add_f64_e64 v[6:7], v[6:7], -v[22:23]
	s_delay_alu instid0(VALU_DEP_3) | instskip(NEXT) | instid1(VALU_DEP_3)
	v_fmac_f64_e32 v[38:39], v[20:21], v[20:21]
	v_mul_f64_e32 v[22:23], v[2:3], v[8:9]
	s_delay_alu instid0(VALU_DEP_3) | instskip(NEXT) | instid1(VALU_DEP_3)
	v_mul_f64_e64 v[2:3], v[2:3], -v[6:7]
	v_div_scale_f64 v[40:41], null, v[38:39], v[38:39], 1.0
	v_div_scale_f64 v[46:47], vcc_lo, 1.0, v[38:39], 1.0
	s_delay_alu instid0(VALU_DEP_4) | instskip(NEXT) | instid1(VALU_DEP_4)
	v_fmac_f64_e32 v[22:23], v[6:7], v[20:21]
	v_fmac_f64_e32 v[2:3], v[8:9], v[20:21]
	s_delay_alu instid0(VALU_DEP_4) | instskip(SKIP_1) | instid1(TRANS32_DEP_1)
	v_rcp_f64_e32 v[42:43], v[40:41]
	v_nop
	v_fma_f64 v[44:45], -v[40:41], v[42:43], 1.0
	s_delay_alu instid0(VALU_DEP_1) | instskip(NEXT) | instid1(VALU_DEP_1)
	v_fmac_f64_e32 v[42:43], v[42:43], v[44:45]
	v_fma_f64 v[44:45], -v[40:41], v[42:43], 1.0
	s_delay_alu instid0(VALU_DEP_1) | instskip(NEXT) | instid1(VALU_DEP_1)
	v_fmac_f64_e32 v[42:43], v[42:43], v[44:45]
	v_mul_f64_e32 v[44:45], v[46:47], v[42:43]
	s_delay_alu instid0(VALU_DEP_1) | instskip(NEXT) | instid1(VALU_DEP_1)
	v_fma_f64 v[24:25], -v[40:41], v[44:45], v[46:47]
	v_div_fmas_f64 v[24:25], v[24:25], v[42:43], v[44:45]
	s_delay_alu instid0(VALU_DEP_1) | instskip(NEXT) | instid1(VALU_DEP_1)
	v_div_fixup_f64 v[24:25], v[24:25], v[38:39], 1.0
	v_mul_f64_e32 v[6:7], v[24:25], v[22:23]
	v_mul_f64_e32 v[8:9], v[24:25], v[2:3]
	s_delay_alu instid0(VALU_DEP_2) | instskip(NEXT) | instid1(VALU_DEP_2)
	v_fmac_f64_e32 v[18:19], v[6:7], v[6:7]
	v_fmac_f64_e32 v[16:17], v[8:9], v[6:7]
	global_store_b128 v[26:27], v[6:9], off
	v_fmac_f64_e32 v[18:19], v[8:9], v[8:9]
	v_fma_f64 v[16:17], v[6:7], -v[8:9], v[16:17]
.LBB57_40:                              ;   in Loop: Header=BB57_41 Depth=2
	s_wait_xcnt 0x0
	s_or_b32 exec_lo, exec_lo, s5
	v_add_nc_u32_e32 v36, 1, v36
	s_add_co_i32 s6, s6, 1
	global_wb scope:SCOPE_DEV
	s_wait_storecnt 0x0
	global_inv scope:SCOPE_DEV
	s_cmp_eq_u32 s6, s21
	s_cbranch_scc1 .LBB57_3
.LBB57_41:                              ;   Parent Loop BB57_4 Depth=1
                                        ; =>  This Loop Header: Depth=2
                                        ;       Child Loop BB57_51 Depth 3
                                        ;       Child Loop BB57_59 Depth 3
                                        ;         Child Loop BB57_61 Depth 4
                                        ;       Child Loop BB57_69 Depth 3
	s_mul_i32 s26, s6, s21
	s_mov_b32 s5, exec_lo
	v_add_nc_u32_e32 v37, s26, v32
	s_delay_alu instid0(VALU_DEP_1) | instskip(NEXT) | instid1(VALU_DEP_1)
	v_add_nc_u32_e32 v2, s6, v37
	v_ashrrev_i32_e32 v3, 31, v2
	s_delay_alu instid0(VALU_DEP_1)
	v_lshl_add_u64 v[6:7], v[2:3], 4, s[12:13]
	v_cmpx_eq_u32_e64 s6, v13
	s_cbranch_execz .LBB57_49
; %bb.42:                               ;   in Loop: Header=BB57_41 Depth=2
	global_load_b128 v[20:23], v[6:7], off
	s_mov_b32 s27, exec_lo
	s_wait_loadcnt 0x0
	v_add_f64_e64 v[22:23], v[22:23], -v[16:17]
	s_delay_alu instid0(VALU_DEP_1) | instskip(SKIP_1) | instid1(VALU_DEP_1)
	v_xor_b32_e32 v8, 0x80000000, v23
	v_add_f64_e64 v[2:3], v[20:21], -v[18:19]
                                        ; implicit-def: $vgpr20_vgpr21
	v_cmp_gt_f64_e32 vcc_lo, 0, v[2:3]
	v_xor_b32_e32 v5, 0x80000000, v3
	s_delay_alu instid0(VALU_DEP_1) | instskip(SKIP_3) | instid1(VALU_DEP_1)
	v_cndmask_b32_e32 v3, v3, v5, vcc_lo
	v_cmp_gt_f64_e32 vcc_lo, 0, v[22:23]
	v_dual_cndmask_b32 v9, v23, v8 :: v_dual_mov_b32 v8, v22
	s_wait_xcnt 0x0
	v_cmpx_ngt_f64_e32 v[2:3], v[8:9]
	s_xor_b32 s27, exec_lo, s27
	s_cbranch_execz .LBB57_46
; %bb.43:                               ;   in Loop: Header=BB57_41 Depth=2
	v_mov_b64_e32 v[20:21], 0
	s_mov_b32 s28, exec_lo
	v_cmpx_neq_f64_e32 0, v[22:23]
	s_cbranch_execz .LBB57_45
; %bb.44:                               ;   in Loop: Header=BB57_41 Depth=2
	v_div_scale_f64 v[20:21], null, v[8:9], v[8:9], v[2:3]
	v_div_scale_f64 v[26:27], vcc_lo, v[2:3], v[8:9], v[2:3]
	s_delay_alu instid0(VALU_DEP_2) | instskip(SKIP_1) | instid1(TRANS32_DEP_1)
	v_rcp_f64_e32 v[22:23], v[20:21]
	v_nop
	v_fma_f64 v[24:25], -v[20:21], v[22:23], 1.0
	s_delay_alu instid0(VALU_DEP_1) | instskip(NEXT) | instid1(VALU_DEP_1)
	v_fmac_f64_e32 v[22:23], v[22:23], v[24:25]
	v_fma_f64 v[24:25], -v[20:21], v[22:23], 1.0
	s_delay_alu instid0(VALU_DEP_1) | instskip(NEXT) | instid1(VALU_DEP_1)
	v_fmac_f64_e32 v[22:23], v[22:23], v[24:25]
	v_mul_f64_e32 v[24:25], v[26:27], v[22:23]
	s_delay_alu instid0(VALU_DEP_1) | instskip(NEXT) | instid1(VALU_DEP_1)
	v_fma_f64 v[20:21], -v[20:21], v[24:25], v[26:27]
	v_div_fmas_f64 v[20:21], v[20:21], v[22:23], v[24:25]
	s_delay_alu instid0(VALU_DEP_1) | instskip(NEXT) | instid1(VALU_DEP_1)
	v_div_fixup_f64 v[2:3], v[20:21], v[8:9], v[2:3]
	v_fma_f64 v[2:3], v[2:3], v[2:3], 1.0
	s_delay_alu instid0(VALU_DEP_1) | instskip(SKIP_1) | instid1(VALU_DEP_1)
	v_cmp_gt_f64_e32 vcc_lo, 0x10000000, v[2:3]
	v_cndmask_b32_e64 v5, 0, 0x100, vcc_lo
	v_ldexp_f64 v[2:3], v[2:3], v5
	v_cndmask_b32_e64 v5, 0, 0xffffff80, vcc_lo
	s_delay_alu instid0(VALU_DEP_2) | instskip(SKIP_1) | instid1(TRANS32_DEP_1)
	v_rsq_f64_e32 v[20:21], v[2:3]
	v_cmp_class_f64_e64 vcc_lo, v[2:3], 0x260
	v_mul_f64_e32 v[22:23], v[2:3], v[20:21]
	v_mul_f64_e32 v[20:21], 0.5, v[20:21]
	s_delay_alu instid0(VALU_DEP_1) | instskip(NEXT) | instid1(VALU_DEP_1)
	v_fma_f64 v[24:25], -v[20:21], v[22:23], 0.5
	v_fmac_f64_e32 v[22:23], v[22:23], v[24:25]
	v_fmac_f64_e32 v[20:21], v[20:21], v[24:25]
	s_delay_alu instid0(VALU_DEP_2) | instskip(NEXT) | instid1(VALU_DEP_1)
	v_fma_f64 v[24:25], -v[22:23], v[22:23], v[2:3]
	v_fmac_f64_e32 v[22:23], v[24:25], v[20:21]
	s_delay_alu instid0(VALU_DEP_1) | instskip(NEXT) | instid1(VALU_DEP_1)
	v_fma_f64 v[24:25], -v[22:23], v[22:23], v[2:3]
	v_fmac_f64_e32 v[22:23], v[24:25], v[20:21]
	s_delay_alu instid0(VALU_DEP_1) | instskip(NEXT) | instid1(VALU_DEP_1)
	v_ldexp_f64 v[20:21], v[22:23], v5
	v_dual_cndmask_b32 v3, v21, v3 :: v_dual_cndmask_b32 v2, v20, v2
	s_delay_alu instid0(VALU_DEP_1)
	v_mul_f64_e32 v[20:21], v[8:9], v[2:3]
.LBB57_45:                              ;   in Loop: Header=BB57_41 Depth=2
	s_or_b32 exec_lo, exec_lo, s28
                                        ; implicit-def: $vgpr2_vgpr3
                                        ; implicit-def: $vgpr8_vgpr9
.LBB57_46:                              ;   in Loop: Header=BB57_41 Depth=2
	s_and_not1_saveexec_b32 s27, s27
	s_cbranch_execz .LBB57_48
; %bb.47:                               ;   in Loop: Header=BB57_41 Depth=2
	v_div_scale_f64 v[20:21], null, v[2:3], v[2:3], v[8:9]
	v_div_scale_f64 v[26:27], vcc_lo, v[8:9], v[2:3], v[8:9]
	s_delay_alu instid0(VALU_DEP_2) | instskip(SKIP_1) | instid1(TRANS32_DEP_1)
	v_rcp_f64_e32 v[22:23], v[20:21]
	v_nop
	v_fma_f64 v[24:25], -v[20:21], v[22:23], 1.0
	s_delay_alu instid0(VALU_DEP_1) | instskip(NEXT) | instid1(VALU_DEP_1)
	v_fmac_f64_e32 v[22:23], v[22:23], v[24:25]
	v_fma_f64 v[24:25], -v[20:21], v[22:23], 1.0
	s_delay_alu instid0(VALU_DEP_1) | instskip(NEXT) | instid1(VALU_DEP_1)
	v_fmac_f64_e32 v[22:23], v[22:23], v[24:25]
	v_mul_f64_e32 v[24:25], v[26:27], v[22:23]
	s_delay_alu instid0(VALU_DEP_1) | instskip(NEXT) | instid1(VALU_DEP_1)
	v_fma_f64 v[20:21], -v[20:21], v[24:25], v[26:27]
	v_div_fmas_f64 v[20:21], v[20:21], v[22:23], v[24:25]
	s_delay_alu instid0(VALU_DEP_1) | instskip(NEXT) | instid1(VALU_DEP_1)
	v_div_fixup_f64 v[8:9], v[20:21], v[2:3], v[8:9]
	v_fma_f64 v[8:9], v[8:9], v[8:9], 1.0
	s_delay_alu instid0(VALU_DEP_1) | instskip(SKIP_1) | instid1(VALU_DEP_1)
	v_cmp_gt_f64_e32 vcc_lo, 0x10000000, v[8:9]
	v_cndmask_b32_e64 v5, 0, 0x100, vcc_lo
	v_ldexp_f64 v[8:9], v[8:9], v5
	v_cndmask_b32_e64 v5, 0, 0xffffff80, vcc_lo
	s_delay_alu instid0(VALU_DEP_2) | instskip(SKIP_1) | instid1(TRANS32_DEP_1)
	v_rsq_f64_e32 v[20:21], v[8:9]
	v_cmp_class_f64_e64 vcc_lo, v[8:9], 0x260
	v_mul_f64_e32 v[22:23], v[8:9], v[20:21]
	v_mul_f64_e32 v[20:21], 0.5, v[20:21]
	s_delay_alu instid0(VALU_DEP_1) | instskip(NEXT) | instid1(VALU_DEP_1)
	v_fma_f64 v[24:25], -v[20:21], v[22:23], 0.5
	v_fmac_f64_e32 v[22:23], v[22:23], v[24:25]
	v_fmac_f64_e32 v[20:21], v[20:21], v[24:25]
	s_delay_alu instid0(VALU_DEP_2) | instskip(NEXT) | instid1(VALU_DEP_1)
	v_fma_f64 v[24:25], -v[22:23], v[22:23], v[8:9]
	v_fmac_f64_e32 v[22:23], v[24:25], v[20:21]
	s_delay_alu instid0(VALU_DEP_1) | instskip(NEXT) | instid1(VALU_DEP_1)
	v_fma_f64 v[24:25], -v[22:23], v[22:23], v[8:9]
	v_fmac_f64_e32 v[22:23], v[24:25], v[20:21]
	s_delay_alu instid0(VALU_DEP_1) | instskip(NEXT) | instid1(VALU_DEP_1)
	v_ldexp_f64 v[20:21], v[22:23], v5
	v_dual_cndmask_b32 v9, v21, v9 :: v_dual_cndmask_b32 v8, v20, v8
	s_delay_alu instid0(VALU_DEP_1)
	v_mul_f64_e32 v[20:21], v[2:3], v[8:9]
.LBB57_48:                              ;   in Loop: Header=BB57_41 Depth=2
	s_or_b32 exec_lo, exec_lo, s27
	s_delay_alu instid0(VALU_DEP_1) | instskip(SKIP_2) | instid1(VALU_DEP_2)
	v_cmp_gt_f64_e32 vcc_lo, 0x10000000, v[20:21]
	v_cndmask_b32_e64 v2, 0, 0x100, vcc_lo
	v_cndmask_b32_e64 v5, 0, 0xffffff80, vcc_lo
	v_ldexp_f64 v[2:3], v[20:21], v2
	s_delay_alu instid0(VALU_DEP_1) | instskip(SKIP_1) | instid1(TRANS32_DEP_1)
	v_rsq_f64_e32 v[8:9], v[2:3]
	v_cmp_class_f64_e64 vcc_lo, v[2:3], 0x260
	v_mul_f64_e32 v[20:21], v[2:3], v[8:9]
	v_mul_f64_e32 v[8:9], 0.5, v[8:9]
	s_delay_alu instid0(VALU_DEP_1) | instskip(NEXT) | instid1(VALU_DEP_1)
	v_fma_f64 v[22:23], -v[8:9], v[20:21], 0.5
	v_fmac_f64_e32 v[20:21], v[20:21], v[22:23]
	v_fmac_f64_e32 v[8:9], v[8:9], v[22:23]
	s_delay_alu instid0(VALU_DEP_2) | instskip(NEXT) | instid1(VALU_DEP_1)
	v_fma_f64 v[22:23], -v[20:21], v[20:21], v[2:3]
	v_fmac_f64_e32 v[20:21], v[22:23], v[8:9]
	s_delay_alu instid0(VALU_DEP_1) | instskip(NEXT) | instid1(VALU_DEP_1)
	v_fma_f64 v[22:23], -v[20:21], v[20:21], v[2:3]
	v_fmac_f64_e32 v[20:21], v[22:23], v[8:9]
	s_delay_alu instid0(VALU_DEP_1) | instskip(NEXT) | instid1(VALU_DEP_1)
	v_ldexp_f64 v[8:9], v[20:21], v5
	v_dual_mov_b32 v5, v4 :: v_dual_cndmask_b32 v3, v9, v3, vcc_lo
	s_delay_alu instid0(VALU_DEP_2)
	v_cndmask_b32_e32 v2, v8, v2, vcc_lo
	global_store_b128 v[6:7], v[2:5], off
.LBB57_49:                              ;   in Loop: Header=BB57_41 Depth=2
	s_wait_xcnt 0x0
	s_or_b32 exec_lo, exec_lo, s5
	global_wb scope:SCOPE_DEV
	s_wait_storecnt 0x0
	global_inv scope:SCOPE_DEV
	global_load_b128 v[6:9], v[6:7], off
	s_wait_loadcnt 0x0
	v_cmp_neq_f64_e32 vcc_lo, 0, v[6:7]
	v_cmp_neq_f64_e64 s5, 0, v[8:9]
	s_or_b32 vcc_lo, vcc_lo, s5
	v_dual_cndmask_b32 v3, 0, v9 :: v_dual_cndmask_b32 v2, 0, v8
	v_cndmask_b32_e32 v21, 0x3ff00000, v7, vcc_lo
	v_cndmask_b32_e32 v20, 0, v6, vcc_lo
	s_nor_b32 s27, vcc_lo, s0
	s_wait_xcnt 0x0
	s_and_saveexec_b32 s5, s27
	s_cbranch_execz .LBB57_55
; %bb.50:                               ;   in Loop: Header=BB57_41 Depth=2
	s_mov_b32 s28, exec_lo
	s_brev_b32 s27, -2
.LBB57_51:                              ;   Parent Loop BB57_4 Depth=1
                                        ;     Parent Loop BB57_41 Depth=2
                                        ; =>    This Inner Loop Header: Depth=3
	s_ctz_i32_b32 s29, s28
	s_delay_alu instid0(SALU_CYCLE_1) | instskip(SKIP_1) | instid1(SALU_CYCLE_1)
	v_readlane_b32 s30, v31, s29
	s_lshl_b32 s29, 1, s29
	s_and_not1_b32 s28, s28, s29
	s_min_i32 s27, s27, s30
	s_cmp_lg_u32 s28, 0
	s_cbranch_scc1 .LBB57_51
; %bb.52:                               ;   in Loop: Header=BB57_41 Depth=2
	v_mbcnt_lo_u32_b32 v2, exec_lo, 0
	s_mov_b32 s28, exec_lo
	s_delay_alu instid0(VALU_DEP_1)
	v_cmpx_eq_u32_e32 0, v2
	s_xor_b32 s28, exec_lo, s28
	s_cbranch_execz .LBB57_54
; %bb.53:                               ;   in Loop: Header=BB57_41 Depth=2
	v_mov_b32_e32 v2, s27
	global_atomic_min_i32 v4, v2, s[14:15] scope:SCOPE_DEV
.LBB57_54:                              ;   in Loop: Header=BB57_41 Depth=2
	s_wait_xcnt 0x0
	s_or_b32 exec_lo, exec_lo, s28
	v_mov_b64_e32 v[2:3], 0
	v_mov_b64_e32 v[20:21], 1.0
.LBB57_55:                              ;   in Loop: Header=BB57_41 Depth=2
	s_or_b32 exec_lo, exec_lo, s5
	s_delay_alu instid0(SALU_CYCLE_1)
	s_mov_b32 s5, exec_lo
	v_cmpx_lt_i32_e64 s6, v13
	s_cbranch_execz .LBB57_40
; %bb.56:                               ;   in Loop: Header=BB57_41 Depth=2
	v_dual_add_nc_u32 v5, s6, v35 :: v_dual_add_nc_u32 v6, v37, v13
	v_mov_b64_e32 v[22:23], 0
	v_mov_b64_e32 v[24:25], 0
	s_delay_alu instid0(VALU_DEP_3)
	v_cndmask_b32_e64 v26, v6, v5, s1
	global_load_b128 v[6:9], v26, s[12:13] scale_offset
	s_wait_xcnt 0x0
	s_and_saveexec_b32 s27, s2
	s_cbranch_execz .LBB57_66
; %bb.57:                               ;   in Loop: Header=BB57_41 Depth=2
	v_mov_b64_e32 v[22:23], 0
	v_mov_b64_e32 v[24:25], 0
	v_dual_mov_b32 v5, v36 :: v_dual_mov_b32 v27, v33
	v_mov_b32_e32 v38, v28
	s_mov_b32 s28, 0
	s_branch .LBB57_59
.LBB57_58:                              ;   in Loop: Header=BB57_59 Depth=3
	v_dual_add_nc_u32 v38, 1, v38 :: v_dual_add_nc_u32 v27, s23, v27
	v_add_nc_u32_e32 v5, s23, v5
	s_delay_alu instid0(VALU_DEP_2)
	v_cmp_ge_i32_e32 vcc_lo, v38, v1
	s_or_b32 s28, vcc_lo, s28
	s_wait_xcnt 0x0
	s_and_not1_b32 exec_lo, exec_lo, s28
	s_cbranch_execz .LBB57_65
.LBB57_59:                              ;   Parent Loop BB57_4 Depth=1
                                        ;     Parent Loop BB57_41 Depth=2
                                        ; =>    This Loop Header: Depth=3
                                        ;         Child Loop BB57_61 Depth 4
	s_delay_alu instid0(VALU_DEP_1) | instskip(SKIP_3) | instid1(VALU_DEP_1)
	v_mul_lo_u32 v40, v38, s23
	s_mov_b32 s29, s21
	s_mov_b32 s30, 0
	;; [unrolled: 1-line block ×3, first 2 shown]
	v_dual_add_nc_u32 v39, s26, v40 :: v_dual_add_nc_u32 v40, v40, v34
	s_branch .LBB57_61
.LBB57_60:                              ;   in Loop: Header=BB57_61 Depth=4
	s_clause 0x1
	global_load_b128 v[44:47], v42, s[12:13] scale_offset
	global_load_b128 v[48:51], v41, s[12:13] scale_offset
	s_add_co_i32 s29, s29, -1
	s_add_co_i32 s31, s31, 1
	s_add_co_i32 s30, s30, s21
	s_cmp_eq_u32 s29, 0
	s_wait_loadcnt 0x0
	v_fmac_f64_e32 v[22:23], v[48:49], v[44:45]
	v_fmac_f64_e32 v[24:25], v[50:51], v[44:45]
	s_delay_alu instid0(VALU_DEP_2) | instskip(NEXT) | instid1(VALU_DEP_2)
	v_fmac_f64_e32 v[22:23], v[50:51], v[46:47]
	v_fma_f64 v[24:25], v[48:49], -v[46:47], v[24:25]
	s_cbranch_scc1 .LBB57_58
.LBB57_61:                              ;   Parent Loop BB57_4 Depth=1
                                        ;     Parent Loop BB57_41 Depth=2
                                        ;       Parent Loop BB57_59 Depth=3
                                        ; =>      This Inner Loop Header: Depth=4
	s_and_b32 vcc_lo, exec_lo, s25
	s_mov_b32 s33, -1
                                        ; implicit-def: $vgpr42
                                        ; implicit-def: $vgpr41
	s_cbranch_vccz .LBB57_63
; %bb.62:                               ;   in Loop: Header=BB57_61 Depth=4
	s_wait_xcnt 0x0
	v_dual_add_nc_u32 v41, s30, v5 :: v_dual_add_nc_u32 v42, s30, v27
	s_mov_b32 s33, 0
.LBB57_63:                              ;   in Loop: Header=BB57_61 Depth=4
	s_delay_alu instid0(SALU_CYCLE_1)
	s_and_not1_b32 vcc_lo, exec_lo, s33
	s_cbranch_vccnz .LBB57_60
; %bb.64:                               ;   in Loop: Header=BB57_61 Depth=4
	s_wait_xcnt 0x0
	v_dual_add_nc_u32 v41, s31, v39 :: v_dual_add_nc_u32 v42, s31, v40
	s_branch .LBB57_60
.LBB57_65:                              ;   in Loop: Header=BB57_41 Depth=2
	s_or_b32 exec_lo, exec_lo, s28
.LBB57_66:                              ;   in Loop: Header=BB57_41 Depth=2
	s_delay_alu instid0(SALU_CYCLE_1) | instskip(SKIP_2) | instid1(VALU_DEP_1)
	s_or_b32 exec_lo, exec_lo, s27
	v_ashrrev_i32_e32 v27, 31, v26
	s_cmp_eq_u32 s6, 0
	v_lshl_add_u64 v[26:27], v[26:27], 4, s[12:13]
	s_cbranch_scc1 .LBB57_39
; %bb.67:                               ;   in Loop: Header=BB57_41 Depth=2
	v_mov_b32_e32 v5, v32
	s_mov_b32 s26, 0
	s_branch .LBB57_69
.LBB57_68:                              ;   in Loop: Header=BB57_69 Depth=3
	s_clause 0x1
	global_load_b128 v[40:43], v39, s[12:13] scale_offset
	global_load_b128 v[44:47], v38, s[12:13] scale_offset
	s_add_co_i32 s26, s26, 1
	v_add_nc_u32_e32 v5, s21, v5
	s_cmp_eq_u32 s6, s26
	s_wait_loadcnt 0x0
	v_fmac_f64_e32 v[22:23], v[44:45], v[40:41]
	v_fmac_f64_e32 v[24:25], v[46:47], v[40:41]
	s_delay_alu instid0(VALU_DEP_2) | instskip(NEXT) | instid1(VALU_DEP_2)
	v_fmac_f64_e32 v[22:23], v[46:47], v[42:43]
	v_fma_f64 v[24:25], v[44:45], -v[42:43], v[24:25]
	s_cbranch_scc1 .LBB57_39
.LBB57_69:                              ;   Parent Loop BB57_4 Depth=1
                                        ;     Parent Loop BB57_41 Depth=2
                                        ; =>    This Inner Loop Header: Depth=3
	s_and_b32 vcc_lo, exec_lo, s25
	s_mov_b32 s27, -1
                                        ; implicit-def: $vgpr39
                                        ; implicit-def: $vgpr38
	s_cbranch_vccz .LBB57_71
; %bb.70:                               ;   in Loop: Header=BB57_69 Depth=3
	s_wait_xcnt 0x0
	v_dual_add_nc_u32 v38, s6, v5 :: v_dual_add_nc_u32 v39, v13, v5
	s_mov_b32 s27, 0
.LBB57_71:                              ;   in Loop: Header=BB57_69 Depth=3
	s_delay_alu instid0(SALU_CYCLE_1)
	s_and_not1_b32 vcc_lo, exec_lo, s27
	s_cbranch_vccnz .LBB57_68
; %bb.72:                               ;   in Loop: Header=BB57_69 Depth=3
	s_wait_xcnt 0x0
	v_dual_add_nc_u32 v38, s26, v37 :: v_dual_add_nc_u32 v39, s26, v35
	s_branch .LBB57_68
.LBB57_73:
	s_or_b32 exec_lo, exec_lo, s22
	s_delay_alu instid0(SALU_CYCLE_1)
	s_mov_b32 s0, exec_lo
	v_cmpx_eq_u32_e32 31, v0
	s_cbranch_execz .LBB57_75
; %bb.74:
	v_lshl_add_u64 v[0:1], v[10:11], 2, s[10:11]
	v_mov_b32_e32 v2, 1
	global_wb scope:SCOPE_DEV
	s_wait_loadcnt 0x0
	s_wait_storecnt 0x0
	global_store_b32 v[0:1], v2, off scope:SCOPE_DEV
.LBB57_75:
	s_wait_xcnt 0x0
	s_or_b32 exec_lo, exec_lo, s0
                                        ; implicit-def: $vgpr0
                                        ; implicit-def: $vgpr10_vgpr11
.LBB57_76:
	s_and_not1_saveexec_b32 s0, s20
	s_cbranch_execz .LBB57_83
; %bb.77:
	s_mov_b32 s0, exec_lo
	v_cmpx_eq_u32_e32 31, v0
	s_cbranch_execz .LBB57_83
; %bb.78:
	v_add_nc_u32_e32 v0, s7, v10
	s_mov_b32 s1, exec_lo
	s_brev_b32 s0, -2
.LBB57_79:                              ; =>This Inner Loop Header: Depth=1
	s_ctz_i32_b32 s2, s1
	s_delay_alu instid0(VALU_DEP_1) | instid1(SALU_CYCLE_1)
	v_readlane_b32 s3, v0, s2
	s_lshl_b32 s2, 1, s2
	s_delay_alu instid0(SALU_CYCLE_1)
	s_and_not1_b32 s1, s1, s2
	s_min_i32 s0, s0, s3
	s_cmp_lg_u32 s1, 0
	s_cbranch_scc1 .LBB57_79
; %bb.80:
	v_mbcnt_lo_u32_b32 v0, exec_lo, 0
	s_mov_b32 s1, exec_lo
	s_delay_alu instid0(VALU_DEP_1)
	v_cmpx_eq_u32_e32 0, v0
	s_xor_b32 s1, exec_lo, s1
	s_cbranch_execz .LBB57_82
; %bb.81:
	v_dual_mov_b32 v0, 0 :: v_dual_mov_b32 v1, s0
	global_atomic_min_i32 v0, v1, s[14:15] scope:SCOPE_DEV
.LBB57_82:
	s_wait_xcnt 0x0
	s_or_b32 exec_lo, exec_lo, s1
	v_lshl_add_u64 v[0:1], v[10:11], 2, s[10:11]
	v_mov_b32_e32 v2, 1
	global_wb scope:SCOPE_DEV
	s_wait_loadcnt 0x0
	s_wait_storecnt 0x0
	global_store_b32 v[0:1], v2, off scope:SCOPE_DEV
.LBB57_83:
	s_endpgm
	.section	.rodata,"a",@progbits
	.p2align	6, 0x0
	.amdhsa_kernel _ZN9rocsparseL23bsric0_binsearch_kernelILj32ELj32ELb0E21rocsparse_complex_numIdEEEv20rocsparse_direction_iiPKiS5_PT2_S5_PiS5_S8_21rocsparse_index_base_
		.amdhsa_group_segment_fixed_size 0
		.amdhsa_private_segment_fixed_size 0
		.amdhsa_kernarg_size 76
		.amdhsa_user_sgpr_count 2
		.amdhsa_user_sgpr_dispatch_ptr 0
		.amdhsa_user_sgpr_queue_ptr 0
		.amdhsa_user_sgpr_kernarg_segment_ptr 1
		.amdhsa_user_sgpr_dispatch_id 0
		.amdhsa_user_sgpr_kernarg_preload_length 0
		.amdhsa_user_sgpr_kernarg_preload_offset 0
		.amdhsa_user_sgpr_private_segment_size 0
		.amdhsa_wavefront_size32 1
		.amdhsa_uses_dynamic_stack 0
		.amdhsa_enable_private_segment 0
		.amdhsa_system_sgpr_workgroup_id_x 1
		.amdhsa_system_sgpr_workgroup_id_y 0
		.amdhsa_system_sgpr_workgroup_id_z 0
		.amdhsa_system_sgpr_workgroup_info 0
		.amdhsa_system_vgpr_workitem_id 0
		.amdhsa_next_free_vgpr 62
		.amdhsa_next_free_sgpr 37
		.amdhsa_named_barrier_count 0
		.amdhsa_reserve_vcc 1
		.amdhsa_float_round_mode_32 0
		.amdhsa_float_round_mode_16_64 0
		.amdhsa_float_denorm_mode_32 3
		.amdhsa_float_denorm_mode_16_64 3
		.amdhsa_fp16_overflow 0
		.amdhsa_memory_ordered 1
		.amdhsa_forward_progress 1
		.amdhsa_inst_pref_size 30
		.amdhsa_round_robin_scheduling 0
		.amdhsa_exception_fp_ieee_invalid_op 0
		.amdhsa_exception_fp_denorm_src 0
		.amdhsa_exception_fp_ieee_div_zero 0
		.amdhsa_exception_fp_ieee_overflow 0
		.amdhsa_exception_fp_ieee_underflow 0
		.amdhsa_exception_fp_ieee_inexact 0
		.amdhsa_exception_int_div_zero 0
	.end_amdhsa_kernel
	.section	.text._ZN9rocsparseL23bsric0_binsearch_kernelILj32ELj32ELb0E21rocsparse_complex_numIdEEEv20rocsparse_direction_iiPKiS5_PT2_S5_PiS5_S8_21rocsparse_index_base_,"axG",@progbits,_ZN9rocsparseL23bsric0_binsearch_kernelILj32ELj32ELb0E21rocsparse_complex_numIdEEEv20rocsparse_direction_iiPKiS5_PT2_S5_PiS5_S8_21rocsparse_index_base_,comdat
.Lfunc_end57:
	.size	_ZN9rocsparseL23bsric0_binsearch_kernelILj32ELj32ELb0E21rocsparse_complex_numIdEEEv20rocsparse_direction_iiPKiS5_PT2_S5_PiS5_S8_21rocsparse_index_base_, .Lfunc_end57-_ZN9rocsparseL23bsric0_binsearch_kernelILj32ELj32ELb0E21rocsparse_complex_numIdEEEv20rocsparse_direction_iiPKiS5_PT2_S5_PiS5_S8_21rocsparse_index_base_
                                        ; -- End function
	.set _ZN9rocsparseL23bsric0_binsearch_kernelILj32ELj32ELb0E21rocsparse_complex_numIdEEEv20rocsparse_direction_iiPKiS5_PT2_S5_PiS5_S8_21rocsparse_index_base_.num_vgpr, 62
	.set _ZN9rocsparseL23bsric0_binsearch_kernelILj32ELj32ELb0E21rocsparse_complex_numIdEEEv20rocsparse_direction_iiPKiS5_PT2_S5_PiS5_S8_21rocsparse_index_base_.num_agpr, 0
	.set _ZN9rocsparseL23bsric0_binsearch_kernelILj32ELj32ELb0E21rocsparse_complex_numIdEEEv20rocsparse_direction_iiPKiS5_PT2_S5_PiS5_S8_21rocsparse_index_base_.numbered_sgpr, 37
	.set _ZN9rocsparseL23bsric0_binsearch_kernelILj32ELj32ELb0E21rocsparse_complex_numIdEEEv20rocsparse_direction_iiPKiS5_PT2_S5_PiS5_S8_21rocsparse_index_base_.num_named_barrier, 0
	.set _ZN9rocsparseL23bsric0_binsearch_kernelILj32ELj32ELb0E21rocsparse_complex_numIdEEEv20rocsparse_direction_iiPKiS5_PT2_S5_PiS5_S8_21rocsparse_index_base_.private_seg_size, 0
	.set _ZN9rocsparseL23bsric0_binsearch_kernelILj32ELj32ELb0E21rocsparse_complex_numIdEEEv20rocsparse_direction_iiPKiS5_PT2_S5_PiS5_S8_21rocsparse_index_base_.uses_vcc, 1
	.set _ZN9rocsparseL23bsric0_binsearch_kernelILj32ELj32ELb0E21rocsparse_complex_numIdEEEv20rocsparse_direction_iiPKiS5_PT2_S5_PiS5_S8_21rocsparse_index_base_.uses_flat_scratch, 0
	.set _ZN9rocsparseL23bsric0_binsearch_kernelILj32ELj32ELb0E21rocsparse_complex_numIdEEEv20rocsparse_direction_iiPKiS5_PT2_S5_PiS5_S8_21rocsparse_index_base_.has_dyn_sized_stack, 0
	.set _ZN9rocsparseL23bsric0_binsearch_kernelILj32ELj32ELb0E21rocsparse_complex_numIdEEEv20rocsparse_direction_iiPKiS5_PT2_S5_PiS5_S8_21rocsparse_index_base_.has_recursion, 0
	.set _ZN9rocsparseL23bsric0_binsearch_kernelILj32ELj32ELb0E21rocsparse_complex_numIdEEEv20rocsparse_direction_iiPKiS5_PT2_S5_PiS5_S8_21rocsparse_index_base_.has_indirect_call, 0
	.section	.AMDGPU.csdata,"",@progbits
; Kernel info:
; codeLenInByte = 3796
; TotalNumSgprs: 39
; NumVgprs: 62
; ScratchSize: 0
; MemoryBound: 0
; FloatMode: 240
; IeeeMode: 1
; LDSByteSize: 0 bytes/workgroup (compile time only)
; SGPRBlocks: 0
; VGPRBlocks: 3
; NumSGPRsForWavesPerEU: 39
; NumVGPRsForWavesPerEU: 62
; NamedBarCnt: 0
; Occupancy: 16
; WaveLimiterHint : 1
; COMPUTE_PGM_RSRC2:SCRATCH_EN: 0
; COMPUTE_PGM_RSRC2:USER_SGPR: 2
; COMPUTE_PGM_RSRC2:TRAP_HANDLER: 0
; COMPUTE_PGM_RSRC2:TGID_X_EN: 1
; COMPUTE_PGM_RSRC2:TGID_Y_EN: 0
; COMPUTE_PGM_RSRC2:TGID_Z_EN: 0
; COMPUTE_PGM_RSRC2:TIDIG_COMP_CNT: 0
	.section	.text._ZN9rocsparseL23bsric0_binsearch_kernelILj64ELj64ELb1E21rocsparse_complex_numIdEEEv20rocsparse_direction_iiPKiS5_PT2_S5_PiS5_S8_21rocsparse_index_base_,"axG",@progbits,_ZN9rocsparseL23bsric0_binsearch_kernelILj64ELj64ELb1E21rocsparse_complex_numIdEEEv20rocsparse_direction_iiPKiS5_PT2_S5_PiS5_S8_21rocsparse_index_base_,comdat
	.globl	_ZN9rocsparseL23bsric0_binsearch_kernelILj64ELj64ELb1E21rocsparse_complex_numIdEEEv20rocsparse_direction_iiPKiS5_PT2_S5_PiS5_S8_21rocsparse_index_base_ ; -- Begin function _ZN9rocsparseL23bsric0_binsearch_kernelILj64ELj64ELb1E21rocsparse_complex_numIdEEEv20rocsparse_direction_iiPKiS5_PT2_S5_PiS5_S8_21rocsparse_index_base_
	.p2align	8
	.type	_ZN9rocsparseL23bsric0_binsearch_kernelILj64ELj64ELb1E21rocsparse_complex_numIdEEEv20rocsparse_direction_iiPKiS5_PT2_S5_PiS5_S8_21rocsparse_index_base_,@function
_ZN9rocsparseL23bsric0_binsearch_kernelILj64ELj64ELb1E21rocsparse_complex_numIdEEEv20rocsparse_direction_iiPKiS5_PT2_S5_PiS5_S8_21rocsparse_index_base_: ; @_ZN9rocsparseL23bsric0_binsearch_kernelILj64ELj64ELb1E21rocsparse_complex_numIdEEEv20rocsparse_direction_iiPKiS5_PT2_S5_PiS5_S8_21rocsparse_index_base_
; %bb.0:
	s_load_b256 s[8:15], s[0:1], 0x28
	s_bfe_u32 s2, ttmp6, 0x4000c
	s_and_b32 s3, ttmp6, 15
	s_add_co_i32 s2, s2, 1
	s_getreg_b32 s4, hwreg(HW_REG_IB_STS2, 6, 4)
	s_mul_i32 s2, ttmp9, s2
	s_load_b32 s7, s[0:1], 0x48
	s_add_co_i32 s3, s3, s2
	s_cmp_eq_u32 s4, 0
	s_cselect_b32 s2, ttmp9, s3
	s_delay_alu instid0(SALU_CYCLE_1)
	v_mov_b32_e32 v1, s2
	s_wait_kmcnt 0x0
	global_load_b32 v10, v1, s[12:13] scale_offset
	s_wait_loadcnt 0x0
	global_load_b32 v1, v10, s[8:9] scale_offset
	v_ashrrev_i32_e32 v11, 31, v10
	s_wait_loadcnt 0x0
	v_readfirstlane_b32 s2, v1
	s_cmp_lg_u32 s2, -1
	s_cselect_b32 s2, -1, 0
	s_delay_alu instid0(SALU_CYCLE_1) | instskip(NEXT) | instid1(SALU_CYCLE_1)
	s_and_saveexec_b32 s3, s2
	s_xor_b32 s20, exec_lo, s3
	s_cbranch_execz .LBB58_78
; %bb.1:
	s_load_b32 s21, s[0:1], 0x8
	s_mov_b32 s22, exec_lo
	s_wait_kmcnt 0x0
	v_cmpx_gt_i32_e64 s21, v0
	s_cbranch_execz .LBB58_75
; %bb.2:
	s_clause 0x2
	s_load_b128 s[16:19], s[0:1], 0x10
	s_load_b32 s5, s[0:1], 0x0
	s_load_b64 s[12:13], s[0:1], 0x20
	s_mul_i32 s23, s21, s21
	s_wait_xcnt 0x0
	v_cmp_ne_u32_e64 s0, 0, v0
	v_mul_lo_u32 v32, v1, s23
	s_mov_b32 s24, 0
	v_add_nc_u32_e32 v30, s7, v10
	s_wait_kmcnt 0x0
	v_lshl_add_u64 v[2:3], v[10:11], 2, s[16:17]
	s_cmp_eq_u32 s5, 0
	s_cselect_b32 s1, -1, 0
	s_cmp_lg_u32 s5, 0
	global_load_b64 v[2:3], v[2:3], off
	s_cselect_b32 s25, -1, 0
	s_wait_loadcnt 0x0
	v_subrev_nc_u32_e32 v28, s7, v2
	v_xad_u32 v29, s7, -1, v3
	s_delay_alu instid0(VALU_DEP_2) | instskip(NEXT) | instid1(VALU_DEP_2)
	v_mul_lo_u32 v31, s23, v28
	v_dual_add_nc_u32 v2, v29, v28 :: v_dual_mov_b32 v4, 0
	v_cmp_lt_i32_e64 s2, v28, v1
	v_cmp_ge_i32_e64 s3, v28, v1
	v_cmp_lt_i32_e64 s4, v28, v29
	s_delay_alu instid0(VALU_DEP_4) | instskip(NEXT) | instid1(VALU_DEP_1)
	v_ashrrev_i32_e32 v12, 1, v2
	v_ashrrev_i32_e32 v13, 31, v12
	v_add_nc_u32_e32 v33, v31, v0
	s_delay_alu instid0(VALU_DEP_2)
	v_lshl_add_u64 v[14:15], v[12:13], 2, s[18:19]
	v_mov_b32_e32 v13, v0
	s_branch .LBB58_4
.LBB58_3:                               ;   in Loop: Header=BB58_4 Depth=1
	v_add_nc_u32_e32 v13, 64, v13
	v_add_nc_u32_e32 v33, 64, v33
	s_delay_alu instid0(VALU_DEP_2) | instskip(SKIP_1) | instid1(SALU_CYCLE_1)
	v_cmp_le_i32_e32 vcc_lo, s21, v13
	s_or_b32 s24, vcc_lo, s24
	s_and_not1_b32 exec_lo, exec_lo, s24
	s_cbranch_execz .LBB58_75
.LBB58_4:                               ; =>This Loop Header: Depth=1
                                        ;     Child Loop BB58_10 Depth 2
                                        ;       Child Loop BB58_14 Depth 3
                                        ;         Child Loop BB58_15 Depth 4
                                        ;       Child Loop BB58_19 Depth 3
                                        ;         Child Loop BB58_21 Depth 4
                                        ;         Child Loop BB58_28 Depth 4
                                        ;           Child Loop BB58_30 Depth 5
                                        ;           Child Loop BB58_36 Depth 5
                                        ;     Child Loop BB58_43 Depth 2
                                        ;       Child Loop BB58_53 Depth 3
                                        ;       Child Loop BB58_61 Depth 3
                                        ;         Child Loop BB58_63 Depth 4
                                        ;       Child Loop BB58_71 Depth 3
	s_delay_alu instid0(VALU_DEP_1) | instskip(SKIP_1) | instid1(SALU_CYCLE_1)
	v_mul_lo_u32 v34, v13, s21
	s_and_saveexec_b32 s5, s3
	s_xor_b32 s5, exec_lo, s5
; %bb.5:                                ;   in Loop: Header=BB58_4 Depth=1
	v_mul_lo_u32 v34, v13, s21
; %bb.6:                                ;   in Loop: Header=BB58_4 Depth=1
	s_or_saveexec_b32 s26, s5
	v_mov_b64_e32 v[16:17], 0
	v_mov_b64_e32 v[18:19], 0
	s_xor_b32 exec_lo, exec_lo, s26
	s_cbranch_execz .LBB58_40
; %bb.7:                                ;   in Loop: Header=BB58_4 Depth=1
	v_mov_b64_e32 v[16:17], 0
	v_mov_b64_e32 v[18:19], 0
	v_mov_b32_e32 v5, v28
	s_mov_b32 s27, 0
                                        ; implicit-def: $sgpr28
	s_branch .LBB58_10
.LBB58_8:                               ;   in Loop: Header=BB58_10 Depth=2
	v_add_nc_u32_e32 v5, 1, v5
	s_and_not1_b32 s5, s28, exec_lo
	s_delay_alu instid0(VALU_DEP_1) | instskip(SKIP_1) | instid1(SALU_CYCLE_1)
	v_cmp_ge_i32_e32 vcc_lo, v5, v1
	s_and_b32 s6, vcc_lo, exec_lo
	s_or_b32 s28, s5, s6
.LBB58_9:                               ;   in Loop: Header=BB58_10 Depth=2
	s_wait_xcnt 0x0
	s_or_b32 exec_lo, exec_lo, s29
	s_delay_alu instid0(SALU_CYCLE_1) | instskip(NEXT) | instid1(SALU_CYCLE_1)
	s_and_b32 s5, exec_lo, s28
	s_or_b32 s27, s5, s27
	s_delay_alu instid0(SALU_CYCLE_1)
	s_and_not1_b32 exec_lo, exec_lo, s27
	s_cbranch_execz .LBB58_39
.LBB58_10:                              ;   Parent Loop BB58_4 Depth=1
                                        ; =>  This Loop Header: Depth=2
                                        ;       Child Loop BB58_14 Depth 3
                                        ;         Child Loop BB58_15 Depth 4
                                        ;       Child Loop BB58_19 Depth 3
                                        ;         Child Loop BB58_21 Depth 4
                                        ;         Child Loop BB58_28 Depth 4
                                        ;           Child Loop BB58_30 Depth 5
                                        ;           Child Loop BB58_36 Depth 5
	global_load_b32 v35, v5, s[18:19] scale_offset
	s_or_b32 s28, s28, exec_lo
	s_mov_b32 s29, exec_lo
	s_wait_loadcnt 0x0
	v_subrev_nc_u32_e32 v2, s7, v35
	global_load_b32 v36, v2, s[8:9] scale_offset
	s_wait_loadcnt 0x0
	s_wait_xcnt 0x0
	v_cmpx_ne_u32_e32 -1, v36
	s_cbranch_execz .LBB58_9
; %bb.11:                               ;   in Loop: Header=BB58_10 Depth=2
	v_ashrrev_i32_e32 v3, 31, v2
	s_mov_b32 s5, exec_lo
	s_delay_alu instid0(VALU_DEP_1) | instskip(NEXT) | instid1(VALU_DEP_1)
	v_lshlrev_b64_e32 v[6:7], 2, v[2:3]
	v_add_nc_u64_e32 v[8:9], s[16:17], v[6:7]
	v_add_nc_u64_e32 v[6:7], s[10:11], v[6:7]
	global_load_b32 v3, v[8:9], off
	global_load_b32 v20, v[6:7], off scope:SCOPE_DEV
	s_wait_loadcnt 0x0
	s_wait_xcnt 0x0
	v_cmpx_eq_u32_e32 0, v20
	s_cbranch_execz .LBB58_16
; %bb.12:                               ;   in Loop: Header=BB58_10 Depth=2
	s_mov_b32 s6, 0
	s_mov_b32 s30, 0
	s_branch .LBB58_14
.LBB58_13:                              ;   in Loop: Header=BB58_14 Depth=3
	global_load_b32 v8, v[6:7], off scope:SCOPE_DEV
	s_cmp_lt_u32 s30, 0xf43
	s_cselect_b32 s31, -1, 0
	s_delay_alu instid0(SALU_CYCLE_1)
	s_cmp_lg_u32 s31, 0
	s_add_co_ci_u32 s30, s30, 0
	s_wait_loadcnt 0x0
	v_cmp_ne_u32_e32 vcc_lo, 0, v8
	s_or_b32 s6, vcc_lo, s6
	s_wait_xcnt 0x0
	s_and_not1_b32 exec_lo, exec_lo, s6
	s_cbranch_execz .LBB58_16
.LBB58_14:                              ;   Parent Loop BB58_4 Depth=1
                                        ;     Parent Loop BB58_10 Depth=2
                                        ; =>    This Loop Header: Depth=3
                                        ;         Child Loop BB58_15 Depth 4
	s_cmp_eq_u32 s30, 0
	s_mov_b32 s31, s30
	s_cbranch_scc1 .LBB58_13
.LBB58_15:                              ;   Parent Loop BB58_4 Depth=1
                                        ;     Parent Loop BB58_10 Depth=2
                                        ;       Parent Loop BB58_14 Depth=3
                                        ; =>      This Inner Loop Header: Depth=4
	s_add_co_i32 s31, s31, -1
	s_sleep 1
	s_cmp_eq_u32 s31, 0
	s_cbranch_scc0 .LBB58_15
	s_branch .LBB58_13
.LBB58_16:                              ;   in Loop: Header=BB58_10 Depth=2
	s_or_b32 exec_lo, exec_lo, s5
	v_mul_lo_u32 v6, v5, s23
	v_subrev_nc_u32_e32 v37, s7, v3
	v_mul_lo_u32 v38, v2, s21
	v_mul_lo_u32 v39, v36, s23
	s_mov_b32 s30, 0
	global_inv scope:SCOPE_DEV
	v_mul_lo_u32 v40, s23, v37
	v_cmp_le_i32_e64 s5, v37, v36
	v_dual_add_nc_u32 v41, v6, v13 :: v_dual_add_nc_u32 v42, v6, v34
	s_branch .LBB58_19
.LBB58_17:                              ;   in Loop: Header=BB58_19 Depth=3
	s_or_b32 exec_lo, exec_lo, s33
.LBB58_18:                              ;   in Loop: Header=BB58_19 Depth=3
	s_delay_alu instid0(SALU_CYCLE_1) | instskip(SKIP_4) | instid1(VALU_DEP_3)
	s_or_b32 exec_lo, exec_lo, s6
	v_dual_mul_f64 v[44:45], v[20:21], v[20:21] :: v_dual_ashrrev_i32 v27, 31, v26
	s_wait_loadcnt 0x0
	v_dual_add_f64 v[8:9], v[8:9], -v[22:23] :: v_dual_add_nc_u32 v40, 1, v40
	v_add_f64_e64 v[6:7], v[6:7], -v[24:25]
	v_lshl_add_u64 v[26:27], v[26:27], 4, s[12:13]
	s_add_co_i32 s30, s30, 1
	s_delay_alu instid0(SALU_CYCLE_1) | instskip(NEXT) | instid1(VALU_DEP_4)
	s_cmp_eq_u32 s30, s21
	v_fmac_f64_e32 v[44:45], v[2:3], v[2:3]
	s_delay_alu instid0(VALU_DEP_4) | instskip(NEXT) | instid1(VALU_DEP_4)
	v_mul_f64_e32 v[24:25], v[20:21], v[8:9]
	v_mul_f64_e64 v[20:21], v[20:21], -v[6:7]
	s_delay_alu instid0(VALU_DEP_3) | instskip(SKIP_1) | instid1(VALU_DEP_4)
	v_div_scale_f64 v[46:47], null, v[44:45], v[44:45], 1.0
	v_div_scale_f64 v[52:53], vcc_lo, 1.0, v[44:45], 1.0
	v_fmac_f64_e32 v[24:25], v[6:7], v[2:3]
	s_delay_alu instid0(VALU_DEP_4) | instskip(NEXT) | instid1(VALU_DEP_4)
	v_fmac_f64_e32 v[20:21], v[8:9], v[2:3]
	v_rcp_f64_e32 v[48:49], v[46:47]
	v_nop
	s_delay_alu instid0(TRANS32_DEP_1) | instskip(NEXT) | instid1(VALU_DEP_1)
	v_fma_f64 v[50:51], -v[46:47], v[48:49], 1.0
	v_fmac_f64_e32 v[48:49], v[48:49], v[50:51]
	s_delay_alu instid0(VALU_DEP_1) | instskip(NEXT) | instid1(VALU_DEP_1)
	v_fma_f64 v[50:51], -v[46:47], v[48:49], 1.0
	v_fmac_f64_e32 v[48:49], v[48:49], v[50:51]
	s_delay_alu instid0(VALU_DEP_1) | instskip(NEXT) | instid1(VALU_DEP_1)
	v_mul_f64_e32 v[50:51], v[52:53], v[48:49]
	v_fma_f64 v[22:23], -v[46:47], v[50:51], v[52:53]
	s_delay_alu instid0(VALU_DEP_1) | instskip(NEXT) | instid1(VALU_DEP_1)
	v_div_fmas_f64 v[22:23], v[22:23], v[48:49], v[50:51]
	v_div_fixup_f64 v[22:23], v[22:23], v[44:45], 1.0
	s_delay_alu instid0(VALU_DEP_1) | instskip(SKIP_1) | instid1(VALU_DEP_2)
	v_mul_f64_e32 v[6:7], v[22:23], v[24:25]
	v_mul_f64_e32 v[8:9], v[22:23], v[20:21]
	v_fmac_f64_e32 v[18:19], v[6:7], v[6:7]
	s_delay_alu instid0(VALU_DEP_2)
	v_fmac_f64_e32 v[16:17], v[8:9], v[6:7]
	global_store_b128 v[26:27], v[6:9], off
	v_fmac_f64_e32 v[18:19], v[8:9], v[8:9]
	v_fma_f64 v[16:17], v[6:7], -v[8:9], v[16:17]
	s_cbranch_scc1 .LBB58_8
.LBB58_19:                              ;   Parent Loop BB58_4 Depth=1
                                        ;     Parent Loop BB58_10 Depth=2
                                        ; =>    This Loop Header: Depth=3
                                        ;         Child Loop BB58_21 Depth 4
                                        ;         Child Loop BB58_28 Depth 4
                                        ;           Child Loop BB58_30 Depth 5
                                        ;           Child Loop BB58_36 Depth 5
	s_mul_i32 s31, s30, s21
	s_delay_alu instid0(SALU_CYCLE_1)
	v_add3_u32 v2, s31, s30, v39
	global_load_b128 v[6:9], v2, s[12:13] scale_offset
	s_wait_loadcnt 0x0
	v_cmp_neq_f64_e32 vcc_lo, 0, v[6:7]
	v_cmp_neq_f64_e64 s6, 0, v[8:9]
	s_or_b32 vcc_lo, vcc_lo, s6
	v_cndmask_b32_e32 v3, 0x3ff00000, v7, vcc_lo
	s_wait_xcnt 0x0
	v_dual_cndmask_b32 v2, 0, v6 :: v_dual_cndmask_b32 v21, 0, v9
	v_cndmask_b32_e32 v20, 0, v8, vcc_lo
	s_nor_b32 s33, vcc_lo, s0
	s_delay_alu instid0(SALU_CYCLE_1)
	s_and_saveexec_b32 s6, s33
	s_cbranch_execz .LBB58_25
; %bb.20:                               ;   in Loop: Header=BB58_19 Depth=3
	s_mov_b32 s34, exec_lo
	s_brev_b32 s33, -2
.LBB58_21:                              ;   Parent Loop BB58_4 Depth=1
                                        ;     Parent Loop BB58_10 Depth=2
                                        ;       Parent Loop BB58_19 Depth=3
                                        ; =>      This Inner Loop Header: Depth=4
	s_ctz_i32_b32 s35, s34
	s_delay_alu instid0(SALU_CYCLE_1) | instskip(SKIP_1) | instid1(SALU_CYCLE_1)
	v_readlane_b32 s36, v35, s35
	s_lshl_b32 s35, 1, s35
	s_and_not1_b32 s34, s34, s35
	s_min_i32 s33, s33, s36
	s_cmp_lg_u32 s34, 0
	s_cbranch_scc1 .LBB58_21
; %bb.22:                               ;   in Loop: Header=BB58_19 Depth=3
	v_mbcnt_lo_u32_b32 v2, exec_lo, 0
	s_mov_b32 s34, exec_lo
	s_delay_alu instid0(VALU_DEP_1)
	v_cmpx_eq_u32_e32 0, v2
	s_xor_b32 s34, exec_lo, s34
	s_cbranch_execz .LBB58_24
; %bb.23:                               ;   in Loop: Header=BB58_19 Depth=3
	v_mov_b32_e32 v2, s33
	global_atomic_min_i32 v4, v2, s[14:15] scope:SCOPE_DEV
.LBB58_24:                              ;   in Loop: Header=BB58_19 Depth=3
	s_wait_xcnt 0x0
	s_or_b32 exec_lo, exec_lo, s34
	v_mov_b64_e32 v[2:3], 1.0
	v_mov_b64_e32 v[20:21], 0
.LBB58_25:                              ;   in Loop: Header=BB58_19 Depth=3
	s_or_b32 exec_lo, exec_lo, s6
	v_dual_add_nc_u32 v6, s30, v42 :: v_dual_add_nc_u32 v7, s31, v41
	v_mov_b64_e32 v[22:23], 0
	v_mov_b64_e32 v[24:25], 0
	s_delay_alu instid0(VALU_DEP_3)
	v_cndmask_b32_e64 v26, v7, v6, s1
	global_load_b128 v[6:9], v26, s[12:13] scale_offset
	s_wait_xcnt 0x0
	s_and_saveexec_b32 s6, s5
	s_cbranch_execz .LBB58_18
; %bb.26:                               ;   in Loop: Header=BB58_19 Depth=3
	global_load_b32 v27, v[14:15], off
	v_mov_b64_e32 v[22:23], 0
	v_mov_b64_e32 v[24:25], 0
	v_dual_mov_b32 v44, v40 :: v_dual_add_nc_u32 v43, s30, v38
	v_mov_b32_e32 v45, v37
	s_mov_b32 s33, 0
	s_branch .LBB58_28
.LBB58_27:                              ;   in Loop: Header=BB58_28 Depth=4
	s_or_b32 exec_lo, exec_lo, s34
	v_dual_add_nc_u32 v46, 1, v45 :: v_dual_add_nc_u32 v44, s23, v44
	v_cmp_ge_i32_e32 vcc_lo, v45, v36
	s_delay_alu instid0(VALU_DEP_2) | instskip(SKIP_1) | instid1(SALU_CYCLE_1)
	v_mov_b32_e32 v45, v46
	s_or_b32 s33, vcc_lo, s33
	s_and_not1_b32 exec_lo, exec_lo, s33
	s_cbranch_execz .LBB58_17
.LBB58_28:                              ;   Parent Loop BB58_4 Depth=1
                                        ;     Parent Loop BB58_10 Depth=2
                                        ;       Parent Loop BB58_19 Depth=3
                                        ; =>      This Loop Header: Depth=4
                                        ;           Child Loop BB58_30 Depth 5
                                        ;           Child Loop BB58_36 Depth 5
	global_load_b32 v46, v45, s[18:19] scale_offset
	s_wait_loadcnt 0x1
	v_dual_mov_b32 v48, v27 :: v_dual_mov_b32 v47, v12
	s_wait_xcnt 0x0
	s_and_saveexec_b32 s34, s4
	s_cbranch_execz .LBB58_32
; %bb.29:                               ;   in Loop: Header=BB58_28 Depth=4
	v_dual_mov_b32 v48, v27 :: v_dual_mov_b32 v47, v12
	v_dual_mov_b32 v49, v28 :: v_dual_mov_b32 v50, v29
	s_mov_b32 s35, 0
.LBB58_30:                              ;   Parent Loop BB58_4 Depth=1
                                        ;     Parent Loop BB58_10 Depth=2
                                        ;       Parent Loop BB58_19 Depth=3
                                        ;         Parent Loop BB58_28 Depth=4
                                        ; =>        This Inner Loop Header: Depth=5
	s_wait_loadcnt 0x0
	s_delay_alu instid0(VALU_DEP_2) | instskip(NEXT) | instid1(VALU_DEP_2)
	v_cmp_lt_i32_e32 vcc_lo, v48, v46
	v_dual_cndmask_b32 v50, v47, v50 :: v_dual_add_nc_u32 v51, 1, v47
	s_delay_alu instid0(VALU_DEP_1) | instskip(NEXT) | instid1(VALU_DEP_1)
	v_cndmask_b32_e32 v49, v49, v51, vcc_lo
	v_add_nc_u32_e32 v47, v50, v49
	v_cmp_ge_i32_e32 vcc_lo, v49, v50
	s_delay_alu instid0(VALU_DEP_2)
	v_ashrrev_i32_e32 v47, 1, v47
	s_or_b32 s35, vcc_lo, s35
	global_load_b32 v48, v47, s[18:19] scale_offset
	s_wait_xcnt 0x0
	s_and_not1_b32 exec_lo, exec_lo, s35
	s_cbranch_execnz .LBB58_30
; %bb.31:                               ;   in Loop: Header=BB58_28 Depth=4
	s_or_b32 exec_lo, exec_lo, s35
.LBB58_32:                              ;   in Loop: Header=BB58_28 Depth=4
	s_delay_alu instid0(SALU_CYCLE_1) | instskip(NEXT) | instid1(SALU_CYCLE_1)
	s_or_b32 exec_lo, exec_lo, s34
	s_mov_b32 s34, exec_lo
	s_wait_loadcnt 0x0
	v_cmpx_eq_u32_e64 v48, v46
	s_cbranch_execz .LBB58_27
; %bb.33:                               ;   in Loop: Header=BB58_28 Depth=4
	v_mul_lo_u32 v49, v47, s23
	v_subrev_nc_u32_e32 v47, s7, v46
	v_mad_u32 v46, v45, s23, s31
	s_mov_b32 s35, 0
	v_mov_b32_e32 v50, v44
	s_delay_alu instid0(VALU_DEP_3)
	v_mul_lo_u32 v47, v47, s21
	v_add_nc_u32_e32 v48, v49, v34
	v_add_nc_u32_e32 v49, v13, v49
	s_branch .LBB58_36
.LBB58_34:                              ;   in Loop: Header=BB58_36 Depth=5
	s_clause 0x1
	global_load_b128 v[54:57], v51, s[12:13] scale_offset
	global_load_b128 v[58:61], v52, s[12:13] scale_offset
	s_wait_loadcnt 0x0
	v_fmac_f64_e32 v[24:25], v[54:55], v[58:59]
	v_fmac_f64_e32 v[22:23], v[56:57], v[58:59]
	s_delay_alu instid0(VALU_DEP_2) | instskip(NEXT) | instid1(VALU_DEP_2)
	v_fmac_f64_e32 v[24:25], v[56:57], v[60:61]
	v_fma_f64 v[22:23], v[54:55], -v[60:61], v[22:23]
.LBB58_35:                              ;   in Loop: Header=BB58_36 Depth=5
	s_wait_xcnt 0x0
	s_or_b32 exec_lo, exec_lo, s36
	v_dual_add_nc_u32 v49, s21, v49 :: v_dual_add_nc_u32 v50, s21, v50
	s_add_co_i32 s35, s35, 1
	s_delay_alu instid0(SALU_CYCLE_1)
	s_cmp_lg_u32 s21, s35
	s_cbranch_scc0 .LBB58_27
.LBB58_36:                              ;   Parent Loop BB58_4 Depth=1
                                        ;     Parent Loop BB58_10 Depth=2
                                        ;       Parent Loop BB58_19 Depth=3
                                        ;         Parent Loop BB58_28 Depth=4
                                        ; =>        This Inner Loop Header: Depth=5
	s_delay_alu instid0(VALU_DEP_3) | instskip(SKIP_1) | instid1(VALU_DEP_1)
	v_add_nc_u32_e32 v51, s35, v47
	s_mov_b32 s36, exec_lo
	v_cmpx_lt_i32_e64 v51, v43
	s_cbranch_execz .LBB58_35
; %bb.37:                               ;   in Loop: Header=BB58_36 Depth=5
	v_dual_mov_b32 v52, v49 :: v_dual_mov_b32 v51, v50
	s_and_not1_b32 vcc_lo, exec_lo, s1
	s_cbranch_vccnz .LBB58_34
; %bb.38:                               ;   in Loop: Header=BB58_36 Depth=5
	v_dual_add_nc_u32 v51, s35, v46 :: v_dual_add_nc_u32 v52, s35, v48
	s_branch .LBB58_34
.LBB58_39:                              ;   in Loop: Header=BB58_4 Depth=1
	s_or_b32 exec_lo, exec_lo, s27
.LBB58_40:                              ;   in Loop: Header=BB58_4 Depth=1
	s_delay_alu instid0(SALU_CYCLE_1) | instskip(NEXT) | instid1(VALU_DEP_3)
	s_or_b32 exec_lo, exec_lo, s26
	v_dual_mov_b32 v36, v31 :: v_dual_add_nc_u32 v35, v34, v32
	s_mov_b32 s6, 0
	s_branch .LBB58_43
.LBB58_41:                              ;   in Loop: Header=BB58_43 Depth=2
	s_wait_xcnt 0x0
	v_mul_f64_e32 v[38:39], v[2:3], v[2:3]
	s_wait_loadcnt 0x0
	s_delay_alu instid0(VALU_DEP_2) | instskip(NEXT) | instid1(VALU_DEP_4)
	v_add_f64_e64 v[8:9], v[8:9], -v[24:25]
	v_add_f64_e64 v[6:7], v[6:7], -v[22:23]
	s_delay_alu instid0(VALU_DEP_3) | instskip(NEXT) | instid1(VALU_DEP_3)
	v_fmac_f64_e32 v[38:39], v[20:21], v[20:21]
	v_mul_f64_e32 v[22:23], v[2:3], v[8:9]
	s_delay_alu instid0(VALU_DEP_3) | instskip(NEXT) | instid1(VALU_DEP_3)
	v_mul_f64_e64 v[2:3], v[2:3], -v[6:7]
	v_div_scale_f64 v[40:41], null, v[38:39], v[38:39], 1.0
	v_div_scale_f64 v[46:47], vcc_lo, 1.0, v[38:39], 1.0
	s_delay_alu instid0(VALU_DEP_4) | instskip(NEXT) | instid1(VALU_DEP_4)
	v_fmac_f64_e32 v[22:23], v[6:7], v[20:21]
	v_fmac_f64_e32 v[2:3], v[8:9], v[20:21]
	s_delay_alu instid0(VALU_DEP_4) | instskip(SKIP_1) | instid1(TRANS32_DEP_1)
	v_rcp_f64_e32 v[42:43], v[40:41]
	v_nop
	v_fma_f64 v[44:45], -v[40:41], v[42:43], 1.0
	s_delay_alu instid0(VALU_DEP_1) | instskip(NEXT) | instid1(VALU_DEP_1)
	v_fmac_f64_e32 v[42:43], v[42:43], v[44:45]
	v_fma_f64 v[44:45], -v[40:41], v[42:43], 1.0
	s_delay_alu instid0(VALU_DEP_1) | instskip(NEXT) | instid1(VALU_DEP_1)
	v_fmac_f64_e32 v[42:43], v[42:43], v[44:45]
	v_mul_f64_e32 v[44:45], v[46:47], v[42:43]
	s_delay_alu instid0(VALU_DEP_1) | instskip(NEXT) | instid1(VALU_DEP_1)
	v_fma_f64 v[24:25], -v[40:41], v[44:45], v[46:47]
	v_div_fmas_f64 v[24:25], v[24:25], v[42:43], v[44:45]
	s_delay_alu instid0(VALU_DEP_1) | instskip(NEXT) | instid1(VALU_DEP_1)
	v_div_fixup_f64 v[24:25], v[24:25], v[38:39], 1.0
	v_mul_f64_e32 v[6:7], v[24:25], v[22:23]
	v_mul_f64_e32 v[8:9], v[24:25], v[2:3]
	s_delay_alu instid0(VALU_DEP_2) | instskip(NEXT) | instid1(VALU_DEP_2)
	v_fmac_f64_e32 v[18:19], v[6:7], v[6:7]
	v_fmac_f64_e32 v[16:17], v[8:9], v[6:7]
	global_store_b128 v[26:27], v[6:9], off
	v_fmac_f64_e32 v[18:19], v[8:9], v[8:9]
	v_fma_f64 v[16:17], v[6:7], -v[8:9], v[16:17]
.LBB58_42:                              ;   in Loop: Header=BB58_43 Depth=2
	s_wait_xcnt 0x0
	s_or_b32 exec_lo, exec_lo, s5
	v_add_nc_u32_e32 v36, 1, v36
	s_add_co_i32 s6, s6, 1
	global_wb scope:SCOPE_DEV
	s_wait_storecnt 0x0
	global_inv scope:SCOPE_DEV
	s_cmp_eq_u32 s6, s21
	s_cbranch_scc1 .LBB58_3
.LBB58_43:                              ;   Parent Loop BB58_4 Depth=1
                                        ; =>  This Loop Header: Depth=2
                                        ;       Child Loop BB58_53 Depth 3
                                        ;       Child Loop BB58_61 Depth 3
                                        ;         Child Loop BB58_63 Depth 4
                                        ;       Child Loop BB58_71 Depth 3
	s_mul_i32 s26, s6, s21
	s_mov_b32 s5, exec_lo
	v_add_nc_u32_e32 v37, s26, v32
	s_delay_alu instid0(VALU_DEP_1) | instskip(NEXT) | instid1(VALU_DEP_1)
	v_add_nc_u32_e32 v2, s6, v37
	v_ashrrev_i32_e32 v3, 31, v2
	s_delay_alu instid0(VALU_DEP_1)
	v_lshl_add_u64 v[6:7], v[2:3], 4, s[12:13]
	v_cmpx_eq_u32_e64 s6, v13
	s_cbranch_execz .LBB58_51
; %bb.44:                               ;   in Loop: Header=BB58_43 Depth=2
	global_load_b128 v[20:23], v[6:7], off
	s_mov_b32 s27, exec_lo
	s_wait_loadcnt 0x0
	v_add_f64_e64 v[22:23], v[22:23], -v[16:17]
	s_delay_alu instid0(VALU_DEP_1) | instskip(SKIP_1) | instid1(VALU_DEP_1)
	v_xor_b32_e32 v8, 0x80000000, v23
	v_add_f64_e64 v[2:3], v[20:21], -v[18:19]
                                        ; implicit-def: $vgpr20_vgpr21
	v_cmp_gt_f64_e32 vcc_lo, 0, v[2:3]
	v_xor_b32_e32 v5, 0x80000000, v3
	s_delay_alu instid0(VALU_DEP_1) | instskip(SKIP_3) | instid1(VALU_DEP_1)
	v_cndmask_b32_e32 v3, v3, v5, vcc_lo
	v_cmp_gt_f64_e32 vcc_lo, 0, v[22:23]
	v_dual_cndmask_b32 v9, v23, v8 :: v_dual_mov_b32 v8, v22
	s_wait_xcnt 0x0
	v_cmpx_ngt_f64_e32 v[2:3], v[8:9]
	s_xor_b32 s27, exec_lo, s27
	s_cbranch_execz .LBB58_48
; %bb.45:                               ;   in Loop: Header=BB58_43 Depth=2
	v_mov_b64_e32 v[20:21], 0
	s_mov_b32 s28, exec_lo
	v_cmpx_neq_f64_e32 0, v[22:23]
	s_cbranch_execz .LBB58_47
; %bb.46:                               ;   in Loop: Header=BB58_43 Depth=2
	v_div_scale_f64 v[20:21], null, v[8:9], v[8:9], v[2:3]
	v_div_scale_f64 v[26:27], vcc_lo, v[2:3], v[8:9], v[2:3]
	s_delay_alu instid0(VALU_DEP_2) | instskip(SKIP_1) | instid1(TRANS32_DEP_1)
	v_rcp_f64_e32 v[22:23], v[20:21]
	v_nop
	v_fma_f64 v[24:25], -v[20:21], v[22:23], 1.0
	s_delay_alu instid0(VALU_DEP_1) | instskip(NEXT) | instid1(VALU_DEP_1)
	v_fmac_f64_e32 v[22:23], v[22:23], v[24:25]
	v_fma_f64 v[24:25], -v[20:21], v[22:23], 1.0
	s_delay_alu instid0(VALU_DEP_1) | instskip(NEXT) | instid1(VALU_DEP_1)
	v_fmac_f64_e32 v[22:23], v[22:23], v[24:25]
	v_mul_f64_e32 v[24:25], v[26:27], v[22:23]
	s_delay_alu instid0(VALU_DEP_1) | instskip(NEXT) | instid1(VALU_DEP_1)
	v_fma_f64 v[20:21], -v[20:21], v[24:25], v[26:27]
	v_div_fmas_f64 v[20:21], v[20:21], v[22:23], v[24:25]
	s_delay_alu instid0(VALU_DEP_1) | instskip(NEXT) | instid1(VALU_DEP_1)
	v_div_fixup_f64 v[2:3], v[20:21], v[8:9], v[2:3]
	v_fma_f64 v[2:3], v[2:3], v[2:3], 1.0
	s_delay_alu instid0(VALU_DEP_1) | instskip(SKIP_1) | instid1(VALU_DEP_1)
	v_cmp_gt_f64_e32 vcc_lo, 0x10000000, v[2:3]
	v_cndmask_b32_e64 v5, 0, 0x100, vcc_lo
	v_ldexp_f64 v[2:3], v[2:3], v5
	v_cndmask_b32_e64 v5, 0, 0xffffff80, vcc_lo
	s_delay_alu instid0(VALU_DEP_2) | instskip(SKIP_1) | instid1(TRANS32_DEP_1)
	v_rsq_f64_e32 v[20:21], v[2:3]
	v_cmp_class_f64_e64 vcc_lo, v[2:3], 0x260
	v_mul_f64_e32 v[22:23], v[2:3], v[20:21]
	v_mul_f64_e32 v[20:21], 0.5, v[20:21]
	s_delay_alu instid0(VALU_DEP_1) | instskip(NEXT) | instid1(VALU_DEP_1)
	v_fma_f64 v[24:25], -v[20:21], v[22:23], 0.5
	v_fmac_f64_e32 v[22:23], v[22:23], v[24:25]
	v_fmac_f64_e32 v[20:21], v[20:21], v[24:25]
	s_delay_alu instid0(VALU_DEP_2) | instskip(NEXT) | instid1(VALU_DEP_1)
	v_fma_f64 v[24:25], -v[22:23], v[22:23], v[2:3]
	v_fmac_f64_e32 v[22:23], v[24:25], v[20:21]
	s_delay_alu instid0(VALU_DEP_1) | instskip(NEXT) | instid1(VALU_DEP_1)
	v_fma_f64 v[24:25], -v[22:23], v[22:23], v[2:3]
	v_fmac_f64_e32 v[22:23], v[24:25], v[20:21]
	s_delay_alu instid0(VALU_DEP_1) | instskip(NEXT) | instid1(VALU_DEP_1)
	v_ldexp_f64 v[20:21], v[22:23], v5
	v_dual_cndmask_b32 v3, v21, v3 :: v_dual_cndmask_b32 v2, v20, v2
	s_delay_alu instid0(VALU_DEP_1)
	v_mul_f64_e32 v[20:21], v[8:9], v[2:3]
.LBB58_47:                              ;   in Loop: Header=BB58_43 Depth=2
	s_or_b32 exec_lo, exec_lo, s28
                                        ; implicit-def: $vgpr2_vgpr3
                                        ; implicit-def: $vgpr8_vgpr9
.LBB58_48:                              ;   in Loop: Header=BB58_43 Depth=2
	s_and_not1_saveexec_b32 s27, s27
	s_cbranch_execz .LBB58_50
; %bb.49:                               ;   in Loop: Header=BB58_43 Depth=2
	v_div_scale_f64 v[20:21], null, v[2:3], v[2:3], v[8:9]
	v_div_scale_f64 v[26:27], vcc_lo, v[8:9], v[2:3], v[8:9]
	s_delay_alu instid0(VALU_DEP_2) | instskip(SKIP_1) | instid1(TRANS32_DEP_1)
	v_rcp_f64_e32 v[22:23], v[20:21]
	v_nop
	v_fma_f64 v[24:25], -v[20:21], v[22:23], 1.0
	s_delay_alu instid0(VALU_DEP_1) | instskip(NEXT) | instid1(VALU_DEP_1)
	v_fmac_f64_e32 v[22:23], v[22:23], v[24:25]
	v_fma_f64 v[24:25], -v[20:21], v[22:23], 1.0
	s_delay_alu instid0(VALU_DEP_1) | instskip(NEXT) | instid1(VALU_DEP_1)
	v_fmac_f64_e32 v[22:23], v[22:23], v[24:25]
	v_mul_f64_e32 v[24:25], v[26:27], v[22:23]
	s_delay_alu instid0(VALU_DEP_1) | instskip(NEXT) | instid1(VALU_DEP_1)
	v_fma_f64 v[20:21], -v[20:21], v[24:25], v[26:27]
	v_div_fmas_f64 v[20:21], v[20:21], v[22:23], v[24:25]
	s_delay_alu instid0(VALU_DEP_1) | instskip(NEXT) | instid1(VALU_DEP_1)
	v_div_fixup_f64 v[8:9], v[20:21], v[2:3], v[8:9]
	v_fma_f64 v[8:9], v[8:9], v[8:9], 1.0
	s_delay_alu instid0(VALU_DEP_1) | instskip(SKIP_1) | instid1(VALU_DEP_1)
	v_cmp_gt_f64_e32 vcc_lo, 0x10000000, v[8:9]
	v_cndmask_b32_e64 v5, 0, 0x100, vcc_lo
	v_ldexp_f64 v[8:9], v[8:9], v5
	v_cndmask_b32_e64 v5, 0, 0xffffff80, vcc_lo
	s_delay_alu instid0(VALU_DEP_2) | instskip(SKIP_1) | instid1(TRANS32_DEP_1)
	v_rsq_f64_e32 v[20:21], v[8:9]
	v_cmp_class_f64_e64 vcc_lo, v[8:9], 0x260
	v_mul_f64_e32 v[22:23], v[8:9], v[20:21]
	v_mul_f64_e32 v[20:21], 0.5, v[20:21]
	s_delay_alu instid0(VALU_DEP_1) | instskip(NEXT) | instid1(VALU_DEP_1)
	v_fma_f64 v[24:25], -v[20:21], v[22:23], 0.5
	v_fmac_f64_e32 v[22:23], v[22:23], v[24:25]
	v_fmac_f64_e32 v[20:21], v[20:21], v[24:25]
	s_delay_alu instid0(VALU_DEP_2) | instskip(NEXT) | instid1(VALU_DEP_1)
	v_fma_f64 v[24:25], -v[22:23], v[22:23], v[8:9]
	v_fmac_f64_e32 v[22:23], v[24:25], v[20:21]
	s_delay_alu instid0(VALU_DEP_1) | instskip(NEXT) | instid1(VALU_DEP_1)
	v_fma_f64 v[24:25], -v[22:23], v[22:23], v[8:9]
	v_fmac_f64_e32 v[22:23], v[24:25], v[20:21]
	s_delay_alu instid0(VALU_DEP_1) | instskip(NEXT) | instid1(VALU_DEP_1)
	v_ldexp_f64 v[20:21], v[22:23], v5
	v_dual_cndmask_b32 v9, v21, v9 :: v_dual_cndmask_b32 v8, v20, v8
	s_delay_alu instid0(VALU_DEP_1)
	v_mul_f64_e32 v[20:21], v[2:3], v[8:9]
.LBB58_50:                              ;   in Loop: Header=BB58_43 Depth=2
	s_or_b32 exec_lo, exec_lo, s27
	s_delay_alu instid0(VALU_DEP_1) | instskip(SKIP_2) | instid1(VALU_DEP_2)
	v_cmp_gt_f64_e32 vcc_lo, 0x10000000, v[20:21]
	v_cndmask_b32_e64 v2, 0, 0x100, vcc_lo
	v_cndmask_b32_e64 v5, 0, 0xffffff80, vcc_lo
	v_ldexp_f64 v[2:3], v[20:21], v2
	s_delay_alu instid0(VALU_DEP_1) | instskip(SKIP_1) | instid1(TRANS32_DEP_1)
	v_rsq_f64_e32 v[8:9], v[2:3]
	v_cmp_class_f64_e64 vcc_lo, v[2:3], 0x260
	v_mul_f64_e32 v[20:21], v[2:3], v[8:9]
	v_mul_f64_e32 v[8:9], 0.5, v[8:9]
	s_delay_alu instid0(VALU_DEP_1) | instskip(NEXT) | instid1(VALU_DEP_1)
	v_fma_f64 v[22:23], -v[8:9], v[20:21], 0.5
	v_fmac_f64_e32 v[20:21], v[20:21], v[22:23]
	v_fmac_f64_e32 v[8:9], v[8:9], v[22:23]
	s_delay_alu instid0(VALU_DEP_2) | instskip(NEXT) | instid1(VALU_DEP_1)
	v_fma_f64 v[22:23], -v[20:21], v[20:21], v[2:3]
	v_fmac_f64_e32 v[20:21], v[22:23], v[8:9]
	s_delay_alu instid0(VALU_DEP_1) | instskip(NEXT) | instid1(VALU_DEP_1)
	v_fma_f64 v[22:23], -v[20:21], v[20:21], v[2:3]
	v_fmac_f64_e32 v[20:21], v[22:23], v[8:9]
	s_delay_alu instid0(VALU_DEP_1) | instskip(NEXT) | instid1(VALU_DEP_1)
	v_ldexp_f64 v[8:9], v[20:21], v5
	v_dual_mov_b32 v5, v4 :: v_dual_cndmask_b32 v3, v9, v3, vcc_lo
	s_delay_alu instid0(VALU_DEP_2)
	v_cndmask_b32_e32 v2, v8, v2, vcc_lo
	global_store_b128 v[6:7], v[2:5], off
.LBB58_51:                              ;   in Loop: Header=BB58_43 Depth=2
	s_wait_xcnt 0x0
	s_or_b32 exec_lo, exec_lo, s5
	global_wb scope:SCOPE_DEV
	s_wait_storecnt 0x0
	global_inv scope:SCOPE_DEV
	global_load_b128 v[6:9], v[6:7], off
	s_wait_loadcnt 0x0
	v_cmp_neq_f64_e32 vcc_lo, 0, v[6:7]
	v_cmp_neq_f64_e64 s5, 0, v[8:9]
	s_or_b32 vcc_lo, vcc_lo, s5
	v_dual_cndmask_b32 v3, 0, v9 :: v_dual_cndmask_b32 v2, 0, v8
	v_cndmask_b32_e32 v21, 0x3ff00000, v7, vcc_lo
	v_cndmask_b32_e32 v20, 0, v6, vcc_lo
	s_nor_b32 s27, vcc_lo, s0
	s_wait_xcnt 0x0
	s_and_saveexec_b32 s5, s27
	s_cbranch_execz .LBB58_57
; %bb.52:                               ;   in Loop: Header=BB58_43 Depth=2
	s_mov_b32 s28, exec_lo
	s_brev_b32 s27, -2
.LBB58_53:                              ;   Parent Loop BB58_4 Depth=1
                                        ;     Parent Loop BB58_43 Depth=2
                                        ; =>    This Inner Loop Header: Depth=3
	s_ctz_i32_b32 s29, s28
	s_delay_alu instid0(SALU_CYCLE_1) | instskip(SKIP_1) | instid1(SALU_CYCLE_1)
	v_readlane_b32 s30, v30, s29
	s_lshl_b32 s29, 1, s29
	s_and_not1_b32 s28, s28, s29
	s_min_i32 s27, s27, s30
	s_cmp_lg_u32 s28, 0
	s_cbranch_scc1 .LBB58_53
; %bb.54:                               ;   in Loop: Header=BB58_43 Depth=2
	v_mbcnt_lo_u32_b32 v2, exec_lo, 0
	s_mov_b32 s28, exec_lo
	s_delay_alu instid0(VALU_DEP_1)
	v_cmpx_eq_u32_e32 0, v2
	s_xor_b32 s28, exec_lo, s28
	s_cbranch_execz .LBB58_56
; %bb.55:                               ;   in Loop: Header=BB58_43 Depth=2
	v_mov_b32_e32 v2, s27
	global_atomic_min_i32 v4, v2, s[14:15] scope:SCOPE_DEV
.LBB58_56:                              ;   in Loop: Header=BB58_43 Depth=2
	s_wait_xcnt 0x0
	s_or_b32 exec_lo, exec_lo, s28
	v_mov_b64_e32 v[2:3], 0
	v_mov_b64_e32 v[20:21], 1.0
.LBB58_57:                              ;   in Loop: Header=BB58_43 Depth=2
	s_or_b32 exec_lo, exec_lo, s5
	s_delay_alu instid0(SALU_CYCLE_1)
	s_mov_b32 s5, exec_lo
	v_cmpx_lt_i32_e64 s6, v13
	s_cbranch_execz .LBB58_42
; %bb.58:                               ;   in Loop: Header=BB58_43 Depth=2
	v_dual_add_nc_u32 v5, s6, v35 :: v_dual_add_nc_u32 v6, v37, v13
	v_mov_b64_e32 v[22:23], 0
	v_mov_b64_e32 v[24:25], 0
	s_delay_alu instid0(VALU_DEP_3)
	v_cndmask_b32_e64 v26, v6, v5, s1
	global_load_b128 v[6:9], v26, s[12:13] scale_offset
	s_wait_xcnt 0x0
	s_and_saveexec_b32 s27, s2
	s_cbranch_execz .LBB58_68
; %bb.59:                               ;   in Loop: Header=BB58_43 Depth=2
	v_mov_b64_e32 v[22:23], 0
	v_mov_b64_e32 v[24:25], 0
	v_dual_mov_b32 v5, v36 :: v_dual_mov_b32 v27, v33
	v_mov_b32_e32 v38, v28
	s_mov_b32 s28, 0
	s_branch .LBB58_61
.LBB58_60:                              ;   in Loop: Header=BB58_61 Depth=3
	v_dual_add_nc_u32 v38, 1, v38 :: v_dual_add_nc_u32 v27, s23, v27
	v_add_nc_u32_e32 v5, s23, v5
	s_delay_alu instid0(VALU_DEP_2)
	v_cmp_ge_i32_e32 vcc_lo, v38, v1
	s_or_b32 s28, vcc_lo, s28
	s_wait_xcnt 0x0
	s_and_not1_b32 exec_lo, exec_lo, s28
	s_cbranch_execz .LBB58_67
.LBB58_61:                              ;   Parent Loop BB58_4 Depth=1
                                        ;     Parent Loop BB58_43 Depth=2
                                        ; =>    This Loop Header: Depth=3
                                        ;         Child Loop BB58_63 Depth 4
	s_delay_alu instid0(VALU_DEP_1) | instskip(SKIP_3) | instid1(VALU_DEP_1)
	v_mul_lo_u32 v40, v38, s23
	s_mov_b32 s29, s21
	s_mov_b32 s30, 0
	;; [unrolled: 1-line block ×3, first 2 shown]
	v_dual_add_nc_u32 v39, s26, v40 :: v_dual_add_nc_u32 v40, v40, v34
	s_branch .LBB58_63
.LBB58_62:                              ;   in Loop: Header=BB58_63 Depth=4
	s_clause 0x1
	global_load_b128 v[44:47], v42, s[12:13] scale_offset
	global_load_b128 v[48:51], v41, s[12:13] scale_offset
	s_add_co_i32 s29, s29, -1
	s_add_co_i32 s31, s31, 1
	s_add_co_i32 s30, s30, s21
	s_cmp_eq_u32 s29, 0
	s_wait_loadcnt 0x0
	v_fmac_f64_e32 v[22:23], v[48:49], v[44:45]
	v_fmac_f64_e32 v[24:25], v[50:51], v[44:45]
	s_delay_alu instid0(VALU_DEP_2) | instskip(NEXT) | instid1(VALU_DEP_2)
	v_fmac_f64_e32 v[22:23], v[50:51], v[46:47]
	v_fma_f64 v[24:25], v[48:49], -v[46:47], v[24:25]
	s_cbranch_scc1 .LBB58_60
.LBB58_63:                              ;   Parent Loop BB58_4 Depth=1
                                        ;     Parent Loop BB58_43 Depth=2
                                        ;       Parent Loop BB58_61 Depth=3
                                        ; =>      This Inner Loop Header: Depth=4
	s_and_b32 vcc_lo, exec_lo, s25
	s_mov_b32 s33, -1
                                        ; implicit-def: $vgpr42
                                        ; implicit-def: $vgpr41
	s_cbranch_vccz .LBB58_65
; %bb.64:                               ;   in Loop: Header=BB58_63 Depth=4
	s_wait_xcnt 0x0
	v_dual_add_nc_u32 v41, s30, v5 :: v_dual_add_nc_u32 v42, s30, v27
	s_mov_b32 s33, 0
.LBB58_65:                              ;   in Loop: Header=BB58_63 Depth=4
	s_delay_alu instid0(SALU_CYCLE_1)
	s_and_not1_b32 vcc_lo, exec_lo, s33
	s_cbranch_vccnz .LBB58_62
; %bb.66:                               ;   in Loop: Header=BB58_63 Depth=4
	s_wait_xcnt 0x0
	v_dual_add_nc_u32 v41, s31, v39 :: v_dual_add_nc_u32 v42, s31, v40
	s_branch .LBB58_62
.LBB58_67:                              ;   in Loop: Header=BB58_43 Depth=2
	s_or_b32 exec_lo, exec_lo, s28
.LBB58_68:                              ;   in Loop: Header=BB58_43 Depth=2
	s_delay_alu instid0(SALU_CYCLE_1) | instskip(SKIP_2) | instid1(VALU_DEP_1)
	s_or_b32 exec_lo, exec_lo, s27
	v_ashrrev_i32_e32 v27, 31, v26
	s_cmp_eq_u32 s6, 0
	v_lshl_add_u64 v[26:27], v[26:27], 4, s[12:13]
	s_cbranch_scc1 .LBB58_41
; %bb.69:                               ;   in Loop: Header=BB58_43 Depth=2
	v_mov_b32_e32 v5, v32
	s_mov_b32 s26, 0
	s_branch .LBB58_71
.LBB58_70:                              ;   in Loop: Header=BB58_71 Depth=3
	s_clause 0x1
	global_load_b128 v[40:43], v39, s[12:13] scale_offset
	global_load_b128 v[44:47], v38, s[12:13] scale_offset
	s_add_co_i32 s26, s26, 1
	v_add_nc_u32_e32 v5, s21, v5
	s_cmp_eq_u32 s6, s26
	s_wait_loadcnt 0x0
	v_fmac_f64_e32 v[22:23], v[44:45], v[40:41]
	v_fmac_f64_e32 v[24:25], v[46:47], v[40:41]
	s_delay_alu instid0(VALU_DEP_2) | instskip(NEXT) | instid1(VALU_DEP_2)
	v_fmac_f64_e32 v[22:23], v[46:47], v[42:43]
	v_fma_f64 v[24:25], v[44:45], -v[42:43], v[24:25]
	s_cbranch_scc1 .LBB58_41
.LBB58_71:                              ;   Parent Loop BB58_4 Depth=1
                                        ;     Parent Loop BB58_43 Depth=2
                                        ; =>    This Inner Loop Header: Depth=3
	s_and_b32 vcc_lo, exec_lo, s25
	s_mov_b32 s27, -1
                                        ; implicit-def: $vgpr39
                                        ; implicit-def: $vgpr38
	s_cbranch_vccz .LBB58_73
; %bb.72:                               ;   in Loop: Header=BB58_71 Depth=3
	s_wait_xcnt 0x0
	v_dual_add_nc_u32 v38, s6, v5 :: v_dual_add_nc_u32 v39, v13, v5
	s_mov_b32 s27, 0
.LBB58_73:                              ;   in Loop: Header=BB58_71 Depth=3
	s_delay_alu instid0(SALU_CYCLE_1)
	s_and_not1_b32 vcc_lo, exec_lo, s27
	s_cbranch_vccnz .LBB58_70
; %bb.74:                               ;   in Loop: Header=BB58_71 Depth=3
	s_wait_xcnt 0x0
	v_dual_add_nc_u32 v38, s26, v37 :: v_dual_add_nc_u32 v39, s26, v35
	s_branch .LBB58_70
.LBB58_75:
	s_or_b32 exec_lo, exec_lo, s22
	s_delay_alu instid0(SALU_CYCLE_1)
	s_mov_b32 s0, exec_lo
	v_cmpx_eq_u32_e32 63, v0
	s_cbranch_execz .LBB58_77
; %bb.76:
	v_lshl_add_u64 v[0:1], v[10:11], 2, s[10:11]
	v_mov_b32_e32 v2, 1
	global_wb scope:SCOPE_DEV
	s_wait_loadcnt 0x0
	s_wait_storecnt 0x0
	global_store_b32 v[0:1], v2, off scope:SCOPE_DEV
.LBB58_77:
	s_wait_xcnt 0x0
	s_or_b32 exec_lo, exec_lo, s0
                                        ; implicit-def: $vgpr0
                                        ; implicit-def: $vgpr10_vgpr11
.LBB58_78:
	s_and_not1_saveexec_b32 s0, s20
	s_cbranch_execz .LBB58_85
; %bb.79:
	s_mov_b32 s0, exec_lo
	v_cmpx_eq_u32_e32 63, v0
	s_cbranch_execz .LBB58_85
; %bb.80:
	v_add_nc_u32_e32 v0, s7, v10
	s_mov_b32 s1, exec_lo
	s_brev_b32 s0, -2
.LBB58_81:                              ; =>This Inner Loop Header: Depth=1
	s_ctz_i32_b32 s2, s1
	s_delay_alu instid0(VALU_DEP_1) | instid1(SALU_CYCLE_1)
	v_readlane_b32 s3, v0, s2
	s_lshl_b32 s2, 1, s2
	s_delay_alu instid0(SALU_CYCLE_1)
	s_and_not1_b32 s1, s1, s2
	s_min_i32 s0, s0, s3
	s_cmp_lg_u32 s1, 0
	s_cbranch_scc1 .LBB58_81
; %bb.82:
	v_mbcnt_lo_u32_b32 v0, exec_lo, 0
	s_mov_b32 s1, exec_lo
	s_delay_alu instid0(VALU_DEP_1)
	v_cmpx_eq_u32_e32 0, v0
	s_xor_b32 s1, exec_lo, s1
	s_cbranch_execz .LBB58_84
; %bb.83:
	v_dual_mov_b32 v0, 0 :: v_dual_mov_b32 v1, s0
	global_atomic_min_i32 v0, v1, s[14:15] scope:SCOPE_DEV
.LBB58_84:
	s_wait_xcnt 0x0
	s_or_b32 exec_lo, exec_lo, s1
	v_lshl_add_u64 v[0:1], v[10:11], 2, s[10:11]
	v_mov_b32_e32 v2, 1
	global_wb scope:SCOPE_DEV
	s_wait_loadcnt 0x0
	s_wait_storecnt 0x0
	global_store_b32 v[0:1], v2, off scope:SCOPE_DEV
.LBB58_85:
	s_endpgm
	.section	.rodata,"a",@progbits
	.p2align	6, 0x0
	.amdhsa_kernel _ZN9rocsparseL23bsric0_binsearch_kernelILj64ELj64ELb1E21rocsparse_complex_numIdEEEv20rocsparse_direction_iiPKiS5_PT2_S5_PiS5_S8_21rocsparse_index_base_
		.amdhsa_group_segment_fixed_size 0
		.amdhsa_private_segment_fixed_size 0
		.amdhsa_kernarg_size 76
		.amdhsa_user_sgpr_count 2
		.amdhsa_user_sgpr_dispatch_ptr 0
		.amdhsa_user_sgpr_queue_ptr 0
		.amdhsa_user_sgpr_kernarg_segment_ptr 1
		.amdhsa_user_sgpr_dispatch_id 0
		.amdhsa_user_sgpr_kernarg_preload_length 0
		.amdhsa_user_sgpr_kernarg_preload_offset 0
		.amdhsa_user_sgpr_private_segment_size 0
		.amdhsa_wavefront_size32 1
		.amdhsa_uses_dynamic_stack 0
		.amdhsa_enable_private_segment 0
		.amdhsa_system_sgpr_workgroup_id_x 1
		.amdhsa_system_sgpr_workgroup_id_y 0
		.amdhsa_system_sgpr_workgroup_id_z 0
		.amdhsa_system_sgpr_workgroup_info 0
		.amdhsa_system_vgpr_workitem_id 0
		.amdhsa_next_free_vgpr 62
		.amdhsa_next_free_sgpr 37
		.amdhsa_named_barrier_count 0
		.amdhsa_reserve_vcc 1
		.amdhsa_float_round_mode_32 0
		.amdhsa_float_round_mode_16_64 0
		.amdhsa_float_denorm_mode_32 3
		.amdhsa_float_denorm_mode_16_64 3
		.amdhsa_fp16_overflow 0
		.amdhsa_memory_ordered 1
		.amdhsa_forward_progress 1
		.amdhsa_inst_pref_size 31
		.amdhsa_round_robin_scheduling 0
		.amdhsa_exception_fp_ieee_invalid_op 0
		.amdhsa_exception_fp_denorm_src 0
		.amdhsa_exception_fp_ieee_div_zero 0
		.amdhsa_exception_fp_ieee_overflow 0
		.amdhsa_exception_fp_ieee_underflow 0
		.amdhsa_exception_fp_ieee_inexact 0
		.amdhsa_exception_int_div_zero 0
	.end_amdhsa_kernel
	.section	.text._ZN9rocsparseL23bsric0_binsearch_kernelILj64ELj64ELb1E21rocsparse_complex_numIdEEEv20rocsparse_direction_iiPKiS5_PT2_S5_PiS5_S8_21rocsparse_index_base_,"axG",@progbits,_ZN9rocsparseL23bsric0_binsearch_kernelILj64ELj64ELb1E21rocsparse_complex_numIdEEEv20rocsparse_direction_iiPKiS5_PT2_S5_PiS5_S8_21rocsparse_index_base_,comdat
.Lfunc_end58:
	.size	_ZN9rocsparseL23bsric0_binsearch_kernelILj64ELj64ELb1E21rocsparse_complex_numIdEEEv20rocsparse_direction_iiPKiS5_PT2_S5_PiS5_S8_21rocsparse_index_base_, .Lfunc_end58-_ZN9rocsparseL23bsric0_binsearch_kernelILj64ELj64ELb1E21rocsparse_complex_numIdEEEv20rocsparse_direction_iiPKiS5_PT2_S5_PiS5_S8_21rocsparse_index_base_
                                        ; -- End function
	.set _ZN9rocsparseL23bsric0_binsearch_kernelILj64ELj64ELb1E21rocsparse_complex_numIdEEEv20rocsparse_direction_iiPKiS5_PT2_S5_PiS5_S8_21rocsparse_index_base_.num_vgpr, 62
	.set _ZN9rocsparseL23bsric0_binsearch_kernelILj64ELj64ELb1E21rocsparse_complex_numIdEEEv20rocsparse_direction_iiPKiS5_PT2_S5_PiS5_S8_21rocsparse_index_base_.num_agpr, 0
	.set _ZN9rocsparseL23bsric0_binsearch_kernelILj64ELj64ELb1E21rocsparse_complex_numIdEEEv20rocsparse_direction_iiPKiS5_PT2_S5_PiS5_S8_21rocsparse_index_base_.numbered_sgpr, 37
	.set _ZN9rocsparseL23bsric0_binsearch_kernelILj64ELj64ELb1E21rocsparse_complex_numIdEEEv20rocsparse_direction_iiPKiS5_PT2_S5_PiS5_S8_21rocsparse_index_base_.num_named_barrier, 0
	.set _ZN9rocsparseL23bsric0_binsearch_kernelILj64ELj64ELb1E21rocsparse_complex_numIdEEEv20rocsparse_direction_iiPKiS5_PT2_S5_PiS5_S8_21rocsparse_index_base_.private_seg_size, 0
	.set _ZN9rocsparseL23bsric0_binsearch_kernelILj64ELj64ELb1E21rocsparse_complex_numIdEEEv20rocsparse_direction_iiPKiS5_PT2_S5_PiS5_S8_21rocsparse_index_base_.uses_vcc, 1
	.set _ZN9rocsparseL23bsric0_binsearch_kernelILj64ELj64ELb1E21rocsparse_complex_numIdEEEv20rocsparse_direction_iiPKiS5_PT2_S5_PiS5_S8_21rocsparse_index_base_.uses_flat_scratch, 0
	.set _ZN9rocsparseL23bsric0_binsearch_kernelILj64ELj64ELb1E21rocsparse_complex_numIdEEEv20rocsparse_direction_iiPKiS5_PT2_S5_PiS5_S8_21rocsparse_index_base_.has_dyn_sized_stack, 0
	.set _ZN9rocsparseL23bsric0_binsearch_kernelILj64ELj64ELb1E21rocsparse_complex_numIdEEEv20rocsparse_direction_iiPKiS5_PT2_S5_PiS5_S8_21rocsparse_index_base_.has_recursion, 0
	.set _ZN9rocsparseL23bsric0_binsearch_kernelILj64ELj64ELb1E21rocsparse_complex_numIdEEEv20rocsparse_direction_iiPKiS5_PT2_S5_PiS5_S8_21rocsparse_index_base_.has_indirect_call, 0
	.section	.AMDGPU.csdata,"",@progbits
; Kernel info:
; codeLenInByte = 3864
; TotalNumSgprs: 39
; NumVgprs: 62
; ScratchSize: 0
; MemoryBound: 0
; FloatMode: 240
; IeeeMode: 1
; LDSByteSize: 0 bytes/workgroup (compile time only)
; SGPRBlocks: 0
; VGPRBlocks: 3
; NumSGPRsForWavesPerEU: 39
; NumVGPRsForWavesPerEU: 62
; NamedBarCnt: 0
; Occupancy: 16
; WaveLimiterHint : 1
; COMPUTE_PGM_RSRC2:SCRATCH_EN: 0
; COMPUTE_PGM_RSRC2:USER_SGPR: 2
; COMPUTE_PGM_RSRC2:TRAP_HANDLER: 0
; COMPUTE_PGM_RSRC2:TGID_X_EN: 1
; COMPUTE_PGM_RSRC2:TGID_Y_EN: 0
; COMPUTE_PGM_RSRC2:TGID_Z_EN: 0
; COMPUTE_PGM_RSRC2:TIDIG_COMP_CNT: 0
	.section	.text._ZN9rocsparseL26bsric0_2_8_unrolled_kernelILi1ELi32ELi1E21rocsparse_complex_numIdEEEv20rocsparse_direction_iiPKiS5_PT2_S5_PiS5_S8_21rocsparse_index_base_,"axG",@progbits,_ZN9rocsparseL26bsric0_2_8_unrolled_kernelILi1ELi32ELi1E21rocsparse_complex_numIdEEEv20rocsparse_direction_iiPKiS5_PT2_S5_PiS5_S8_21rocsparse_index_base_,comdat
	.globl	_ZN9rocsparseL26bsric0_2_8_unrolled_kernelILi1ELi32ELi1E21rocsparse_complex_numIdEEEv20rocsparse_direction_iiPKiS5_PT2_S5_PiS5_S8_21rocsparse_index_base_ ; -- Begin function _ZN9rocsparseL26bsric0_2_8_unrolled_kernelILi1ELi32ELi1E21rocsparse_complex_numIdEEEv20rocsparse_direction_iiPKiS5_PT2_S5_PiS5_S8_21rocsparse_index_base_
	.p2align	8
	.type	_ZN9rocsparseL26bsric0_2_8_unrolled_kernelILi1ELi32ELi1E21rocsparse_complex_numIdEEEv20rocsparse_direction_iiPKiS5_PT2_S5_PiS5_S8_21rocsparse_index_base_,@function
_ZN9rocsparseL26bsric0_2_8_unrolled_kernelILi1ELi32ELi1E21rocsparse_complex_numIdEEEv20rocsparse_direction_iiPKiS5_PT2_S5_PiS5_S8_21rocsparse_index_base_: ; @_ZN9rocsparseL26bsric0_2_8_unrolled_kernelILi1ELi32ELi1E21rocsparse_complex_numIdEEEv20rocsparse_direction_iiPKiS5_PT2_S5_PiS5_S8_21rocsparse_index_base_
; %bb.0:
	s_load_b256 s[4:11], s[0:1], 0x28
	s_bfe_u32 s2, ttmp6, 0x4000c
	s_and_b32 s3, ttmp6, 15
	s_add_co_i32 s2, s2, 1
	s_getreg_b32 s12, hwreg(HW_REG_IB_STS2, 6, 4)
	s_mul_i32 s2, ttmp9, s2
	s_delay_alu instid0(SALU_CYCLE_1)
	s_add_co_i32 s3, s3, s2
	s_cmp_eq_u32 s12, 0
	s_cselect_b32 s2, ttmp9, s3
	s_wait_kmcnt 0x0
	s_load_b32 s8, s[8:9], s2 offset:0x0 scale_offset
	s_wait_kmcnt 0x0
	s_ashr_i32 s9, s8, 31
	s_delay_alu instid0(SALU_CYCLE_1) | instskip(NEXT) | instid1(SALU_CYCLE_1)
	s_lshl_b64 s[2:3], s[8:9], 2
	s_add_nc_u64 s[12:13], s[4:5], s[2:3]
	s_load_b32 s16, s[12:13], 0x0
	s_load_b32 s9, s[0:1], 0x48
	s_wait_xcnt 0x0
	s_mov_b32 s12, 0
	s_wait_kmcnt 0x0
	s_cmp_lg_u32 s16, -1
	s_cbranch_scc0 .LBB59_15
; %bb.1:
	s_load_b128 s[12:15], s[0:1], 0x10
	s_wait_kmcnt 0x0
	s_add_nc_u64 s[18:19], s[12:13], s[2:3]
	s_load_b32 s20, s[18:19], 0x0
	s_wait_kmcnt 0x0
	s_sub_co_i32 s17, s20, s9
	s_delay_alu instid0(SALU_CYCLE_1)
	s_cmp_gt_i32 s17, s16
	s_cbranch_scc1 .LBB59_13
; %bb.2:
	s_add_co_i32 s18, s16, s9
	s_mov_b32 s19, -1
	s_sub_co_i32 s21, s18, s20
	s_mov_b32 s18, s17
	s_add_co_i32 s21, s21, 1
	s_delay_alu instid0(SALU_CYCLE_1)
	s_cmp_lt_u32 s21, 2
	s_cbranch_scc1 .LBB59_10
; %bb.3:
	s_add_co_i32 s18, s21, -2
	s_mov_b32 s22, 0
	s_lshr_b32 s23, s18, 1
	s_delay_alu instid0(SALU_CYCLE_1)
	s_add_co_i32 s23, s23, 1
	s_cmp_lt_u32 s18, 14
	s_cbranch_scc1 .LBB59_6
; %bb.4:
	s_and_b32 s24, s23, -8
	s_movk_i32 s25, 0x100
.LBB59_5:                               ; =>This Inner Loop Header: Depth=1
	s_add_co_i32 s18, s17, s22
	s_add_co_i32 s24, s24, -8
	s_ashr_i32 s19, s18, 31
	s_add_co_i32 s26, s18, 2
	s_add_co_i32 s28, s18, 4
	;; [unrolled: 1-line block ×7, first 2 shown]
	s_lshl_b64 s[18:19], s[18:19], 2
	s_ashr_i32 s27, s26, 31
	s_add_nc_u64 s[18:19], s[14:15], s[18:19]
	s_ashr_i32 s29, s28, 31
	s_load_b64 s[42:43], s[18:19], 0x0
	s_ashr_i32 s31, s30, 31
	s_ashr_i32 s35, s34, 31
	;; [unrolled: 1-line block ×5, first 2 shown]
	s_lshl_b64 s[26:27], s[26:27], 2
	s_lshl_b64 s[28:29], s[28:29], 2
	;; [unrolled: 1-line block ×7, first 2 shown]
	s_wait_xcnt 0x0
	s_add_nc_u64 s[18:19], s[14:15], s[26:27]
	s_add_nc_u64 s[26:27], s[14:15], s[28:29]
	;; [unrolled: 1-line block ×7, first 2 shown]
	s_clause 0x5
	s_load_b64 s[40:41], s[18:19], 0x0
	s_load_b64 s[44:45], s[26:27], 0x0
	;; [unrolled: 1-line block ×6, first 2 shown]
                                        ; kill: killed $sgpr26_sgpr27
                                        ; kill: killed $sgpr30_sgpr31
                                        ; kill: killed $sgpr36_sgpr37
                                        ; kill: killed $sgpr18_sgpr19
                                        ; kill: killed $sgpr28_sgpr29
                                        ; kill: killed $sgpr34_sgpr35
	s_wait_xcnt 0x0
	s_load_b64 s[18:19], s[38:39], 0x0
	s_wait_kmcnt 0x0
	s_sub_co_i32 s26, s42, s9
	s_sub_co_i32 s27, s43, s9
	v_dual_mov_b32 v0, s25 :: v_dual_mov_b32 v1, s26
	v_mov_b32_e32 v2, s27
	s_add_co_i32 s22, s22, 16
	s_add_co_i32 s25, s25, 64
	s_sub_co_i32 s26, s41, s9
	s_sub_co_i32 s27, s40, s9
	;; [unrolled: 1-line block ×6, first 2 shown]
	v_dual_mov_b32 v3, s27 :: v_dual_mov_b32 v4, s26
	v_mov_b32_e32 v5, s29
	s_sub_co_i32 s33, s49, s9
	s_sub_co_i32 s34, s48, s9
	s_sub_co_i32 s35, s51, s9
	s_sub_co_i32 s36, s50, s9
	s_sub_co_i32 s37, s53, s9
	s_wait_xcnt 0x0
	s_sub_co_i32 s38, s52, s9
	s_sub_co_i32 s19, s19, s9
	;; [unrolled: 1-line block ×3, first 2 shown]
	v_dual_mov_b32 v6, s28 :: v_dual_mov_b32 v7, s31
	s_cmp_lg_u32 s24, 0
	v_dual_mov_b32 v8, s30 :: v_dual_mov_b32 v9, s34
	v_dual_mov_b32 v10, s33 :: v_dual_mov_b32 v11, s36
	;; [unrolled: 1-line block ×4, first 2 shown]
	v_mov_b32_e32 v16, s19
	ds_store_2addr_b32 v0, v1, v2 offset1:1
	ds_store_2addr_b32 v0, v3, v4 offset0:2 offset1:3
	ds_store_2addr_b32 v0, v5, v6 offset0:4 offset1:5
	;; [unrolled: 1-line block ×7, first 2 shown]
	s_cbranch_scc1 .LBB59_5
.LBB59_6:
	s_and_b32 s23, s23, 7
	s_delay_alu instid0(SALU_CYCLE_1)
	s_cmp_eq_u32 s23, 0
	s_cbranch_scc1 .LBB59_9
; %bb.7:
	s_lshl_b32 s18, s22, 2
	s_add_co_i32 s19, s22, s20
	s_add_co_i32 s22, s18, 0x100
	s_sub_co_i32 s18, s19, s9
.LBB59_8:                               ; =>This Inner Loop Header: Depth=1
	s_delay_alu instid0(SALU_CYCLE_1)
	s_ashr_i32 s19, s18, 31
	s_add_co_i32 s23, s23, -1
	s_lshl_b64 s[24:25], s[18:19], 2
	s_add_co_i32 s18, s18, 2
	s_add_nc_u64 s[24:25], s[14:15], s[24:25]
	s_load_b64 s[26:27], s[24:25], 0x0
	s_wait_kmcnt 0x0
	s_sub_co_i32 s19, s26, s9
	s_sub_co_i32 s24, s27, s9
	v_dual_mov_b32 v0, s22 :: v_dual_mov_b32 v1, s19
	v_mov_b32_e32 v2, s24
	s_add_co_i32 s22, s22, 8
	s_cmp_lg_u32 s23, 0
	ds_store_2addr_b32 v0, v1, v2 offset1:1
	s_cbranch_scc1 .LBB59_8
.LBB59_9:
	s_and_b32 s19, s21, -2
	s_delay_alu instid0(SALU_CYCLE_1)
	s_add_co_i32 s18, s17, s19
	s_cmp_lg_u32 s21, s19
	s_cselect_b32 s19, -1, 0
.LBB59_10:
	s_delay_alu instid0(SALU_CYCLE_1)
	s_and_b32 vcc_lo, exec_lo, s19
	s_cbranch_vccz .LBB59_13
; %bb.11:
	s_add_co_i32 s19, s18, s9
	s_add_co_i32 s21, s18, -1
	s_sub_co_i32 s20, s19, s20
	s_ashr_i32 s19, s18, 31
	s_lshl_b32 s20, s20, 2
	s_lshl_b64 s[18:19], s[18:19], 2
	s_addk_co_i32 s20, 0x100
	s_add_nc_u64 s[18:19], s[14:15], s[18:19]
.LBB59_12:                              ; =>This Inner Loop Header: Depth=1
	s_load_b32 s22, s[18:19], 0x0
	s_add_co_i32 s21, s21, 1
	s_wait_xcnt 0x0
	s_add_nc_u64 s[18:19], s[18:19], 4
	s_wait_kmcnt 0x0
	s_sub_co_i32 s22, s22, s9
	s_delay_alu instid0(SALU_CYCLE_1)
	v_dual_mov_b32 v0, s20 :: v_dual_mov_b32 v1, s22
	s_add_co_i32 s20, s20, 4
	s_cmp_ge_i32 s21, s16
	ds_store_b32 v0, v1
	s_cbranch_scc0 .LBB59_12
.LBB59_13:
	s_load_b64 s[18:19], s[0:1], 0x20
	v_mov_b32_e32 v0, 0
	s_wait_xcnt 0x0
	s_mov_b32 s0, 0
	s_cmp_lt_i32 s17, s16
	s_delay_alu instid0(VALU_DEP_1)
	v_dual_mov_b32 v1, v0 :: v_dual_mov_b32 v2, v0
	v_mov_b32_e32 v3, v0
	ds_store_b128 v0, v[0:3] offset:480
	s_wait_dscnt 0x0
	s_cbranch_scc1 .LBB59_16
; %bb.14:
	s_mov_b32 s26, 0
	s_and_not1_b32 vcc_lo, exec_lo, s0
	s_cbranch_vccz .LBB59_17
	s_branch .LBB59_49
.LBB59_15:
	s_cbranch_execnz .LBB59_63
	s_branch .LBB59_64
.LBB59_16:
                                        ; implicit-def: $sgpr26
.LBB59_17:
	v_dual_mov_b32 v8, 0 :: v_dual_mov_b32 v9, 0x1c0
	v_mov_b32_e32 v10, 0x1a0
	v_mov_b32_e32 v11, 0x180
	;; [unrolled: 1-line block ×3, first 2 shown]
	s_mov_b32 s26, 0
	s_mov_b32 s20, s17
	s_branch .LBB59_21
.LBB59_18:                              ;   in Loop: Header=BB59_21 Depth=1
	v_dual_cndmask_b32 v4, 0, v4, s0 :: v_dual_cndmask_b32 v6, 0, v6, s0
	v_cndmask_b32_e64 v5, 0x3ff00000, v5, s0
	v_cndmask_b32_e64 v7, 0, v7, s0
.LBB59_19:                              ;   in Loop: Header=BB59_21 Depth=1
	s_delay_alu instid0(VALU_DEP_1) | instskip(SKIP_1) | instid1(SALU_CYCLE_1)
	v_mul_f64_e32 v[18:19], v[6:7], v[6:7]
	s_add_co_i32 s20, s20, 1
	s_cmp_ge_i32 s20, s16
	s_cselect_b32 s24, -1, 0
	s_delay_alu instid0(VALU_DEP_1) | instskip(NEXT) | instid1(VALU_DEP_1)
	v_fmac_f64_e32 v[18:19], v[4:5], v[4:5]
	v_div_scale_f64 v[20:21], null, v[18:19], v[18:19], 1.0
	v_div_scale_f64 v[24:25], vcc_lo, 1.0, v[18:19], 1.0
	s_delay_alu instid0(VALU_DEP_2) | instskip(SKIP_1) | instid1(TRANS32_DEP_1)
	v_rcp_f64_e32 v[22:23], v[20:21]
	v_nop
	v_fma_f64 v[14:15], -v[20:21], v[22:23], 1.0
	s_delay_alu instid0(VALU_DEP_1) | instskip(NEXT) | instid1(VALU_DEP_1)
	v_fmac_f64_e32 v[22:23], v[22:23], v[14:15]
	v_fma_f64 v[14:15], -v[20:21], v[22:23], 1.0
	s_delay_alu instid0(VALU_DEP_1)
	v_fmac_f64_e32 v[22:23], v[22:23], v[14:15]
	ds_load_b128 v[14:17], v10
	s_wait_dscnt 0x0
	v_add_f64_e64 v[2:3], v[2:3], -v[16:17]
	v_add_f64_e64 v[0:1], v[0:1], -v[14:15]
	v_mul_f64_e32 v[26:27], v[24:25], v[22:23]
	s_delay_alu instid0(VALU_DEP_3) | instskip(NEXT) | instid1(VALU_DEP_3)
	v_mul_f64_e32 v[14:15], v[6:7], v[2:3]
	v_mul_f64_e64 v[6:7], v[6:7], -v[0:1]
	s_delay_alu instid0(VALU_DEP_3) | instskip(NEXT) | instid1(VALU_DEP_3)
	v_fma_f64 v[16:17], -v[20:21], v[26:27], v[24:25]
	v_fmac_f64_e32 v[14:15], v[0:1], v[4:5]
	s_delay_alu instid0(VALU_DEP_3) | instskip(NEXT) | instid1(VALU_DEP_3)
	v_fmac_f64_e32 v[6:7], v[2:3], v[4:5]
	v_div_fmas_f64 v[16:17], v[16:17], v[22:23], v[26:27]
	s_delay_alu instid0(VALU_DEP_1) | instskip(NEXT) | instid1(VALU_DEP_1)
	v_div_fixup_f64 v[16:17], v[16:17], v[18:19], 1.0
	v_mul_f64_e32 v[0:1], v[16:17], v[14:15]
	s_delay_alu instid0(VALU_DEP_4)
	v_mul_f64_e32 v[2:3], v[16:17], v[6:7]
	ds_store_b128 v9, v[0:3]
	s_wait_storecnt_dscnt 0x0
	ds_load_b128 v[4:7], v9
	ds_load_b128 v[14:17], v12
	s_wait_dscnt 0x0
	v_fmac_f64_e32 v[14:15], v[0:1], v[4:5]
	v_fmac_f64_e32 v[16:17], v[2:3], v[4:5]
	s_delay_alu instid0(VALU_DEP_2) | instskip(NEXT) | instid1(VALU_DEP_2)
	v_fmac_f64_e32 v[14:15], v[2:3], v[6:7]
	v_fma_f64 v[16:17], v[0:1], -v[6:7], v[16:17]
	ds_store_b128 v12, v[14:17]
	s_wait_dscnt 0x0
	ds_load_2addr_b64 v[0:3], v9 offset1:1
	s_wait_dscnt 0x0
	global_store_b128 v8, v[0:3], s[22:23]
	global_wb scope:SCOPE_DEV
	s_wait_storecnt 0x0
	global_inv scope:SCOPE_DEV
.LBB59_20:                              ;   in Loop: Header=BB59_21 Depth=1
	s_and_b32 vcc_lo, exec_lo, s24
	s_cbranch_vccnz .LBB59_49
.LBB59_21:                              ; =>This Loop Header: Depth=1
                                        ;     Child Loop BB59_24 Depth 2
                                        ;     Child Loop BB59_35 Depth 2
	;; [unrolled: 1-line block ×4, first 2 shown]
	s_ashr_i32 s21, s20, 31
	s_delay_alu instid0(SALU_CYCLE_1) | instskip(NEXT) | instid1(SALU_CYCLE_1)
	s_lshl_b64 s[0:1], s[20:21], 2
	s_add_nc_u64 s[0:1], s[14:15], s[0:1]
	s_load_b32 s27, s[0:1], 0x0
	s_wait_kmcnt 0x0
	s_sub_co_i32 s22, s27, s9
	s_delay_alu instid0(SALU_CYCLE_1) | instskip(SKIP_2) | instid1(SALU_CYCLE_1)
	s_ashr_i32 s23, s22, 31
	s_wait_xcnt 0x0
	s_lshl_b64 s[0:1], s[22:23], 2
	s_add_nc_u64 s[24:25], s[4:5], s[0:1]
	s_load_b32 s28, s[24:25], 0x0
	s_wait_xcnt 0x0
	s_mov_b32 s24, -1
	s_wait_kmcnt 0x0
	s_cmp_eq_u32 s28, -1
	s_cbranch_scc1 .LBB59_20
; %bb.22:                               ;   in Loop: Header=BB59_21 Depth=1
	v_mov_b32_e32 v0, s20
	s_add_nc_u64 s[24:25], s[12:13], s[0:1]
	ds_load_b32 v4, v8 offset:256
	s_load_b32 s23, s[24:25], 0x0
	s_wait_xcnt 0x0
	s_mov_b32 s25, 0
	global_load_b128 v[0:3], v0, s[18:19] scale_offset
	s_wait_dscnt 0x0
	v_cmp_ge_i32_e32 vcc_lo, s22, v4
	s_wait_kmcnt 0x0
	s_sub_co_i32 s24, s23, s9
	s_delay_alu instid0(SALU_CYCLE_1) | instskip(SKIP_1) | instid1(SALU_CYCLE_1)
	s_cmp_le_i32 s24, s28
	s_cselect_b32 s23, -1, 0
	s_and_b32 s23, s23, vcc_lo
	s_delay_alu instid0(SALU_CYCLE_1)
	s_and_not1_b32 vcc_lo, exec_lo, s23
	s_wait_loadcnt 0x0
	ds_store_2addr_b64 v9, v[0:1], v[2:3] offset1:1
	s_cbranch_vccnz .LBB59_34
; %bb.23:                               ;   in Loop: Header=BB59_21 Depth=1
	s_mov_b32 s23, 0
	s_mov_b32 s29, 0
.LBB59_24:                              ;   Parent Loop BB59_21 Depth=1
                                        ; =>  This Inner Loop Header: Depth=2
	s_ashr_i32 s25, s24, 31
	s_lshl_b32 s33, s29, 2
	s_lshl_b64 s[30:31], s[24:25], 2
	s_wait_xcnt 0x0
	v_mov_b32_e32 v0, s33
	s_add_nc_u64 s[30:31], s[14:15], s[30:31]
	s_mov_b32 s34, -1
	s_load_b32 s25, s[30:31], 0x0
                                        ; implicit-def: $sgpr33
                                        ; implicit-def: $sgpr31
	ds_load_b32 v0, v0 offset:256
	s_wait_kmcnt 0x0
	s_sub_co_i32 s35, s25, s9
                                        ; implicit-def: $sgpr25
	s_wait_dscnt 0x0
	s_wait_xcnt 0x0
	v_readfirstlane_b32 s30, v0
	v_cmp_ge_i32_e32 vcc_lo, s35, v0
	s_cbranch_vccz .LBB59_30
; %bb.25:                               ;   in Loop: Header=BB59_24 Depth=2
	s_cmp_le_i32 s35, s30
                                        ; implicit-def: $sgpr25
                                        ; implicit-def: $sgpr33
                                        ; implicit-def: $sgpr31
	s_cbranch_scc0 .LBB59_27
; %bb.26:                               ;   in Loop: Header=BB59_24 Depth=2
	s_lshl_b32 s25, s23, 2
	s_add_co_i32 s31, s29, s17
	s_delay_alu instid0(SALU_CYCLE_1)
	v_dual_mov_b32 v0, s25 :: v_dual_mov_b32 v1, s31
	v_mov_b32_e32 v2, s24
	s_add_co_i32 s31, s29, 1
	s_add_co_i32 s33, s24, 1
	;; [unrolled: 1-line block ×3, first 2 shown]
	s_mov_b32 s34, 0
	ds_store_2addr_b32 v0, v2, v1 offset1:32
.LBB59_27:                              ;   in Loop: Header=BB59_24 Depth=2
	s_and_not1_b32 vcc_lo, exec_lo, s34
	s_cbranch_vccnz .LBB59_29
; %bb.28:                               ;   in Loop: Header=BB59_24 Depth=2
	s_add_co_i32 s31, s29, 1
	s_mov_b32 s25, s23
	s_mov_b32 s33, s24
.LBB59_29:                              ;   in Loop: Header=BB59_24 Depth=2
	s_mov_b32 s34, 0
.LBB59_30:                              ;   in Loop: Header=BB59_24 Depth=2
	s_delay_alu instid0(SALU_CYCLE_1)
	s_and_not1_b32 vcc_lo, exec_lo, s34
	s_cbranch_vccnz .LBB59_32
; %bb.31:                               ;   in Loop: Header=BB59_24 Depth=2
	s_add_co_i32 s33, s24, 1
	s_mov_b32 s31, s29
	s_mov_b32 s25, s23
.LBB59_32:                              ;   in Loop: Header=BB59_24 Depth=2
	s_cmp_le_i32 s33, s28
	s_cselect_b32 s23, -1, 0
	s_cmp_le_i32 s30, s22
	s_cselect_b32 s24, -1, 0
	s_delay_alu instid0(SALU_CYCLE_1) | instskip(NEXT) | instid1(SALU_CYCLE_1)
	s_and_b32 s23, s23, s24
	s_and_b32 vcc_lo, exec_lo, s23
	s_cbranch_vccz .LBB59_34
; %bb.33:                               ;   in Loop: Header=BB59_24 Depth=2
	s_mov_b32 s23, s25
	s_mov_b32 s24, s33
	;; [unrolled: 1-line block ×3, first 2 shown]
	s_branch .LBB59_24
.LBB59_34:                              ;   in Loop: Header=BB59_21 Depth=1
	s_lshl_b64 s[22:23], s[20:21], 4
	s_add_nc_u64 s[0:1], s[6:7], s[0:1]
	s_add_nc_u64 s[22:23], s[18:19], s[22:23]
	s_wait_dscnt 0x0
.LBB59_35:                              ;   Parent Loop BB59_21 Depth=1
                                        ; =>  This Inner Loop Header: Depth=2
	global_load_b32 v0, v8, s[0:1] scope:SCOPE_DEV
	s_wait_loadcnt 0x0
	v_cmp_eq_u32_e32 vcc_lo, 0, v0
	s_cbranch_vccnz .LBB59_35
; %bb.36:                               ;   in Loop: Header=BB59_21 Depth=1
	v_mov_b32_e32 v0, s28
	global_inv scope:SCOPE_DEV
	s_cmp_lt_i32 s25, 2
	global_load_b128 v[0:3], v0, s[18:19] scale_offset
	s_wait_loadcnt 0x0
	ds_store_2addr_b64 v11, v[0:1], v[2:3] offset1:1
	s_wait_dscnt 0x0
	s_cbranch_scc1 .LBB59_41
; %bb.37:                               ;   in Loop: Header=BB59_21 Depth=1
	v_mov_b64_e32 v[2:3], 0
	s_wait_xcnt 0x0
	v_mov_b64_e32 v[0:1], 0
	s_add_co_i32 s1, s25, -2
	s_add_co_i32 s0, s25, -1
	s_cmp_lt_u32 s1, 3
	s_cbranch_scc1 .LBB59_42
; %bb.38:                               ;   in Loop: Header=BB59_21 Depth=1
	s_and_b32 s1, s0, -4
	s_mov_b32 s21, 0
	s_mov_b32 s24, 0
.LBB59_39:                              ;   Parent Loop BB59_21 Depth=1
                                        ; =>  This Inner Loop Header: Depth=2
	v_mov_b32_e32 v13, s21
	s_add_co_i32 s24, s24, 4
	s_add_co_i32 s21, s21, 16
	s_cmp_eq_u32 s1, s24
	ds_load_b128 v[4:7], v13 offset:128
	ds_load_b128 v[14:17], v13
	s_wait_dscnt 0x1
	global_load_b128 v[18:21], v4, s[18:19] scale_offset
	s_wait_dscnt 0x0
	s_clause 0x6
	global_load_b128 v[22:25], v14, s[18:19] scale_offset
	global_load_b128 v[26:29], v15, s[18:19] scale_offset
	;; [unrolled: 1-line block ×7, first 2 shown]
	s_wait_loadcnt 0x6
	v_fmac_f64_e32 v[0:1], v[22:23], v[18:19]
	v_fmac_f64_e32 v[2:3], v[24:25], v[18:19]
	s_delay_alu instid0(VALU_DEP_2) | instskip(NEXT) | instid1(VALU_DEP_2)
	v_fmac_f64_e32 v[0:1], v[24:25], v[20:21]
	v_fma_f64 v[2:3], v[22:23], -v[20:21], v[2:3]
	s_wait_loadcnt 0x4
	s_delay_alu instid0(VALU_DEP_2) | instskip(NEXT) | instid1(VALU_DEP_2)
	v_fmac_f64_e32 v[0:1], v[26:27], v[30:31]
	v_fmac_f64_e32 v[2:3], v[28:29], v[30:31]
	s_delay_alu instid0(VALU_DEP_2) | instskip(NEXT) | instid1(VALU_DEP_2)
	v_fmac_f64_e32 v[0:1], v[28:29], v[32:33]
	v_fma_f64 v[2:3], v[26:27], -v[32:33], v[2:3]
	s_wait_loadcnt 0x2
	s_delay_alu instid0(VALU_DEP_2) | instskip(NEXT) | instid1(VALU_DEP_2)
	;; [unrolled: 7-line block ×3, first 2 shown]
	v_fmac_f64_e32 v[0:1], v[42:43], v[46:47]
	v_fmac_f64_e32 v[2:3], v[44:45], v[46:47]
	s_delay_alu instid0(VALU_DEP_2) | instskip(NEXT) | instid1(VALU_DEP_2)
	v_fmac_f64_e32 v[0:1], v[44:45], v[48:49]
	v_fma_f64 v[2:3], v[42:43], -v[48:49], v[2:3]
	s_cbranch_scc0 .LBB59_39
; %bb.40:                               ;   in Loop: Header=BB59_21 Depth=1
	s_and_b32 s0, s0, 3
	s_delay_alu instid0(SALU_CYCLE_1)
	s_cmp_eq_u32 s0, 0
	s_cbranch_scc0 .LBB59_43
	s_branch .LBB59_45
.LBB59_41:                              ;   in Loop: Header=BB59_21 Depth=1
	v_mov_b64_e32 v[2:3], 0
	s_wait_xcnt 0x0
	v_mov_b64_e32 v[0:1], 0
	s_branch .LBB59_45
.LBB59_42:                              ;   in Loop: Header=BB59_21 Depth=1
	s_mov_b32 s1, 0
	s_and_b32 s0, s0, 3
	s_delay_alu instid0(SALU_CYCLE_1)
	s_cmp_eq_u32 s0, 0
	s_cbranch_scc1 .LBB59_45
.LBB59_43:                              ;   in Loop: Header=BB59_21 Depth=1
	s_lshl_b32 s1, s1, 2
.LBB59_44:                              ;   Parent Loop BB59_21 Depth=1
                                        ; =>  This Inner Loop Header: Depth=2
	s_delay_alu instid0(SALU_CYCLE_1)
	v_mov_b32_e32 v4, s1
	s_add_co_i32 s0, s0, -1
	s_add_co_i32 s1, s1, 4
	s_cmp_lg_u32 s0, 0
	ds_load_2addr_b32 v[18:19], v4 offset1:32
	s_wait_dscnt 0x0
	s_clause 0x1
	global_load_b128 v[4:7], v18, s[18:19] scale_offset
	global_load_b128 v[14:17], v19, s[18:19] scale_offset
	s_wait_loadcnt 0x0
	v_fmac_f64_e32 v[0:1], v[4:5], v[14:15]
	v_fmac_f64_e32 v[2:3], v[6:7], v[14:15]
	s_delay_alu instid0(VALU_DEP_2) | instskip(NEXT) | instid1(VALU_DEP_2)
	v_fmac_f64_e32 v[0:1], v[6:7], v[16:17]
	v_fma_f64 v[2:3], v[4:5], -v[16:17], v[2:3]
	s_cbranch_scc1 .LBB59_44
.LBB59_45:                              ;   in Loop: Header=BB59_21 Depth=1
	ds_store_b128 v10, v[0:3]
	s_wait_dscnt 0x0
	ds_load_b128 v[4:7], v8 offset:384
	ds_load_b128 v[0:3], v9
	s_wait_dscnt 0x1
	v_cmp_neq_f64_e32 vcc_lo, 0, v[4:5]
	v_cmp_neq_f64_e64 s0, 0, v[6:7]
	s_or_b32 s0, vcc_lo, s0
	s_delay_alu instid0(SALU_CYCLE_1)
	s_and_not1_b32 vcc_lo, exec_lo, s0
	s_cbranch_vccz .LBB59_18
; %bb.46:                               ;   in Loop: Header=BB59_21 Depth=1
	v_mbcnt_lo_u32_b32 v4, exec_lo, 0
	s_delay_alu instid0(VALU_DEP_1)
	v_cmp_ne_u32_e32 vcc_lo, 0, v4
	s_and_b32 s0, vcc_lo, exec_lo
	s_cbranch_scc1 .LBB59_48
; %bb.47:                               ;   in Loop: Header=BB59_21 Depth=1
	v_mov_b32_e32 v4, s27
	global_atomic_min_i32 v8, v4, s[10:11] scope:SCOPE_DEV
.LBB59_48:                              ;   in Loop: Header=BB59_21 Depth=1
	s_wait_xcnt 0x0
	v_mov_b64_e32 v[4:5], 1.0
	v_mov_b64_e32 v[6:7], 0
	s_branch .LBB59_19
.LBB59_49:
	s_wait_xcnt 0x0
	v_dual_mov_b32 v0, s16 :: v_dual_mov_b32 v6, 0
	s_ashr_i32 s17, s16, 31
	s_mov_b32 vcc_lo, 0
	s_wait_kmcnt 0x0
	global_load_b128 v[0:3], v0, s[18:19] scale_offset
	s_wait_loadcnt 0x0
	ds_store_b128 v6, v[0:3] offset:448
	s_wait_dscnt 0x0
	s_cbranch_vccnz .LBB59_56
; %bb.50:
	ds_load_b128 v[0:3], v6 offset:448
	ds_load_b128 v[8:11], v6 offset:480
	s_wait_dscnt 0x0
	v_add_f64_e64 v[0:1], v[0:1], -v[8:9]
	v_add_f64_e64 v[4:5], v[2:3], -v[10:11]
	s_delay_alu instid0(VALU_DEP_2) | instskip(SKIP_1) | instid1(VALU_DEP_3)
	v_cmp_gt_f64_e32 vcc_lo, 0, v[0:1]
	v_xor_b32_e32 v2, 0x80000000, v1
	v_xor_b32_e32 v3, 0x80000000, v5
	s_delay_alu instid0(VALU_DEP_2) | instskip(SKIP_1) | instid1(VALU_DEP_3)
	v_dual_cndmask_b32 v1, v1, v2 :: v_dual_mov_b32 v2, v4
	v_cmp_gt_f64_e32 vcc_lo, 0, v[4:5]
	v_cndmask_b32_e32 v3, v5, v3, vcc_lo
	s_delay_alu instid0(VALU_DEP_1)
	v_cmp_ngt_f64_e32 vcc_lo, v[0:1], v[2:3]
	s_cbranch_vccz .LBB59_53
; %bb.51:
	v_cmp_eq_f64_e32 vcc_lo, 0, v[4:5]
	s_cbranch_vccnz .LBB59_70
; %bb.52:
	v_div_scale_f64 v[4:5], null, v[2:3], v[2:3], v[0:1]
	v_div_scale_f64 v[12:13], vcc_lo, v[0:1], v[2:3], v[0:1]
	s_delay_alu instid0(VALU_DEP_2) | instskip(SKIP_1) | instid1(TRANS32_DEP_1)
	v_rcp_f64_e32 v[8:9], v[4:5]
	v_nop
	v_fma_f64 v[10:11], -v[4:5], v[8:9], 1.0
	s_delay_alu instid0(VALU_DEP_1) | instskip(NEXT) | instid1(VALU_DEP_1)
	v_fmac_f64_e32 v[8:9], v[8:9], v[10:11]
	v_fma_f64 v[10:11], -v[4:5], v[8:9], 1.0
	s_delay_alu instid0(VALU_DEP_1) | instskip(NEXT) | instid1(VALU_DEP_1)
	v_fmac_f64_e32 v[8:9], v[8:9], v[10:11]
	v_mul_f64_e32 v[10:11], v[12:13], v[8:9]
	s_delay_alu instid0(VALU_DEP_1) | instskip(NEXT) | instid1(VALU_DEP_1)
	v_fma_f64 v[4:5], -v[4:5], v[10:11], v[12:13]
	v_div_fmas_f64 v[4:5], v[4:5], v[8:9], v[10:11]
	s_delay_alu instid0(VALU_DEP_1) | instskip(NEXT) | instid1(VALU_DEP_1)
	v_div_fixup_f64 v[4:5], v[4:5], v[2:3], v[0:1]
	v_fma_f64 v[4:5], v[4:5], v[4:5], 1.0
	s_delay_alu instid0(VALU_DEP_1) | instskip(SKIP_2) | instid1(SALU_CYCLE_1)
	v_cmp_gt_f64_e32 vcc_lo, 0x10000000, v[4:5]
	s_and_b32 s0, vcc_lo, exec_lo
	s_cselect_b32 s0, 0x100, 0
	v_ldexp_f64 v[4:5], v[4:5], s0
	s_cselect_b32 s0, 0xffffff80, 0
	s_delay_alu instid0(VALU_DEP_1) | instskip(SKIP_1) | instid1(TRANS32_DEP_1)
	v_rsq_f64_e32 v[8:9], v[4:5]
	v_cmp_class_f64_e64 vcc_lo, v[4:5], 0x260
	v_mul_f64_e32 v[10:11], v[4:5], v[8:9]
	v_mul_f64_e32 v[8:9], 0.5, v[8:9]
	s_delay_alu instid0(VALU_DEP_1) | instskip(NEXT) | instid1(VALU_DEP_1)
	v_fma_f64 v[12:13], -v[8:9], v[10:11], 0.5
	v_fmac_f64_e32 v[10:11], v[10:11], v[12:13]
	v_fmac_f64_e32 v[8:9], v[8:9], v[12:13]
	s_delay_alu instid0(VALU_DEP_2) | instskip(NEXT) | instid1(VALU_DEP_1)
	v_fma_f64 v[12:13], -v[10:11], v[10:11], v[4:5]
	v_fmac_f64_e32 v[10:11], v[12:13], v[8:9]
	s_delay_alu instid0(VALU_DEP_1) | instskip(NEXT) | instid1(VALU_DEP_1)
	v_fma_f64 v[12:13], -v[10:11], v[10:11], v[4:5]
	v_fmac_f64_e32 v[10:11], v[12:13], v[8:9]
	s_delay_alu instid0(VALU_DEP_1) | instskip(NEXT) | instid1(VALU_DEP_1)
	v_ldexp_f64 v[8:9], v[10:11], s0
	v_dual_cndmask_b32 v5, v9, v5 :: v_dual_cndmask_b32 v4, v8, v4
	s_delay_alu instid0(VALU_DEP_1)
	v_mul_f64_e32 v[4:5], v[2:3], v[4:5]
	s_cbranch_execz .LBB59_54
	s_branch .LBB59_55
.LBB59_53:
                                        ; implicit-def: $vgpr4_vgpr5
.LBB59_54:
	v_div_scale_f64 v[4:5], null, v[0:1], v[0:1], v[2:3]
	v_div_scale_f64 v[12:13], vcc_lo, v[2:3], v[0:1], v[2:3]
	s_delay_alu instid0(VALU_DEP_2) | instskip(SKIP_1) | instid1(TRANS32_DEP_1)
	v_rcp_f64_e32 v[8:9], v[4:5]
	v_nop
	v_fma_f64 v[10:11], -v[4:5], v[8:9], 1.0
	s_delay_alu instid0(VALU_DEP_1) | instskip(NEXT) | instid1(VALU_DEP_1)
	v_fmac_f64_e32 v[8:9], v[8:9], v[10:11]
	v_fma_f64 v[10:11], -v[4:5], v[8:9], 1.0
	s_delay_alu instid0(VALU_DEP_1) | instskip(NEXT) | instid1(VALU_DEP_1)
	v_fmac_f64_e32 v[8:9], v[8:9], v[10:11]
	v_mul_f64_e32 v[10:11], v[12:13], v[8:9]
	s_delay_alu instid0(VALU_DEP_1) | instskip(NEXT) | instid1(VALU_DEP_1)
	v_fma_f64 v[4:5], -v[4:5], v[10:11], v[12:13]
	v_div_fmas_f64 v[4:5], v[4:5], v[8:9], v[10:11]
	s_delay_alu instid0(VALU_DEP_1) | instskip(NEXT) | instid1(VALU_DEP_1)
	v_div_fixup_f64 v[2:3], v[4:5], v[0:1], v[2:3]
	v_fma_f64 v[2:3], v[2:3], v[2:3], 1.0
	s_delay_alu instid0(VALU_DEP_1) | instskip(SKIP_2) | instid1(SALU_CYCLE_1)
	v_cmp_gt_f64_e32 vcc_lo, 0x10000000, v[2:3]
	s_and_b32 s0, vcc_lo, exec_lo
	s_cselect_b32 s0, 0x100, 0
	v_ldexp_f64 v[2:3], v[2:3], s0
	s_cselect_b32 s0, 0xffffff80, 0
	s_delay_alu instid0(VALU_DEP_1) | instskip(SKIP_1) | instid1(TRANS32_DEP_1)
	v_rsq_f64_e32 v[4:5], v[2:3]
	v_cmp_class_f64_e64 vcc_lo, v[2:3], 0x260
	v_mul_f64_e32 v[8:9], v[2:3], v[4:5]
	v_mul_f64_e32 v[4:5], 0.5, v[4:5]
	s_delay_alu instid0(VALU_DEP_1) | instskip(NEXT) | instid1(VALU_DEP_1)
	v_fma_f64 v[10:11], -v[4:5], v[8:9], 0.5
	v_fmac_f64_e32 v[8:9], v[8:9], v[10:11]
	v_fmac_f64_e32 v[4:5], v[4:5], v[10:11]
	s_delay_alu instid0(VALU_DEP_2) | instskip(NEXT) | instid1(VALU_DEP_1)
	v_fma_f64 v[10:11], -v[8:9], v[8:9], v[2:3]
	v_fmac_f64_e32 v[8:9], v[10:11], v[4:5]
	s_delay_alu instid0(VALU_DEP_1) | instskip(NEXT) | instid1(VALU_DEP_1)
	v_fma_f64 v[10:11], -v[8:9], v[8:9], v[2:3]
	v_fmac_f64_e32 v[8:9], v[10:11], v[4:5]
	s_delay_alu instid0(VALU_DEP_1) | instskip(NEXT) | instid1(VALU_DEP_1)
	v_ldexp_f64 v[4:5], v[8:9], s0
	v_dual_cndmask_b32 v3, v5, v3 :: v_dual_cndmask_b32 v2, v4, v2
	s_delay_alu instid0(VALU_DEP_1)
	v_mul_f64_e32 v[4:5], v[0:1], v[2:3]
.LBB59_55:
	s_delay_alu instid0(VALU_DEP_1) | instskip(SKIP_2) | instid1(SALU_CYCLE_1)
	v_cmp_gt_f64_e32 vcc_lo, 0x10000000, v[4:5]
	s_and_b32 s0, vcc_lo, exec_lo
	s_cselect_b32 s0, 0x100, 0
	v_ldexp_f64 v[0:1], v[4:5], s0
	s_cselect_b32 s0, 0xffffff80, 0
	s_delay_alu instid0(VALU_DEP_1) | instskip(SKIP_1) | instid1(TRANS32_DEP_1)
	v_rsq_f64_e32 v[2:3], v[0:1]
	v_cmp_class_f64_e64 vcc_lo, v[0:1], 0x260
	v_mul_f64_e32 v[4:5], v[0:1], v[2:3]
	v_mul_f64_e32 v[2:3], 0.5, v[2:3]
	s_delay_alu instid0(VALU_DEP_1) | instskip(NEXT) | instid1(VALU_DEP_1)
	v_fma_f64 v[8:9], -v[2:3], v[4:5], 0.5
	v_fmac_f64_e32 v[4:5], v[4:5], v[8:9]
	v_fmac_f64_e32 v[2:3], v[2:3], v[8:9]
	s_delay_alu instid0(VALU_DEP_2) | instskip(NEXT) | instid1(VALU_DEP_1)
	v_fma_f64 v[8:9], -v[4:5], v[4:5], v[0:1]
	v_fmac_f64_e32 v[4:5], v[8:9], v[2:3]
	s_delay_alu instid0(VALU_DEP_1) | instskip(NEXT) | instid1(VALU_DEP_1)
	v_fma_f64 v[8:9], -v[4:5], v[4:5], v[0:1]
	v_fmac_f64_e32 v[4:5], v[8:9], v[2:3]
	v_mov_b32_e32 v2, 0
	s_delay_alu instid0(VALU_DEP_1) | instskip(NEXT) | instid1(VALU_DEP_3)
	v_mov_b32_e32 v3, v2
	v_ldexp_f64 v[4:5], v[4:5], s0
	s_delay_alu instid0(VALU_DEP_1)
	v_dual_cndmask_b32 v1, v5, v1 :: v_dual_cndmask_b32 v0, v4, v0
	ds_store_b128 v2, v[0:3] offset:448
.LBB59_56:
	s_wait_dscnt 0x0
	ds_load_b128 v[0:3], v6 offset:448
	s_lshl_b64 s[4:5], s[16:17], 4
	s_cmp_lg_u32 s26, 0
	s_cselect_b32 s1, -1, 0
	s_wait_dscnt 0x0
	v_cmp_neq_f64_e32 vcc_lo, 0, v[0:1]
	v_cmp_neq_f64_e64 s0, 0, v[2:3]
	s_or_b32 s0, vcc_lo, s0
	s_delay_alu instid0(SALU_CYCLE_1) | instskip(NEXT) | instid1(SALU_CYCLE_1)
	s_or_b32 s1, s0, s1
	s_and_b32 vcc_lo, exec_lo, s1
	s_cbranch_vccnz .LBB59_60
; %bb.57:
	v_mbcnt_lo_u32_b32 v0, exec_lo, 0
	s_delay_alu instid0(VALU_DEP_1)
	v_cmp_ne_u32_e32 vcc_lo, 0, v0
	s_and_b32 s0, vcc_lo, exec_lo
	s_cbranch_scc1 .LBB59_59
; %bb.58:
	s_add_co_i32 s0, s8, s9
	s_delay_alu instid0(SALU_CYCLE_1)
	v_dual_mov_b32 v0, 0 :: v_dual_mov_b32 v1, s0
	global_atomic_min_i32 v0, v1, s[10:11] scope:SCOPE_DEV
.LBB59_59:
	s_wait_xcnt 0x0
	v_mov_b64_e32 v[0:1], 1.0
	v_mov_b64_e32 v[2:3], 0
	s_add_nc_u64 s[0:1], s[18:19], s[4:5]
	s_mov_b32 vcc_lo, exec_lo
	s_cbranch_vccz .LBB59_61
	s_branch .LBB59_62
.LBB59_60:
	v_cndmask_b32_e64 v1, 0x3ff00000, v1, s0
	v_dual_cndmask_b32 v0, 0, v0, s0 :: v_dual_cndmask_b32 v3, 0, v3, s0
	v_cndmask_b32_e64 v2, 0, v2, s0
	s_add_nc_u64 s[0:1], s[18:19], s[4:5]
	s_mov_b32 vcc_lo, exec_lo
	s_cbranch_vccnz .LBB59_62
.LBB59_61:
	s_delay_alu instid0(VALU_DEP_1) | instskip(SKIP_2) | instid1(VALU_DEP_3)
	v_mul_f64_e32 v[12:13], v[2:3], v[2:3]
	v_mov_b32_e32 v22, 0x1c0
	v_mov_b32_e32 v23, 0x1e0
	v_fmac_f64_e32 v[12:13], v[0:1], v[0:1]
	s_delay_alu instid0(VALU_DEP_1) | instskip(SKIP_1) | instid1(VALU_DEP_2)
	v_div_scale_f64 v[14:15], null, v[12:13], v[12:13], 1.0
	v_div_scale_f64 v[18:19], vcc_lo, 1.0, v[12:13], 1.0
	v_rcp_f64_e32 v[16:17], v[14:15]
	v_nop
	s_delay_alu instid0(TRANS32_DEP_1) | instskip(NEXT) | instid1(VALU_DEP_1)
	v_fma_f64 v[4:5], -v[14:15], v[16:17], 1.0
	v_fmac_f64_e32 v[16:17], v[16:17], v[4:5]
	s_delay_alu instid0(VALU_DEP_1) | instskip(NEXT) | instid1(VALU_DEP_1)
	v_fma_f64 v[4:5], -v[14:15], v[16:17], 1.0
	v_fmac_f64_e32 v[16:17], v[16:17], v[4:5]
	ds_load_b128 v[4:7], v22
	ds_load_b128 v[8:11], v23
	s_wait_dscnt 0x0
	v_add_f64_e64 v[6:7], v[6:7], -v[10:11]
	v_add_f64_e64 v[4:5], v[4:5], -v[8:9]
	v_mul_f64_e32 v[20:21], v[18:19], v[16:17]
	s_delay_alu instid0(VALU_DEP_3) | instskip(NEXT) | instid1(VALU_DEP_3)
	v_mul_f64_e32 v[8:9], v[2:3], v[6:7]
	v_mul_f64_e64 v[2:3], v[2:3], -v[4:5]
	s_delay_alu instid0(VALU_DEP_3) | instskip(NEXT) | instid1(VALU_DEP_3)
	v_fma_f64 v[10:11], -v[14:15], v[20:21], v[18:19]
	v_fmac_f64_e32 v[8:9], v[4:5], v[0:1]
	s_delay_alu instid0(VALU_DEP_3) | instskip(NEXT) | instid1(VALU_DEP_3)
	v_fmac_f64_e32 v[2:3], v[6:7], v[0:1]
	v_div_fmas_f64 v[10:11], v[10:11], v[16:17], v[20:21]
	s_delay_alu instid0(VALU_DEP_1) | instskip(NEXT) | instid1(VALU_DEP_1)
	v_div_fixup_f64 v[4:5], v[10:11], v[12:13], 1.0
	v_mul_f64_e32 v[0:1], v[4:5], v[8:9]
	s_delay_alu instid0(VALU_DEP_4)
	v_dual_mul_f64 v[2:3], v[4:5], v[2:3] :: v_dual_mov_b32 v4, 0
	ds_store_b128 v22, v[0:3]
	s_wait_storecnt_dscnt 0x0
	ds_load_b128 v[4:7], v4 offset:448
	ds_load_b128 v[8:11], v23
	s_wait_dscnt 0x0
	v_fmac_f64_e32 v[8:9], v[0:1], v[4:5]
	v_fmac_f64_e32 v[10:11], v[2:3], v[4:5]
	s_delay_alu instid0(VALU_DEP_2) | instskip(NEXT) | instid1(VALU_DEP_2)
	v_fmac_f64_e32 v[8:9], v[2:3], v[6:7]
	v_fma_f64 v[10:11], v[0:1], -v[6:7], v[10:11]
	ds_store_b128 v23, v[8:11]
.LBB59_62:
	v_mov_b32_e32 v0, 0x1c0
	s_wait_storecnt_dscnt 0x0
	v_mov_b32_e32 v4, 0
	s_cmp_eq_u32 s26, 0
	ds_load_2addr_b64 v[0:3], v0 offset1:1
	s_cselect_b32 s12, -1, 0
	s_wait_dscnt 0x0
	global_store_b128 v4, v[0:3], s[0:1]
	s_branch .LBB59_64
.LBB59_63:
	s_mov_b32 vcc_lo, exec_lo
	s_cbranch_vccnz .LBB59_67
.LBB59_64:
	s_and_b32 vcc_lo, exec_lo, s12
	s_cbranch_vccz .LBB59_66
.LBB59_65:
	s_wait_xcnt 0x0
	v_dual_mov_b32 v0, 0 :: v_dual_mov_b32 v1, 1
	s_add_nc_u64 s[0:1], s[6:7], s[2:3]
	global_wb scope:SCOPE_DEV
	s_wait_storecnt 0x0
	global_store_b32 v0, v1, s[0:1] scope:SCOPE_DEV
.LBB59_66:
	s_endpgm
.LBB59_67:
	s_wait_xcnt 0x0
	v_mbcnt_lo_u32_b32 v0, exec_lo, 0
	s_delay_alu instid0(VALU_DEP_1)
	v_cmp_ne_u32_e32 vcc_lo, 0, v0
	s_and_b32 s0, vcc_lo, exec_lo
	s_cbranch_scc0 .LBB59_69
; %bb.68:
	s_cbranch_execnz .LBB59_65
	s_branch .LBB59_66
.LBB59_69:
	s_add_co_i32 s0, s8, s9
	s_delay_alu instid0(SALU_CYCLE_1)
	v_dual_mov_b32 v0, 0 :: v_dual_mov_b32 v1, s0
	global_atomic_min_i32 v0, v1, s[10:11] scope:SCOPE_DEV
	s_cbranch_execnz .LBB59_65
	s_branch .LBB59_66
.LBB59_70:
	v_mov_b64_e32 v[4:5], 0
	s_cbranch_execz .LBB59_54
	s_branch .LBB59_55
	.section	.rodata,"a",@progbits
	.p2align	6, 0x0
	.amdhsa_kernel _ZN9rocsparseL26bsric0_2_8_unrolled_kernelILi1ELi32ELi1E21rocsparse_complex_numIdEEEv20rocsparse_direction_iiPKiS5_PT2_S5_PiS5_S8_21rocsparse_index_base_
		.amdhsa_group_segment_fixed_size 512
		.amdhsa_private_segment_fixed_size 0
		.amdhsa_kernarg_size 76
		.amdhsa_user_sgpr_count 2
		.amdhsa_user_sgpr_dispatch_ptr 0
		.amdhsa_user_sgpr_queue_ptr 0
		.amdhsa_user_sgpr_kernarg_segment_ptr 1
		.amdhsa_user_sgpr_dispatch_id 0
		.amdhsa_user_sgpr_kernarg_preload_length 0
		.amdhsa_user_sgpr_kernarg_preload_offset 0
		.amdhsa_user_sgpr_private_segment_size 0
		.amdhsa_wavefront_size32 1
		.amdhsa_uses_dynamic_stack 0
		.amdhsa_enable_private_segment 0
		.amdhsa_system_sgpr_workgroup_id_x 1
		.amdhsa_system_sgpr_workgroup_id_y 0
		.amdhsa_system_sgpr_workgroup_id_z 0
		.amdhsa_system_sgpr_workgroup_info 0
		.amdhsa_system_vgpr_workitem_id 0
		.amdhsa_next_free_vgpr 50
		.amdhsa_next_free_sgpr 54
		.amdhsa_named_barrier_count 0
		.amdhsa_reserve_vcc 1
		.amdhsa_float_round_mode_32 0
		.amdhsa_float_round_mode_16_64 0
		.amdhsa_float_denorm_mode_32 3
		.amdhsa_float_denorm_mode_16_64 3
		.amdhsa_fp16_overflow 0
		.amdhsa_memory_ordered 1
		.amdhsa_forward_progress 1
		.amdhsa_inst_pref_size 31
		.amdhsa_round_robin_scheduling 0
		.amdhsa_exception_fp_ieee_invalid_op 0
		.amdhsa_exception_fp_denorm_src 0
		.amdhsa_exception_fp_ieee_div_zero 0
		.amdhsa_exception_fp_ieee_overflow 0
		.amdhsa_exception_fp_ieee_underflow 0
		.amdhsa_exception_fp_ieee_inexact 0
		.amdhsa_exception_int_div_zero 0
	.end_amdhsa_kernel
	.section	.text._ZN9rocsparseL26bsric0_2_8_unrolled_kernelILi1ELi32ELi1E21rocsparse_complex_numIdEEEv20rocsparse_direction_iiPKiS5_PT2_S5_PiS5_S8_21rocsparse_index_base_,"axG",@progbits,_ZN9rocsparseL26bsric0_2_8_unrolled_kernelILi1ELi32ELi1E21rocsparse_complex_numIdEEEv20rocsparse_direction_iiPKiS5_PT2_S5_PiS5_S8_21rocsparse_index_base_,comdat
.Lfunc_end59:
	.size	_ZN9rocsparseL26bsric0_2_8_unrolled_kernelILi1ELi32ELi1E21rocsparse_complex_numIdEEEv20rocsparse_direction_iiPKiS5_PT2_S5_PiS5_S8_21rocsparse_index_base_, .Lfunc_end59-_ZN9rocsparseL26bsric0_2_8_unrolled_kernelILi1ELi32ELi1E21rocsparse_complex_numIdEEEv20rocsparse_direction_iiPKiS5_PT2_S5_PiS5_S8_21rocsparse_index_base_
                                        ; -- End function
	.set _ZN9rocsparseL26bsric0_2_8_unrolled_kernelILi1ELi32ELi1E21rocsparse_complex_numIdEEEv20rocsparse_direction_iiPKiS5_PT2_S5_PiS5_S8_21rocsparse_index_base_.num_vgpr, 50
	.set _ZN9rocsparseL26bsric0_2_8_unrolled_kernelILi1ELi32ELi1E21rocsparse_complex_numIdEEEv20rocsparse_direction_iiPKiS5_PT2_S5_PiS5_S8_21rocsparse_index_base_.num_agpr, 0
	.set _ZN9rocsparseL26bsric0_2_8_unrolled_kernelILi1ELi32ELi1E21rocsparse_complex_numIdEEEv20rocsparse_direction_iiPKiS5_PT2_S5_PiS5_S8_21rocsparse_index_base_.numbered_sgpr, 54
	.set _ZN9rocsparseL26bsric0_2_8_unrolled_kernelILi1ELi32ELi1E21rocsparse_complex_numIdEEEv20rocsparse_direction_iiPKiS5_PT2_S5_PiS5_S8_21rocsparse_index_base_.num_named_barrier, 0
	.set _ZN9rocsparseL26bsric0_2_8_unrolled_kernelILi1ELi32ELi1E21rocsparse_complex_numIdEEEv20rocsparse_direction_iiPKiS5_PT2_S5_PiS5_S8_21rocsparse_index_base_.private_seg_size, 0
	.set _ZN9rocsparseL26bsric0_2_8_unrolled_kernelILi1ELi32ELi1E21rocsparse_complex_numIdEEEv20rocsparse_direction_iiPKiS5_PT2_S5_PiS5_S8_21rocsparse_index_base_.uses_vcc, 1
	.set _ZN9rocsparseL26bsric0_2_8_unrolled_kernelILi1ELi32ELi1E21rocsparse_complex_numIdEEEv20rocsparse_direction_iiPKiS5_PT2_S5_PiS5_S8_21rocsparse_index_base_.uses_flat_scratch, 0
	.set _ZN9rocsparseL26bsric0_2_8_unrolled_kernelILi1ELi32ELi1E21rocsparse_complex_numIdEEEv20rocsparse_direction_iiPKiS5_PT2_S5_PiS5_S8_21rocsparse_index_base_.has_dyn_sized_stack, 0
	.set _ZN9rocsparseL26bsric0_2_8_unrolled_kernelILi1ELi32ELi1E21rocsparse_complex_numIdEEEv20rocsparse_direction_iiPKiS5_PT2_S5_PiS5_S8_21rocsparse_index_base_.has_recursion, 0
	.set _ZN9rocsparseL26bsric0_2_8_unrolled_kernelILi1ELi32ELi1E21rocsparse_complex_numIdEEEv20rocsparse_direction_iiPKiS5_PT2_S5_PiS5_S8_21rocsparse_index_base_.has_indirect_call, 0
	.section	.AMDGPU.csdata,"",@progbits
; Kernel info:
; codeLenInByte = 3940
; TotalNumSgprs: 56
; NumVgprs: 50
; ScratchSize: 0
; MemoryBound: 0
; FloatMode: 240
; IeeeMode: 1
; LDSByteSize: 512 bytes/workgroup (compile time only)
; SGPRBlocks: 0
; VGPRBlocks: 3
; NumSGPRsForWavesPerEU: 56
; NumVGPRsForWavesPerEU: 50
; NamedBarCnt: 0
; Occupancy: 16
; WaveLimiterHint : 1
; COMPUTE_PGM_RSRC2:SCRATCH_EN: 0
; COMPUTE_PGM_RSRC2:USER_SGPR: 2
; COMPUTE_PGM_RSRC2:TRAP_HANDLER: 0
; COMPUTE_PGM_RSRC2:TGID_X_EN: 1
; COMPUTE_PGM_RSRC2:TGID_Y_EN: 0
; COMPUTE_PGM_RSRC2:TGID_Z_EN: 0
; COMPUTE_PGM_RSRC2:TIDIG_COMP_CNT: 0
	.section	.text._ZN9rocsparseL26bsric0_2_8_unrolled_kernelILi4ELi32ELi2E21rocsparse_complex_numIdEEEv20rocsparse_direction_iiPKiS5_PT2_S5_PiS5_S8_21rocsparse_index_base_,"axG",@progbits,_ZN9rocsparseL26bsric0_2_8_unrolled_kernelILi4ELi32ELi2E21rocsparse_complex_numIdEEEv20rocsparse_direction_iiPKiS5_PT2_S5_PiS5_S8_21rocsparse_index_base_,comdat
	.globl	_ZN9rocsparseL26bsric0_2_8_unrolled_kernelILi4ELi32ELi2E21rocsparse_complex_numIdEEEv20rocsparse_direction_iiPKiS5_PT2_S5_PiS5_S8_21rocsparse_index_base_ ; -- Begin function _ZN9rocsparseL26bsric0_2_8_unrolled_kernelILi4ELi32ELi2E21rocsparse_complex_numIdEEEv20rocsparse_direction_iiPKiS5_PT2_S5_PiS5_S8_21rocsparse_index_base_
	.p2align	8
	.type	_ZN9rocsparseL26bsric0_2_8_unrolled_kernelILi4ELi32ELi2E21rocsparse_complex_numIdEEEv20rocsparse_direction_iiPKiS5_PT2_S5_PiS5_S8_21rocsparse_index_base_,@function
_ZN9rocsparseL26bsric0_2_8_unrolled_kernelILi4ELi32ELi2E21rocsparse_complex_numIdEEEv20rocsparse_direction_iiPKiS5_PT2_S5_PiS5_S8_21rocsparse_index_base_: ; @_ZN9rocsparseL26bsric0_2_8_unrolled_kernelILi4ELi32ELi2E21rocsparse_complex_numIdEEEv20rocsparse_direction_iiPKiS5_PT2_S5_PiS5_S8_21rocsparse_index_base_
; %bb.0:
	s_load_b256 s[4:11], s[0:1], 0x28
	s_bfe_u32 s2, ttmp6, 0x4000c
	s_and_b32 s3, ttmp6, 15
	s_add_co_i32 s2, s2, 1
	s_getreg_b32 s12, hwreg(HW_REG_IB_STS2, 6, 4)
	s_mul_i32 s2, ttmp9, s2
	v_and_b32_e32 v12, 0x3ff, v0
	s_add_co_i32 s3, s3, s2
	s_cmp_eq_u32 s12, 0
	v_bfe_u32 v13, v0, 10, 10
	s_cselect_b32 s2, ttmp9, s3
	s_wait_kmcnt 0x0
	s_load_b32 s16, s[8:9], s2 offset:0x0 scale_offset
	s_wait_kmcnt 0x0
	s_ashr_i32 s17, s16, 31
	s_delay_alu instid0(SALU_CYCLE_1) | instskip(NEXT) | instid1(SALU_CYCLE_1)
	s_lshl_b64 s[8:9], s[16:17], 2
	s_add_nc_u64 s[2:3], s[4:5], s[8:9]
	s_load_b32 s26, s[2:3], 0x0
	s_load_b32 s17, s[0:1], 0x48
	s_wait_kmcnt 0x0
	s_cmp_lg_u32 s26, -1
	s_cbranch_scc0 .LBB60_15
; %bb.1:
	s_load_b128 s[12:15], s[0:1], 0x10
	s_wait_kmcnt 0x0
	s_add_nc_u64 s[2:3], s[12:13], s[8:9]
	s_load_b32 s3, s[2:3], 0x0
	s_wait_xcnt 0x0
	s_mov_b32 s2, exec_lo
	s_wait_kmcnt 0x0
	s_sub_co_i32 s27, s3, s17
	v_lshlrev_b32_e32 v20, 1, v13
	s_delay_alu instid0(VALU_DEP_1) | instskip(NEXT) | instid1(VALU_DEP_1)
	v_add_nc_u32_e32 v19, v20, v12
	v_add_nc_u32_e32 v0, s27, v19
	s_delay_alu instid0(VALU_DEP_1)
	v_cmpx_ge_i32_e64 s26, v0
	s_cbranch_execz .LBB60_13
; %bb.2:
	v_add_nc_u32_e32 v1, s3, v19
	s_add_co_i32 s18, s26, 1
	v_not_b32_e32 v2, v12
	s_mov_b32 s19, -1
	s_delay_alu instid0(VALU_DEP_2) | instskip(NEXT) | instid1(VALU_DEP_1)
	v_subrev_nc_u32_e32 v1, s17, v1
	v_add_max_i32_e64 v1, v1, 4, s18
	s_mov_b32 s18, exec_lo
	s_delay_alu instid0(VALU_DEP_1) | instskip(SKIP_1) | instid1(VALU_DEP_1)
	v_add3_u32 v1, s17, v1, v2
	v_add_nc_u32_e32 v2, s3, v20
	v_sub_nc_u32_e32 v1, v1, v2
	s_delay_alu instid0(VALU_DEP_1)
	v_cmpx_lt_u32_e32 3, v1
	s_cbranch_execz .LBB60_10
; %bb.3:
	v_dual_lshrrev_b32 v4, 2, v1 :: v_dual_add_nc_u32 v1, 4, v0
	s_delay_alu instid0(VALU_DEP_1) | instskip(NEXT) | instid1(VALU_DEP_1)
	v_add_nc_u32_e32 v2, -1, v4
	v_lshrrev_b32_e32 v3, 1, v2
	s_delay_alu instid0(VALU_DEP_1)
	v_add_nc_u32_e32 v5, 1, v3
	v_cmp_lt_u32_e32 vcc_lo, 13, v2
	v_mov_b64_e32 v[2:3], v[0:1]
	s_and_saveexec_b32 s19, vcc_lo
	s_cbranch_execz .LBB60_7
; %bb.4:
	v_mov_b64_e32 v[2:3], v[0:1]
	v_and_b32_e32 v6, -8, v5
	s_mov_b32 s20, 0
.LBB60_5:                               ; =>This Inner Loop Header: Depth=1
	s_clause 0x1
	global_load_b32 v1, v2, s[14:15] scale_offset
	global_load_b32 v7, v3, s[14:15] scale_offset
	v_dual_add_nc_u32 v16, 32, v3 :: v_dual_add_nc_u32 v17, 32, v2
	v_dual_add_nc_u32 v14, 24, v3 :: v_dual_add_nc_u32 v15, 24, v2
	;; [unrolled: 1-line block ×7, first 2 shown]
	s_clause 0xd
	global_load_b32 v26, v16, s[14:15] scale_offset
	global_load_b32 v27, v14, s[14:15] scale_offset
	;; [unrolled: 1-line block ×14, first 2 shown]
	v_subrev_nc_u32_e32 v40, s27, v2
	v_subrev_nc_u32_e32 v41, s27, v3
	s_wait_xcnt 0xe
	v_dual_add_nc_u32 v3, 64, v3 :: v_dual_add_nc_u32 v6, -8, v6
	s_wait_xcnt 0x9
	v_subrev_nc_u32_e32 v9, s27, v9
	v_dual_lshlrev_b32 v40, 2, v40 :: v_dual_lshlrev_b32 v41, 2, v41
	v_subrev_nc_u32_e32 v8, s27, v8
	s_wait_xcnt 0x8
	v_subrev_nc_u32_e32 v11, s27, v11
	v_subrev_nc_u32_e32 v10, s27, v10
	v_cmp_eq_u32_e32 vcc_lo, 0, v6
	s_wait_xcnt 0x7
	v_subrev_nc_u32_e32 v15, s27, v15
	v_subrev_nc_u32_e32 v14, s27, v14
	;; [unrolled: 1-line block ×3, first 2 shown]
	s_wait_xcnt 0x6
	v_subrev_nc_u32_e32 v17, s27, v17
	s_wait_xcnt 0x3
	v_subrev_nc_u32_e32 v18, s27, v18
	;; [unrolled: 2-line block ×3, first 2 shown]
	v_subrev_nc_u32_e32 v22, s27, v22
	s_wait_xcnt 0x1
	v_subrev_nc_u32_e32 v23, s27, v23
	v_subrev_nc_u32_e32 v24, s27, v24
	s_wait_xcnt 0x0
	v_subrev_nc_u32_e32 v25, s27, v25
	v_dual_add_nc_u32 v2, 64, v2 :: v_dual_lshlrev_b32 v9, 2, v9
	v_dual_lshlrev_b32 v8, 2, v8 :: v_dual_lshlrev_b32 v11, 2, v11
	v_dual_lshlrev_b32 v10, 2, v10 :: v_dual_lshlrev_b32 v15, 2, v15
	s_or_b32 s20, vcc_lo, s20
	v_dual_lshlrev_b32 v14, 2, v14 :: v_dual_lshlrev_b32 v17, 2, v17
	v_dual_lshlrev_b32 v16, 2, v16 :: v_dual_lshlrev_b32 v21, 2, v21
	;; [unrolled: 1-line block ×4, first 2 shown]
	v_lshlrev_b32_e32 v24, 2, v24
	s_wait_loadcnt 0xf
	v_subrev_nc_u32_e32 v1, s17, v1
	s_wait_loadcnt 0xe
	v_subrev_nc_u32_e32 v7, s17, v7
	ds_store_b32 v40, v1 offset:256
	ds_store_b32 v41, v7 offset:256
	s_wait_loadcnt 0xa
	v_subrev_nc_u32_e32 v1, s17, v29
	s_wait_loadcnt 0x9
	v_subrev_nc_u32_e32 v7, s17, v30
	;; [unrolled: 2-line block ×3, first 2 shown]
	v_subrev_nc_u32_e32 v28, s17, v28
	s_wait_loadcnt 0x7
	v_subrev_nc_u32_e32 v30, s17, v32
	v_subrev_nc_u32_e32 v27, s17, v27
	;; [unrolled: 1-line block ×3, first 2 shown]
	s_wait_loadcnt 0x6
	v_subrev_nc_u32_e32 v31, s17, v33
	s_wait_loadcnt 0x3
	v_subrev_nc_u32_e32 v32, s17, v36
	s_wait_loadcnt 0x2
	v_subrev_nc_u32_e32 v33, s17, v37
	v_subrev_nc_u32_e32 v35, s17, v35
	s_wait_loadcnt 0x1
	v_subrev_nc_u32_e32 v36, s17, v38
	v_subrev_nc_u32_e32 v34, s17, v34
	s_wait_loadcnt 0x0
	v_subrev_nc_u32_e32 v37, s17, v39
	ds_store_b32 v9, v7 offset:256
	ds_store_b32 v8, v1 offset:256
	ds_store_b32 v11, v29 offset:256
	ds_store_b32 v10, v28 offset:256
	ds_store_b32 v15, v30 offset:256
	ds_store_b32 v14, v27 offset:256
	ds_store_b32 v17, v31 offset:256
	ds_store_b32 v16, v26 offset:256
	ds_store_b32 v21, v33 offset:256
	ds_store_b32 v18, v32 offset:256
	ds_store_b32 v23, v36 offset:256
	ds_store_b32 v22, v35 offset:256
	ds_store_b32 v25, v37 offset:256
	ds_store_b32 v24, v34 offset:256
	s_and_not1_b32 exec_lo, exec_lo, s20
	s_cbranch_execnz .LBB60_5
; %bb.6:
	s_or_b32 exec_lo, exec_lo, s20
.LBB60_7:
	s_delay_alu instid0(SALU_CYCLE_1) | instskip(SKIP_3) | instid1(VALU_DEP_1)
	s_or_b32 exec_lo, exec_lo, s19
	v_and_b32_e32 v1, 7, v5
	s_mov_b32 s20, 0
	s_mov_b32 s19, exec_lo
	v_cmpx_ne_u32_e32 0, v1
	s_cbranch_execz .LBB60_9
.LBB60_8:                               ; =>This Inner Loop Header: Depth=1
	s_clause 0x1
	global_load_b32 v5, v2, s[14:15] scale_offset
	global_load_b32 v6, v3, s[14:15] scale_offset
	v_add_nc_u32_e32 v1, -1, v1
	v_subrev_nc_u32_e32 v7, s27, v2
	v_subrev_nc_u32_e32 v8, s27, v3
	s_wait_xcnt 0x0
	v_dual_add_nc_u32 v3, 8, v3 :: v_dual_add_nc_u32 v2, 8, v2
	v_cmp_eq_u32_e32 vcc_lo, 0, v1
	s_delay_alu instid0(VALU_DEP_3)
	v_dual_lshlrev_b32 v7, 2, v7 :: v_dual_lshlrev_b32 v8, 2, v8
	s_or_b32 s20, vcc_lo, s20
	s_wait_loadcnt 0x1
	v_subrev_nc_u32_e32 v5, s17, v5
	s_wait_loadcnt 0x0
	v_subrev_nc_u32_e32 v6, s17, v6
	ds_store_b32 v7, v5 offset:256
	ds_store_b32 v8, v6 offset:256
	s_and_not1_b32 exec_lo, exec_lo, s20
	s_cbranch_execnz .LBB60_8
.LBB60_9:
	s_or_b32 exec_lo, exec_lo, s19
	v_add_nc_u32_e32 v1, 1, v4
	s_delay_alu instid0(VALU_DEP_1) | instskip(NEXT) | instid1(VALU_DEP_1)
	v_and_b32_e32 v2, 0x7ffffffe, v1
	v_cmp_ne_u32_e32 vcc_lo, v1, v2
	v_lshl_add_u32 v0, v2, 2, v0
	s_or_not1_b32 s19, vcc_lo, exec_lo
.LBB60_10:
	s_or_b32 exec_lo, exec_lo, s18
	s_delay_alu instid0(SALU_CYCLE_1)
	s_and_b32 exec_lo, exec_lo, s19
	s_cbranch_execz .LBB60_13
; %bb.11:
	v_add_nc_u32_e32 v1, s17, v0
	s_delay_alu instid0(VALU_DEP_1) | instskip(SKIP_2) | instid1(VALU_DEP_2)
	v_subrev_nc_u32_e32 v2, s3, v1
	v_ashrrev_i32_e32 v1, 31, v0
	s_mov_b32 s3, 0
	v_lshl_add_u32 v4, v2, 2, 0x100
	s_delay_alu instid0(VALU_DEP_2)
	v_lshl_add_u64 v[2:3], v[0:1], 2, s[14:15]
.LBB60_12:                              ; =>This Inner Loop Header: Depth=1
	global_load_b32 v1, v[2:3], off
	v_add_nc_u32_e32 v0, 4, v0
	s_wait_xcnt 0x0
	v_add_nc_u64_e32 v[2:3], 16, v[2:3]
	s_delay_alu instid0(VALU_DEP_2)
	v_cmp_lt_i32_e32 vcc_lo, s26, v0
	s_or_b32 s3, vcc_lo, s3
	s_wait_loadcnt 0x0
	v_subrev_nc_u32_e32 v1, s17, v1
	ds_store_b32 v4, v1
	v_add_nc_u32_e32 v4, 16, v4
	s_and_not1_b32 exec_lo, exec_lo, s3
	s_cbranch_execnz .LBB60_12
.LBB60_13:
	s_or_b32 exec_lo, exec_lo, s2
	s_load_b64 s[2:3], s[0:1], 0x20
	v_mad_u32_u24 v16, v13, 48, 0x2a0
	v_mov_b32_e32 v0, 0
	s_mov_b32 s18, 0
	s_cmp_lt_i32 s27, s26
	s_delay_alu instid0(VALU_DEP_2) | instskip(NEXT) | instid1(VALU_DEP_2)
	v_lshl_add_u32 v14, v12, 4, v16
	v_dual_mov_b32 v1, v0 :: v_dual_mov_b32 v2, v0
	v_mov_b32_e32 v3, v0
	ds_store_b128 v14, v[0:3]
	s_wait_dscnt 0x0
	s_cbranch_scc1 .LBB60_17
; %bb.14:
	v_lshl_add_u32 v21, v12, 1, v13
	v_or_b32_e32 v15, v12, v13
	s_branch .LBB60_18
.LBB60_15:
	s_cbranch_execnz .LBB60_82
.LBB60_16:
	s_endpgm
.LBB60_17:
	s_mov_b32 s18, -1
                                        ; implicit-def: $vgpr21
                                        ; implicit-def: $vgpr15
.LBB60_18:
	s_load_b32 s28, s[0:1], 0x0
	v_mad_u32_u24 v18, v13, 48, 0x240
	v_mad_u32_u24 v17, v12, 48, 0x240
	s_and_not1_b32 vcc_lo, exec_lo, s18
	s_cbranch_vccnz .LBB60_53
; %bb.19:
	v_dual_lshlrev_b32 v22, 1, v12 :: v_dual_lshlrev_b32 v0, 4, v12
	s_wait_kmcnt 0x0
	s_cmp_lg_u32 s28, 0
	v_mul_u32_u24_e32 v1, 48, v13
	v_mad_u32_u24 v23, v13, 48, 0x1e0
	v_dual_add_nc_u32 v21, v22, v13 :: v_dual_bitop2_b32 v15, v12, v13 bitop3:0x54
	s_cselect_b32 s29, -1, 0
	s_cmp_eq_u32 s28, 0
	s_delay_alu instid0(VALU_DEP_2)
	v_dual_add_nc_u32 v24, v18, v0 :: v_dual_add_nc_u32 v26, v23, v0
	s_cselect_b32 vcc_lo, -1, 0
	v_add3_u32 v25, v1, v0, 0x180
	v_cmp_ne_u32_e64 s0, 0, v15
	v_dual_cndmask_b32 v27, v21, v19 :: v_dual_mov_b32 v28, 0
	s_mov_b32 s18, s27
	s_branch .LBB60_23
.LBB60_20:                              ;   in Loop: Header=BB60_23 Depth=1
	s_wait_xcnt 0x0
	s_or_b32 exec_lo, exec_lo, s20
	v_mov_b64_e32 v[8:9], 0
	v_mov_b64_e32 v[6:7], 1.0
.LBB60_21:                              ;   in Loop: Header=BB60_23 Depth=1
	s_or_b32 exec_lo, exec_lo, s1
	s_delay_alu instid0(VALU_DEP_1) | instskip(SKIP_1) | instid1(SALU_CYCLE_1)
	v_mul_f64_e32 v[10:11], v[8:9], v[8:9]
	s_add_co_i32 s18, s18, 1
	s_cmp_ge_i32 s18, s26
	s_cselect_b32 s23, -1, 0
	s_delay_alu instid0(VALU_DEP_1) | instskip(NEXT) | instid1(VALU_DEP_1)
	v_fmac_f64_e32 v[10:11], v[6:7], v[6:7]
	v_div_scale_f64 v[42:43], null, v[10:11], v[10:11], 1.0
	v_div_scale_f64 v[48:49], vcc_lo, 1.0, v[10:11], 1.0
	s_delay_alu instid0(VALU_DEP_2) | instskip(SKIP_1) | instid1(TRANS32_DEP_1)
	v_rcp_f64_e32 v[44:45], v[42:43]
	v_nop
	v_fma_f64 v[30:31], -v[42:43], v[44:45], 1.0
	s_delay_alu instid0(VALU_DEP_1)
	v_fmac_f64_e32 v[44:45], v[44:45], v[30:31]
	ds_load_b128 v[30:33], v18
	ds_load_b128 v[34:37], v28 offset:432
	ds_load_b128 v[38:41], v23 offset:16
	s_wait_dscnt 0x0
	v_fmac_f64_e32 v[40:41], v[36:37], v[30:31]
	v_fmac_f64_e32 v[38:39], v[34:35], v[30:31]
	v_fma_f64 v[46:47], -v[42:43], v[44:45], 1.0
	s_delay_alu instid0(VALU_DEP_3) | instskip(NEXT) | instid1(VALU_DEP_3)
	v_fma_f64 v[30:31], v[34:35], -v[32:33], v[40:41]
	v_fmac_f64_e32 v[38:39], v[36:37], v[32:33]
	s_delay_alu instid0(VALU_DEP_3) | instskip(NEXT) | instid1(VALU_DEP_3)
	v_fmac_f64_e32 v[44:45], v[44:45], v[46:47]
	v_add_f64_e64 v[2:3], v[2:3], -v[30:31]
	s_delay_alu instid0(VALU_DEP_3) | instskip(NEXT) | instid1(VALU_DEP_3)
	v_add_f64_e64 v[0:1], v[0:1], -v[38:39]
	v_mul_f64_e32 v[34:35], v[48:49], v[44:45]
	s_delay_alu instid0(VALU_DEP_3) | instskip(NEXT) | instid1(VALU_DEP_3)
	v_mul_f64_e32 v[32:33], v[8:9], v[2:3]
	v_mul_f64_e64 v[8:9], v[8:9], -v[0:1]
	s_delay_alu instid0(VALU_DEP_3) | instskip(NEXT) | instid1(VALU_DEP_3)
	v_fma_f64 v[30:31], -v[42:43], v[34:35], v[48:49]
	v_fmac_f64_e32 v[32:33], v[0:1], v[6:7]
	s_delay_alu instid0(VALU_DEP_3) | instskip(NEXT) | instid1(VALU_DEP_3)
	v_fmac_f64_e32 v[8:9], v[2:3], v[6:7]
	v_div_fmas_f64 v[30:31], v[30:31], v[44:45], v[34:35]
	s_delay_alu instid0(VALU_DEP_1) | instskip(NEXT) | instid1(VALU_DEP_1)
	v_div_fixup_f64 v[10:11], v[30:31], v[10:11], 1.0
	v_mul_f64_e32 v[0:1], v[10:11], v[32:33]
	s_delay_alu instid0(VALU_DEP_4)
	v_mul_f64_e32 v[2:3], v[10:11], v[8:9]
	ds_store_b128 v18, v[0:3] offset:16
	s_wait_storecnt_dscnt 0x0
	ds_load_b128 v[6:9], v17 offset:16
	ds_load_b128 v[30:33], v14
	s_wait_dscnt 0x0
	v_fmac_f64_e32 v[30:31], v[0:1], v[6:7]
	v_fmac_f64_e32 v[32:33], v[2:3], v[6:7]
	s_delay_alu instid0(VALU_DEP_2) | instskip(NEXT) | instid1(VALU_DEP_2)
	v_fmac_f64_e32 v[30:31], v[2:3], v[8:9]
	v_fma_f64 v[32:33], v[0:1], -v[8:9], v[32:33]
	ds_store_b128 v14, v[30:33]
	s_wait_dscnt 0x0
	ds_load_2addr_b64 v[0:3], v24 offset1:1
	s_wait_dscnt 0x0
	global_store_b128 v[4:5], v[0:3], off
	global_wb scope:SCOPE_DEV
	s_wait_storecnt 0x0
	global_inv scope:SCOPE_DEV
.LBB60_22:                              ;   in Loop: Header=BB60_23 Depth=1
	s_and_b32 vcc_lo, exec_lo, s23
	s_cbranch_vccnz .LBB60_53
.LBB60_23:                              ; =>This Loop Header: Depth=1
                                        ;     Child Loop BB60_26 Depth 2
                                        ;     Child Loop BB60_37 Depth 2
                                        ;     Child Loop BB60_40 Depth 2
	s_ashr_i32 s19, s18, 31
	s_delay_alu instid0(SALU_CYCLE_1) | instskip(NEXT) | instid1(SALU_CYCLE_1)
	s_lshl_b64 s[20:21], s[18:19], 2
	s_add_nc_u64 s[20:21], s[14:15], s[20:21]
	s_load_b32 s19, s[20:21], 0x0
	s_wait_kmcnt 0x0
	s_sub_co_i32 s22, s19, s17
	s_delay_alu instid0(SALU_CYCLE_1)
	s_ashr_i32 s23, s22, 31
	s_wait_xcnt 0x0
	s_lshl_b64 s[20:21], s[22:23], 2
	s_mov_b32 s23, -1
	s_add_nc_u64 s[24:25], s[4:5], s[20:21]
	s_load_b32 s1, s[24:25], 0x0
	s_wait_kmcnt 0x0
	s_cmp_eq_u32 s1, -1
	s_cbranch_scc1 .LBB60_22
; %bb.24:                               ;   in Loop: Header=BB60_23 Depth=1
	v_lshl_add_u32 v0, s18, 2, v27
	s_wait_xcnt 0x0
	s_add_nc_u64 s[24:25], s[12:13], s[20:21]
	ds_load_b32 v1, v28 offset:256
	s_load_b32 s23, s[24:25], 0x0
	global_load_b128 v[2:5], v0, s[2:3] scale_offset
	s_wait_dscnt 0x0
	v_cmp_ge_i32_e32 vcc_lo, s22, v1
	s_wait_kmcnt 0x0
	s_sub_co_i32 s24, s23, s17
	s_delay_alu instid0(SALU_CYCLE_1) | instskip(SKIP_1) | instid1(SALU_CYCLE_1)
	s_cmp_le_i32 s24, s1
	s_cselect_b32 s23, -1, 0
	s_and_b32 s23, s23, vcc_lo
	s_delay_alu instid0(SALU_CYCLE_1)
	s_and_not1_b32 vcc_lo, exec_lo, s23
	s_mov_b32 s23, 0
	s_wait_loadcnt 0x0
	ds_store_2addr_b64 v24, v[2:3], v[4:5] offset1:1
	s_cbranch_vccnz .LBB60_36
; %bb.25:                               ;   in Loop: Header=BB60_23 Depth=1
	s_mov_b32 s30, 0
	s_mov_b32 s31, 0
.LBB60_26:                              ;   Parent Loop BB60_23 Depth=1
                                        ; =>  This Inner Loop Header: Depth=2
	s_ashr_i32 s25, s24, 31
	s_lshl_b32 s23, s31, 2
	s_lshl_b64 s[34:35], s[24:25], 2
	v_mov_b32_e32 v1, s23
	s_add_nc_u64 s[34:35], s[14:15], s[34:35]
                                        ; implicit-def: $sgpr33
	s_load_b32 s23, s[34:35], 0x0
	s_wait_xcnt 0x0
	s_mov_b32 s35, -1
	ds_load_b32 v1, v1 offset:256
                                        ; implicit-def: $sgpr34
	s_wait_kmcnt 0x0
	s_sub_co_i32 s36, s23, s17
                                        ; implicit-def: $sgpr23
	s_wait_dscnt 0x0
	v_readfirstlane_b32 s25, v1
	v_cmp_ge_i32_e32 vcc_lo, s36, v1
	s_cbranch_vccz .LBB60_32
; %bb.27:                               ;   in Loop: Header=BB60_26 Depth=2
	s_cmp_le_i32 s36, s25
                                        ; implicit-def: $sgpr23
                                        ; implicit-def: $sgpr34
                                        ; implicit-def: $sgpr33
	s_cbranch_scc0 .LBB60_29
; %bb.28:                               ;   in Loop: Header=BB60_26 Depth=2
	s_add_co_i32 s23, s31, s27
	s_lshl_b32 s33, s30, 2
	s_lshl_b32 s23, s23, 2
	s_delay_alu instid0(SALU_CYCLE_1)
	v_dual_mov_b32 v1, s33 :: v_dual_mov_b32 v2, s23
	s_lshl_b32 s33, s24, 2
	s_add_co_i32 s34, s24, 1
	v_mov_b32_e32 v3, s33
	s_add_co_i32 s33, s31, 1
	s_add_co_i32 s23, s30, 1
	s_mov_b32 s35, 0
	ds_store_2addr_b32 v1, v3, v2 offset1:32
.LBB60_29:                              ;   in Loop: Header=BB60_26 Depth=2
	s_and_not1_b32 vcc_lo, exec_lo, s35
	s_cbranch_vccnz .LBB60_31
; %bb.30:                               ;   in Loop: Header=BB60_26 Depth=2
	s_add_co_i32 s33, s31, 1
	s_mov_b32 s23, s30
	s_mov_b32 s34, s24
.LBB60_31:                              ;   in Loop: Header=BB60_26 Depth=2
	s_mov_b32 s35, 0
.LBB60_32:                              ;   in Loop: Header=BB60_26 Depth=2
	s_delay_alu instid0(SALU_CYCLE_1)
	s_and_not1_b32 vcc_lo, exec_lo, s35
	s_cbranch_vccnz .LBB60_34
; %bb.33:                               ;   in Loop: Header=BB60_26 Depth=2
	s_add_co_i32 s34, s24, 1
	s_mov_b32 s33, s31
	s_mov_b32 s23, s30
.LBB60_34:                              ;   in Loop: Header=BB60_26 Depth=2
	s_cmp_le_i32 s34, s1
	s_cselect_b32 s24, -1, 0
	s_cmp_le_i32 s25, s22
	s_cselect_b32 s25, -1, 0
	s_delay_alu instid0(SALU_CYCLE_1) | instskip(NEXT) | instid1(SALU_CYCLE_1)
	s_and_b32 s24, s24, s25
	s_and_b32 vcc_lo, exec_lo, s24
	s_cbranch_vccz .LBB60_36
; %bb.35:                               ;   in Loop: Header=BB60_26 Depth=2
	s_mov_b32 s30, s23
	s_mov_b32 s24, s34
	;; [unrolled: 1-line block ×3, first 2 shown]
	s_branch .LBB60_26
.LBB60_36:                              ;   in Loop: Header=BB60_23 Depth=1
	v_ashrrev_i32_e32 v1, 31, v0
	s_add_nc_u64 s[20:21], s[6:7], s[20:21]
	s_wait_dscnt 0x0
	s_delay_alu instid0(VALU_DEP_1)
	v_lshl_add_u64 v[4:5], v[0:1], 4, s[2:3]
.LBB60_37:                              ;   Parent Loop BB60_23 Depth=1
                                        ; =>  This Inner Loop Header: Depth=2
	global_load_b32 v0, v28, s[20:21] scope:SCOPE_DEV
	s_wait_loadcnt 0x0
	v_cmp_eq_u32_e32 vcc_lo, 0, v0
	s_cbranch_vccnz .LBB60_37
; %bb.38:                               ;   in Loop: Header=BB60_23 Depth=1
	v_lshl_add_u32 v0, s1, 2, v27
	global_inv scope:SCOPE_DEV
	v_mov_b64_e32 v[2:3], 0
	s_cmp_lt_i32 s23, 2
	global_load_b128 v[6:9], v0, s[2:3] scale_offset
	s_wait_xcnt 0x0
	v_mov_b64_e32 v[0:1], 0
	s_wait_loadcnt 0x0
	ds_store_2addr_b64 v25, v[6:7], v[8:9] offset1:1
	s_wait_dscnt 0x0
	s_cbranch_scc1 .LBB60_46
; %bb.39:                               ;   in Loop: Header=BB60_23 Depth=1
	v_mov_b64_e32 v[8:9], 0
	v_mov_b64_e32 v[6:7], 0
	s_add_co_i32 s1, s23, -1
	s_mov_b32 s20, 0
.LBB60_40:                              ;   Parent Loop BB60_23 Depth=1
                                        ; =>  This Inner Loop Header: Depth=2
	s_delay_alu instid0(SALU_CYCLE_1)
	v_mov_b32_e32 v0, s20
	s_and_b32 vcc_lo, exec_lo, s29
	s_mov_b32 s21, -1
	s_wait_dscnt 0x0
	ds_load_2addr_b32 v[10:11], v0 offset1:32
                                        ; implicit-def: $vgpr2_vgpr3
	s_cbranch_vccz .LBB60_43
; %bb.41:                               ;   in Loop: Header=BB60_40 Depth=2
	s_wait_dscnt 0x0
	v_dual_add_nc_u32 v0, v10, v12 :: v_dual_add_nc_u32 v1, v11, v13
	s_clause 0x1
	global_load_b128 v[30:33], v0, s[2:3] scale_offset
	global_load_b128 v[34:37], v1, s[2:3] scale_offset
	s_wait_xcnt 0x0
	v_dual_add_nc_u32 v0, 2, v0 :: v_dual_add_nc_u32 v1, 2, v1
	s_clause 0x1
	global_load_b128 v[38:41], v0, s[2:3] scale_offset
	global_load_b128 v[42:45], v1, s[2:3] scale_offset
	s_wait_loadcnt 0x2
	s_wait_xcnt 0x0
	v_fma_f64 v[0:1], v[30:31], v[34:35], v[6:7]
	v_fma_f64 v[2:3], v[32:33], v[34:35], v[8:9]
	s_delay_alu instid0(VALU_DEP_2) | instskip(NEXT) | instid1(VALU_DEP_2)
	v_fmac_f64_e32 v[0:1], v[32:33], v[36:37]
	v_fma_f64 v[2:3], v[30:31], -v[36:37], v[2:3]
	s_wait_loadcnt 0x0
	s_delay_alu instid0(VALU_DEP_2) | instskip(NEXT) | instid1(VALU_DEP_2)
	v_fmac_f64_e32 v[0:1], v[38:39], v[42:43]
	v_fmac_f64_e32 v[2:3], v[40:41], v[42:43]
	s_delay_alu instid0(VALU_DEP_2) | instskip(NEXT) | instid1(VALU_DEP_2)
	v_fmac_f64_e32 v[0:1], v[40:41], v[44:45]
	v_fma_f64 v[2:3], v[38:39], -v[44:45], v[2:3]
	s_cbranch_execz .LBB60_44
.LBB60_42:                              ;   in Loop: Header=BB60_40 Depth=2
	s_add_co_i32 s1, s1, -1
	s_add_co_i32 s20, s20, 4
	s_cmp_eq_u32 s1, 0
	s_cbranch_scc0 .LBB60_45
	s_branch .LBB60_46
.LBB60_43:                              ;   in Loop: Header=BB60_40 Depth=2
	s_and_not1_b32 vcc_lo, exec_lo, s21
	s_cbranch_vccnz .LBB60_42
.LBB60_44:                              ;   in Loop: Header=BB60_40 Depth=2
	s_wait_dscnt 0x0
	v_dual_add_nc_u32 v11, v11, v20 :: v_dual_add_nc_u32 v10, v10, v22
	s_clause 0x3
	global_load_b128 v[0:3], v11, s[2:3] scale_offset
	global_load_b128 v[30:33], v10, s[2:3] scale_offset
	global_load_b128 v[34:37], v10, s[2:3] offset:16 scale_offset
	global_load_b128 v[38:41], v11, s[2:3] offset:16 scale_offset
	s_wait_loadcnt 0x2
	v_fmac_f64_e32 v[6:7], v[30:31], v[0:1]
	v_fmac_f64_e32 v[8:9], v[32:33], v[0:1]
	s_delay_alu instid0(VALU_DEP_2) | instskip(NEXT) | instid1(VALU_DEP_2)
	v_fmac_f64_e32 v[6:7], v[32:33], v[2:3]
	v_fma_f64 v[0:1], v[30:31], -v[2:3], v[8:9]
	s_wait_loadcnt 0x0
	s_delay_alu instid0(VALU_DEP_2) | instskip(NEXT) | instid1(VALU_DEP_2)
	v_fmac_f64_e32 v[6:7], v[34:35], v[38:39]
	v_fmac_f64_e32 v[0:1], v[36:37], v[38:39]
	s_delay_alu instid0(VALU_DEP_2) | instskip(NEXT) | instid1(VALU_DEP_2)
	v_fmac_f64_e32 v[6:7], v[36:37], v[40:41]
	v_fma_f64 v[2:3], v[34:35], -v[40:41], v[0:1]
	s_delay_alu instid0(VALU_DEP_2)
	v_mov_b64_e32 v[0:1], v[6:7]
	s_add_co_i32 s1, s1, -1
	s_add_co_i32 s20, s20, 4
	s_cmp_eq_u32 s1, 0
	s_cbranch_scc1 .LBB60_46
.LBB60_45:                              ;   in Loop: Header=BB60_40 Depth=2
	s_delay_alu instid0(VALU_DEP_1) | instskip(NEXT) | instid1(VALU_DEP_2)
	v_mov_b64_e32 v[8:9], v[2:3]
	v_mov_b64_e32 v[6:7], v[0:1]
	s_branch .LBB60_40
.LBB60_46:                              ;   in Loop: Header=BB60_23 Depth=1
	ds_store_b128 v26, v[0:3]
	s_wait_dscnt 0x0
	ds_load_b128 v[6:9], v28 offset:384
	ds_load_b128 v[0:3], v18
	s_wait_dscnt 0x1
	v_cmp_neq_f64_e32 vcc_lo, 0, v[6:7]
	v_cmp_neq_f64_e64 s1, 0, v[8:9]
	s_or_b32 vcc_lo, vcc_lo, s1
	v_cndmask_b32_e32 v7, 0x3ff00000, v7, vcc_lo
	v_dual_cndmask_b32 v6, 0, v6 :: v_dual_cndmask_b32 v9, 0, v9
	v_cndmask_b32_e32 v8, 0, v8, vcc_lo
	s_nor_b32 s20, vcc_lo, s0
	s_delay_alu instid0(SALU_CYCLE_1)
	s_and_saveexec_b32 s1, s20
	s_cbranch_execz .LBB60_50
; %bb.47:                               ;   in Loop: Header=BB60_23 Depth=1
	v_mbcnt_lo_u32_b32 v6, exec_lo, 0
	s_mov_b32 s20, exec_lo
	s_delay_alu instid0(VALU_DEP_1)
	v_cmpx_eq_u32_e32 0, v6
	s_cbranch_execz .LBB60_49
; %bb.48:                               ;   in Loop: Header=BB60_23 Depth=1
	v_mov_b32_e32 v6, s19
	global_atomic_min_i32 v28, v6, s[10:11] scope:SCOPE_DEV
.LBB60_49:                              ;   in Loop: Header=BB60_23 Depth=1
	s_wait_xcnt 0x0
	s_or_b32 exec_lo, exec_lo, s20
	v_mov_b64_e32 v[8:9], 0
	v_mov_b64_e32 v[6:7], 1.0
.LBB60_50:                              ;   in Loop: Header=BB60_23 Depth=1
	s_or_b32 exec_lo, exec_lo, s1
	s_delay_alu instid0(VALU_DEP_1) | instskip(NEXT) | instid1(VALU_DEP_1)
	v_mul_f64_e32 v[10:11], v[8:9], v[8:9]
	v_fmac_f64_e32 v[10:11], v[6:7], v[6:7]
	s_delay_alu instid0(VALU_DEP_1) | instskip(SKIP_1) | instid1(VALU_DEP_2)
	v_div_scale_f64 v[34:35], null, v[10:11], v[10:11], 1.0
	v_div_scale_f64 v[38:39], vcc_lo, 1.0, v[10:11], 1.0
	v_rcp_f64_e32 v[36:37], v[34:35]
	v_nop
	s_delay_alu instid0(TRANS32_DEP_1) | instskip(NEXT) | instid1(VALU_DEP_1)
	v_fma_f64 v[30:31], -v[34:35], v[36:37], 1.0
	v_fmac_f64_e32 v[36:37], v[36:37], v[30:31]
	s_delay_alu instid0(VALU_DEP_1) | instskip(NEXT) | instid1(VALU_DEP_1)
	v_fma_f64 v[30:31], -v[34:35], v[36:37], 1.0
	v_fmac_f64_e32 v[36:37], v[36:37], v[30:31]
	ds_load_b128 v[30:33], v23
	s_wait_dscnt 0x0
	v_add_f64_e64 v[2:3], v[2:3], -v[32:33]
	v_add_f64_e64 v[0:1], v[0:1], -v[30:31]
	v_mul_f64_e32 v[40:41], v[38:39], v[36:37]
	s_delay_alu instid0(VALU_DEP_3) | instskip(NEXT) | instid1(VALU_DEP_3)
	v_mul_f64_e32 v[30:31], v[8:9], v[2:3]
	v_mul_f64_e64 v[8:9], v[8:9], -v[0:1]
	s_delay_alu instid0(VALU_DEP_3) | instskip(NEXT) | instid1(VALU_DEP_3)
	v_fma_f64 v[32:33], -v[34:35], v[40:41], v[38:39]
	v_fmac_f64_e32 v[30:31], v[0:1], v[6:7]
	s_delay_alu instid0(VALU_DEP_3) | instskip(NEXT) | instid1(VALU_DEP_3)
	v_fmac_f64_e32 v[8:9], v[2:3], v[6:7]
	v_div_fmas_f64 v[32:33], v[32:33], v[36:37], v[40:41]
	s_delay_alu instid0(VALU_DEP_1) | instskip(NEXT) | instid1(VALU_DEP_1)
	v_div_fixup_f64 v[10:11], v[32:33], v[10:11], 1.0
	v_mul_f64_e32 v[0:1], v[10:11], v[30:31]
	s_delay_alu instid0(VALU_DEP_4)
	v_mul_f64_e32 v[2:3], v[10:11], v[8:9]
	ds_store_b128 v18, v[0:3]
	s_wait_storecnt_dscnt 0x0
	ds_load_b128 v[6:9], v17
	ds_load_b128 v[30:33], v14
	s_wait_dscnt 0x0
	v_fmac_f64_e32 v[30:31], v[0:1], v[6:7]
	v_fmac_f64_e32 v[32:33], v[2:3], v[6:7]
	s_delay_alu instid0(VALU_DEP_2) | instskip(NEXT) | instid1(VALU_DEP_2)
	v_fmac_f64_e32 v[30:31], v[2:3], v[8:9]
	v_fma_f64 v[32:33], v[0:1], -v[8:9], v[32:33]
	ds_store_b128 v14, v[30:33]
	s_wait_dscnt 0x0
	ds_load_b128 v[6:9], v28 offset:448
	ds_load_b128 v[0:3], v18 offset:16
	s_wait_dscnt 0x1
	v_cmp_neq_f64_e32 vcc_lo, 0, v[6:7]
	v_cmp_neq_f64_e64 s1, 0, v[8:9]
	s_or_b32 vcc_lo, vcc_lo, s1
	v_cndmask_b32_e32 v7, 0x3ff00000, v7, vcc_lo
	v_dual_cndmask_b32 v6, 0, v6 :: v_dual_cndmask_b32 v9, 0, v9
	v_cndmask_b32_e32 v8, 0, v8, vcc_lo
	s_nor_b32 s20, vcc_lo, s0
	s_delay_alu instid0(SALU_CYCLE_1)
	s_and_saveexec_b32 s1, s20
	s_cbranch_execz .LBB60_21
; %bb.51:                               ;   in Loop: Header=BB60_23 Depth=1
	v_mbcnt_lo_u32_b32 v6, exec_lo, 0
	s_mov_b32 s20, exec_lo
	s_delay_alu instid0(VALU_DEP_1)
	v_cmpx_eq_u32_e32 0, v6
	s_cbranch_execz .LBB60_20
; %bb.52:                               ;   in Loop: Header=BB60_23 Depth=1
	v_mov_b32_e32 v6, s19
	global_atomic_min_i32 v28, v6, s[10:11] scope:SCOPE_DEV
	s_branch .LBB60_20
.LBB60_53:
	s_wait_kmcnt 0x0
	s_cmp_eq_u32 s28, 0
	v_lshl_add_u32 v8, v12, 4, v18
	s_cselect_b32 vcc_lo, -1, 0
	s_wait_xcnt 0x0
	v_cmp_ne_u32_e64 s1, 0, v13
	v_cndmask_b32_e32 v0, v21, v19, vcc_lo
	s_mov_b32 s0, exec_lo
	s_delay_alu instid0(VALU_DEP_1)
	v_lshl_add_u32 v0, s26, 2, v0
	global_load_b128 v[2:5], v0, s[2:3] scale_offset
	v_ashrrev_i32_e32 v1, 31, v0
	s_wait_loadcnt 0x0
	ds_store_2addr_b64 v8, v[2:3], v[4:5] offset1:1
	s_wait_dscnt 0x0
	s_wait_xcnt 0x0
	v_cmpx_eq_u32_e32 0, v13
	s_cbranch_execz .LBB60_60
; %bb.54:
	v_mov_b32_e32 v6, 0
	ds_load_b128 v[2:5], v6 offset:672
	ds_load_b128 v[20:23], v6 offset:576
	s_wait_dscnt 0x0
	v_add_f64_e64 v[2:3], v[20:21], -v[2:3]
	v_add_f64_e64 v[6:7], v[22:23], -v[4:5]
	s_delay_alu instid0(VALU_DEP_2) | instskip(SKIP_1) | instid1(VALU_DEP_3)
	v_cmp_gt_f64_e32 vcc_lo, 0, v[2:3]
	v_xor_b32_e32 v4, 0x80000000, v3
	v_xor_b32_e32 v5, 0x80000000, v7
	s_delay_alu instid0(VALU_DEP_2) | instskip(SKIP_1) | instid1(VALU_DEP_3)
	v_dual_cndmask_b32 v3, v3, v4 :: v_dual_mov_b32 v4, v6
	v_cmp_gt_f64_e32 vcc_lo, 0, v[6:7]
	v_cndmask_b32_e32 v5, v7, v5, vcc_lo
	s_delay_alu instid0(VALU_DEP_1)
	v_cmp_ngt_f64_e32 vcc_lo, v[2:3], v[4:5]
	s_cbranch_vccz .LBB60_57
; %bb.55:
	v_cmp_eq_f64_e32 vcc_lo, 0, v[6:7]
	s_cbranch_vccnz .LBB60_86
; %bb.56:
	v_div_scale_f64 v[6:7], null, v[4:5], v[4:5], v[2:3]
	v_div_scale_f64 v[22:23], vcc_lo, v[2:3], v[4:5], v[2:3]
	s_delay_alu instid0(VALU_DEP_2) | instskip(SKIP_1) | instid1(TRANS32_DEP_1)
	v_rcp_f64_e32 v[10:11], v[6:7]
	v_nop
	v_fma_f64 v[20:21], -v[6:7], v[10:11], 1.0
	s_delay_alu instid0(VALU_DEP_1) | instskip(NEXT) | instid1(VALU_DEP_1)
	v_fmac_f64_e32 v[10:11], v[10:11], v[20:21]
	v_fma_f64 v[20:21], -v[6:7], v[10:11], 1.0
	s_delay_alu instid0(VALU_DEP_1) | instskip(NEXT) | instid1(VALU_DEP_1)
	v_fmac_f64_e32 v[10:11], v[10:11], v[20:21]
	v_mul_f64_e32 v[20:21], v[22:23], v[10:11]
	s_delay_alu instid0(VALU_DEP_1) | instskip(NEXT) | instid1(VALU_DEP_1)
	v_fma_f64 v[6:7], -v[6:7], v[20:21], v[22:23]
	v_div_fmas_f64 v[6:7], v[6:7], v[10:11], v[20:21]
	s_delay_alu instid0(VALU_DEP_1) | instskip(NEXT) | instid1(VALU_DEP_1)
	v_div_fixup_f64 v[6:7], v[6:7], v[4:5], v[2:3]
	v_fma_f64 v[6:7], v[6:7], v[6:7], 1.0
	s_delay_alu instid0(VALU_DEP_1) | instskip(SKIP_2) | instid1(SALU_CYCLE_1)
	v_cmp_gt_f64_e32 vcc_lo, 0x10000000, v[6:7]
	s_and_b32 s4, vcc_lo, exec_lo
	s_cselect_b32 s4, 0x100, 0
	v_ldexp_f64 v[6:7], v[6:7], s4
	s_cselect_b32 s4, 0xffffff80, 0
	s_delay_alu instid0(VALU_DEP_1) | instskip(SKIP_1) | instid1(TRANS32_DEP_1)
	v_rsq_f64_e32 v[10:11], v[6:7]
	v_cmp_class_f64_e64 vcc_lo, v[6:7], 0x260
	v_mul_f64_e32 v[20:21], v[6:7], v[10:11]
	v_mul_f64_e32 v[10:11], 0.5, v[10:11]
	s_delay_alu instid0(VALU_DEP_1) | instskip(NEXT) | instid1(VALU_DEP_1)
	v_fma_f64 v[22:23], -v[10:11], v[20:21], 0.5
	v_fmac_f64_e32 v[20:21], v[20:21], v[22:23]
	v_fmac_f64_e32 v[10:11], v[10:11], v[22:23]
	s_delay_alu instid0(VALU_DEP_2) | instskip(NEXT) | instid1(VALU_DEP_1)
	v_fma_f64 v[22:23], -v[20:21], v[20:21], v[6:7]
	v_fmac_f64_e32 v[20:21], v[22:23], v[10:11]
	s_delay_alu instid0(VALU_DEP_1) | instskip(NEXT) | instid1(VALU_DEP_1)
	v_fma_f64 v[22:23], -v[20:21], v[20:21], v[6:7]
	v_fmac_f64_e32 v[20:21], v[22:23], v[10:11]
	s_delay_alu instid0(VALU_DEP_1) | instskip(NEXT) | instid1(VALU_DEP_1)
	v_ldexp_f64 v[10:11], v[20:21], s4
	v_dual_cndmask_b32 v7, v11, v7 :: v_dual_cndmask_b32 v6, v10, v6
	s_delay_alu instid0(VALU_DEP_1)
	v_mul_f64_e32 v[6:7], v[4:5], v[6:7]
	s_cbranch_execz .LBB60_58
	s_branch .LBB60_59
.LBB60_57:
                                        ; implicit-def: $vgpr6_vgpr7
.LBB60_58:
	v_div_scale_f64 v[6:7], null, v[2:3], v[2:3], v[4:5]
	v_div_scale_f64 v[22:23], vcc_lo, v[4:5], v[2:3], v[4:5]
	s_delay_alu instid0(VALU_DEP_2) | instskip(SKIP_1) | instid1(TRANS32_DEP_1)
	v_rcp_f64_e32 v[10:11], v[6:7]
	v_nop
	v_fma_f64 v[20:21], -v[6:7], v[10:11], 1.0
	s_delay_alu instid0(VALU_DEP_1) | instskip(NEXT) | instid1(VALU_DEP_1)
	v_fmac_f64_e32 v[10:11], v[10:11], v[20:21]
	v_fma_f64 v[20:21], -v[6:7], v[10:11], 1.0
	s_delay_alu instid0(VALU_DEP_1) | instskip(NEXT) | instid1(VALU_DEP_1)
	v_fmac_f64_e32 v[10:11], v[10:11], v[20:21]
	v_mul_f64_e32 v[20:21], v[22:23], v[10:11]
	s_delay_alu instid0(VALU_DEP_1) | instskip(NEXT) | instid1(VALU_DEP_1)
	v_fma_f64 v[6:7], -v[6:7], v[20:21], v[22:23]
	v_div_fmas_f64 v[6:7], v[6:7], v[10:11], v[20:21]
	s_delay_alu instid0(VALU_DEP_1) | instskip(NEXT) | instid1(VALU_DEP_1)
	v_div_fixup_f64 v[4:5], v[6:7], v[2:3], v[4:5]
	v_fma_f64 v[4:5], v[4:5], v[4:5], 1.0
	s_delay_alu instid0(VALU_DEP_1) | instskip(SKIP_2) | instid1(SALU_CYCLE_1)
	v_cmp_gt_f64_e32 vcc_lo, 0x10000000, v[4:5]
	s_and_b32 s4, vcc_lo, exec_lo
	s_cselect_b32 s4, 0x100, 0
	v_ldexp_f64 v[4:5], v[4:5], s4
	s_cselect_b32 s4, 0xffffff80, 0
	s_delay_alu instid0(VALU_DEP_1) | instskip(SKIP_1) | instid1(TRANS32_DEP_1)
	v_rsq_f64_e32 v[6:7], v[4:5]
	v_cmp_class_f64_e64 vcc_lo, v[4:5], 0x260
	v_mul_f64_e32 v[10:11], v[4:5], v[6:7]
	v_mul_f64_e32 v[6:7], 0.5, v[6:7]
	s_delay_alu instid0(VALU_DEP_1) | instskip(NEXT) | instid1(VALU_DEP_1)
	v_fma_f64 v[20:21], -v[6:7], v[10:11], 0.5
	v_fmac_f64_e32 v[10:11], v[10:11], v[20:21]
	v_fmac_f64_e32 v[6:7], v[6:7], v[20:21]
	s_delay_alu instid0(VALU_DEP_2) | instskip(NEXT) | instid1(VALU_DEP_1)
	v_fma_f64 v[20:21], -v[10:11], v[10:11], v[4:5]
	v_fmac_f64_e32 v[10:11], v[20:21], v[6:7]
	s_delay_alu instid0(VALU_DEP_1) | instskip(NEXT) | instid1(VALU_DEP_1)
	v_fma_f64 v[20:21], -v[10:11], v[10:11], v[4:5]
	v_fmac_f64_e32 v[10:11], v[20:21], v[6:7]
	s_delay_alu instid0(VALU_DEP_1) | instskip(NEXT) | instid1(VALU_DEP_1)
	v_ldexp_f64 v[6:7], v[10:11], s4
	v_dual_cndmask_b32 v5, v7, v5 :: v_dual_cndmask_b32 v4, v6, v4
	s_delay_alu instid0(VALU_DEP_1)
	v_mul_f64_e32 v[6:7], v[2:3], v[4:5]
.LBB60_59:
	s_delay_alu instid0(VALU_DEP_1) | instskip(SKIP_2) | instid1(SALU_CYCLE_1)
	v_cmp_gt_f64_e32 vcc_lo, 0x10000000, v[6:7]
	s_and_b32 s4, vcc_lo, exec_lo
	s_cselect_b32 s4, 0x100, 0
	v_ldexp_f64 v[2:3], v[6:7], s4
	s_cselect_b32 s4, 0xffffff80, 0
	s_delay_alu instid0(VALU_DEP_1) | instskip(SKIP_1) | instid1(TRANS32_DEP_1)
	v_rsq_f64_e32 v[4:5], v[2:3]
	v_cmp_class_f64_e64 vcc_lo, v[2:3], 0x260
	v_mul_f64_e32 v[6:7], v[2:3], v[4:5]
	v_mul_f64_e32 v[4:5], 0.5, v[4:5]
	s_delay_alu instid0(VALU_DEP_1) | instskip(NEXT) | instid1(VALU_DEP_1)
	v_fma_f64 v[10:11], -v[4:5], v[6:7], 0.5
	v_fmac_f64_e32 v[6:7], v[6:7], v[10:11]
	v_fmac_f64_e32 v[4:5], v[4:5], v[10:11]
	s_delay_alu instid0(VALU_DEP_2) | instskip(NEXT) | instid1(VALU_DEP_1)
	v_fma_f64 v[10:11], -v[6:7], v[6:7], v[2:3]
	v_fmac_f64_e32 v[6:7], v[10:11], v[4:5]
	s_delay_alu instid0(VALU_DEP_1) | instskip(NEXT) | instid1(VALU_DEP_1)
	v_fma_f64 v[10:11], -v[6:7], v[6:7], v[2:3]
	v_fmac_f64_e32 v[6:7], v[10:11], v[4:5]
	v_mov_b32_e32 v4, 0
	s_delay_alu instid0(VALU_DEP_1) | instskip(NEXT) | instid1(VALU_DEP_3)
	v_mov_b32_e32 v5, v4
	v_ldexp_f64 v[6:7], v[6:7], s4
	s_delay_alu instid0(VALU_DEP_1)
	v_dual_cndmask_b32 v3, v7, v3 :: v_dual_cndmask_b32 v2, v6, v2
	ds_store_b128 v4, v[2:5] offset:576
.LBB60_60:
	s_or_b32 exec_lo, exec_lo, s0
	v_mov_b32_e32 v2, 0
	s_wait_dscnt 0x0
	v_lshl_add_u64 v[0:1], v[0:1], 4, s[2:3]
	v_cmp_ne_u32_e64 s0, 0, v15
	ds_load_b128 v[2:5], v2 offset:576
	s_wait_dscnt 0x0
	v_cmp_neq_f64_e32 vcc_lo, 0, v[2:3]
	v_cmp_neq_f64_e64 s2, 0, v[4:5]
	s_or_b32 vcc_lo, vcc_lo, s2
	s_add_co_i32 s2, s16, s17
	v_cndmask_b32_e32 v3, 0x3ff00000, v3, vcc_lo
	v_dual_cndmask_b32 v2, 0, v2 :: v_dual_cndmask_b32 v5, 0, v5
	v_cndmask_b32_e32 v4, 0, v4, vcc_lo
	s_nor_b32 s4, vcc_lo, s0
	s_delay_alu instid0(SALU_CYCLE_1)
	s_and_saveexec_b32 s3, s4
	s_cbranch_execz .LBB60_64
; %bb.61:
	v_mbcnt_lo_u32_b32 v2, exec_lo, 0
	s_mov_b32 s4, exec_lo
	s_delay_alu instid0(VALU_DEP_1)
	v_cmpx_eq_u32_e32 0, v2
	s_cbranch_execz .LBB60_63
; %bb.62:
	v_dual_mov_b32 v2, 0 :: v_dual_mov_b32 v3, s2
	global_atomic_min_i32 v2, v3, s[10:11] scope:SCOPE_DEV
.LBB60_63:
	s_wait_xcnt 0x0
	s_or_b32 exec_lo, exec_lo, s4
	v_mov_b64_e32 v[4:5], 0
	v_mov_b64_e32 v[2:3], 1.0
.LBB60_64:
	s_or_b32 exec_lo, exec_lo, s3
	s_and_saveexec_b32 s3, s1
	s_cbranch_execz .LBB60_66
; %bb.65:
	s_delay_alu instid0(VALU_DEP_1) | instskip(NEXT) | instid1(VALU_DEP_1)
	v_mul_f64_e32 v[6:7], v[4:5], v[4:5]
	v_fmac_f64_e32 v[6:7], v[2:3], v[2:3]
	s_delay_alu instid0(VALU_DEP_1) | instskip(SKIP_1) | instid1(VALU_DEP_2)
	v_div_scale_f64 v[10:11], null, v[6:7], v[6:7], 1.0
	v_div_scale_f64 v[30:31], vcc_lo, 1.0, v[6:7], 1.0
	v_rcp_f64_e32 v[28:29], v[10:11]
	v_nop
	s_delay_alu instid0(TRANS32_DEP_1) | instskip(NEXT) | instid1(VALU_DEP_1)
	v_fma_f64 v[20:21], -v[10:11], v[28:29], 1.0
	v_fmac_f64_e32 v[28:29], v[28:29], v[20:21]
	s_delay_alu instid0(VALU_DEP_1) | instskip(NEXT) | instid1(VALU_DEP_1)
	v_fma_f64 v[20:21], -v[10:11], v[28:29], 1.0
	v_fmac_f64_e32 v[28:29], v[28:29], v[20:21]
	ds_load_b128 v[20:23], v18
	ds_load_b128 v[24:27], v16
	s_wait_dscnt 0x0
	v_add_f64_e64 v[22:23], v[22:23], -v[26:27]
	v_add_f64_e64 v[20:21], v[20:21], -v[24:25]
	v_mul_f64_e32 v[32:33], v[30:31], v[28:29]
	s_delay_alu instid0(VALU_DEP_3) | instskip(NEXT) | instid1(VALU_DEP_3)
	v_mul_f64_e32 v[24:25], v[4:5], v[22:23]
	v_mul_f64_e64 v[4:5], v[4:5], -v[20:21]
	s_delay_alu instid0(VALU_DEP_3) | instskip(NEXT) | instid1(VALU_DEP_3)
	v_fma_f64 v[10:11], -v[10:11], v[32:33], v[30:31]
	v_fmac_f64_e32 v[24:25], v[20:21], v[2:3]
	s_delay_alu instid0(VALU_DEP_3) | instskip(NEXT) | instid1(VALU_DEP_3)
	v_fmac_f64_e32 v[4:5], v[22:23], v[2:3]
	v_div_fmas_f64 v[10:11], v[10:11], v[28:29], v[32:33]
	s_delay_alu instid0(VALU_DEP_1) | instskip(NEXT) | instid1(VALU_DEP_1)
	v_div_fixup_f64 v[6:7], v[10:11], v[6:7], 1.0
	v_mul_f64_e32 v[2:3], v[6:7], v[24:25]
	s_delay_alu instid0(VALU_DEP_4)
	v_mul_f64_e32 v[4:5], v[6:7], v[4:5]
	ds_store_b128 v18, v[2:5]
	s_wait_storecnt_dscnt 0x0
	ds_load_b128 v[20:23], v17
	ds_load_b128 v[24:27], v14
	s_wait_dscnt 0x0
	v_fmac_f64_e32 v[24:25], v[2:3], v[20:21]
	v_fmac_f64_e32 v[26:27], v[4:5], v[20:21]
	s_delay_alu instid0(VALU_DEP_2) | instskip(NEXT) | instid1(VALU_DEP_2)
	v_fmac_f64_e32 v[24:25], v[4:5], v[22:23]
	v_fma_f64 v[26:27], v[2:3], -v[22:23], v[26:27]
	ds_store_b128 v14, v[24:27]
.LBB60_66:
	s_or_b32 exec_lo, exec_lo, s3
	s_delay_alu instid0(SALU_CYCLE_1)
	s_mov_b32 s1, exec_lo
	s_wait_storecnt_dscnt 0x0
	v_cmpx_eq_u32_e32 1, v13
	s_cbranch_execz .LBB60_73
; %bb.67:
	v_mov_b32_e32 v6, 0
	ds_load_b128 v[2:5], v6 offset:736
	ds_load_b128 v[20:23], v6 offset:640
	s_wait_dscnt 0x0
	v_add_f64_e64 v[2:3], v[20:21], -v[2:3]
	v_add_f64_e64 v[6:7], v[22:23], -v[4:5]
	s_delay_alu instid0(VALU_DEP_2) | instskip(SKIP_1) | instid1(VALU_DEP_3)
	v_cmp_gt_f64_e32 vcc_lo, 0, v[2:3]
	v_xor_b32_e32 v4, 0x80000000, v3
	v_xor_b32_e32 v5, 0x80000000, v7
	s_delay_alu instid0(VALU_DEP_2) | instskip(SKIP_1) | instid1(VALU_DEP_3)
	v_dual_cndmask_b32 v3, v3, v4 :: v_dual_mov_b32 v4, v6
	v_cmp_gt_f64_e32 vcc_lo, 0, v[6:7]
	v_cndmask_b32_e32 v5, v7, v5, vcc_lo
	s_delay_alu instid0(VALU_DEP_1)
	v_cmp_gt_f64_e32 vcc_lo, v[2:3], v[4:5]
	s_cbranch_vccnz .LBB60_70
; %bb.68:
	v_cmp_eq_f64_e32 vcc_lo, 0, v[6:7]
	s_cbranch_vccnz .LBB60_87
; %bb.69:
	v_div_scale_f64 v[6:7], null, v[4:5], v[4:5], v[2:3]
	v_div_scale_f64 v[22:23], vcc_lo, v[2:3], v[4:5], v[2:3]
	s_delay_alu instid0(VALU_DEP_2) | instskip(SKIP_1) | instid1(TRANS32_DEP_1)
	v_rcp_f64_e32 v[10:11], v[6:7]
	v_nop
	v_fma_f64 v[20:21], -v[6:7], v[10:11], 1.0
	s_delay_alu instid0(VALU_DEP_1) | instskip(NEXT) | instid1(VALU_DEP_1)
	v_fmac_f64_e32 v[10:11], v[10:11], v[20:21]
	v_fma_f64 v[20:21], -v[6:7], v[10:11], 1.0
	s_delay_alu instid0(VALU_DEP_1) | instskip(NEXT) | instid1(VALU_DEP_1)
	v_fmac_f64_e32 v[10:11], v[10:11], v[20:21]
	v_mul_f64_e32 v[20:21], v[22:23], v[10:11]
	s_delay_alu instid0(VALU_DEP_1) | instskip(NEXT) | instid1(VALU_DEP_1)
	v_fma_f64 v[6:7], -v[6:7], v[20:21], v[22:23]
	v_div_fmas_f64 v[6:7], v[6:7], v[10:11], v[20:21]
	s_delay_alu instid0(VALU_DEP_1) | instskip(NEXT) | instid1(VALU_DEP_1)
	v_div_fixup_f64 v[6:7], v[6:7], v[4:5], v[2:3]
	v_fma_f64 v[6:7], v[6:7], v[6:7], 1.0
	s_delay_alu instid0(VALU_DEP_1) | instskip(SKIP_2) | instid1(SALU_CYCLE_1)
	v_cmp_gt_f64_e32 vcc_lo, 0x10000000, v[6:7]
	s_and_b32 s3, vcc_lo, exec_lo
	s_cselect_b32 s3, 0x100, 0
	v_ldexp_f64 v[6:7], v[6:7], s3
	s_cselect_b32 s3, 0xffffff80, 0
	s_delay_alu instid0(VALU_DEP_1) | instskip(SKIP_1) | instid1(TRANS32_DEP_1)
	v_rsq_f64_e32 v[10:11], v[6:7]
	v_cmp_class_f64_e64 vcc_lo, v[6:7], 0x260
	v_mul_f64_e32 v[20:21], v[6:7], v[10:11]
	v_mul_f64_e32 v[10:11], 0.5, v[10:11]
	s_delay_alu instid0(VALU_DEP_1) | instskip(NEXT) | instid1(VALU_DEP_1)
	v_fma_f64 v[22:23], -v[10:11], v[20:21], 0.5
	v_fmac_f64_e32 v[20:21], v[20:21], v[22:23]
	v_fmac_f64_e32 v[10:11], v[10:11], v[22:23]
	s_delay_alu instid0(VALU_DEP_2) | instskip(NEXT) | instid1(VALU_DEP_1)
	v_fma_f64 v[22:23], -v[20:21], v[20:21], v[6:7]
	v_fmac_f64_e32 v[20:21], v[22:23], v[10:11]
	s_delay_alu instid0(VALU_DEP_1) | instskip(NEXT) | instid1(VALU_DEP_1)
	v_fma_f64 v[22:23], -v[20:21], v[20:21], v[6:7]
	v_fmac_f64_e32 v[20:21], v[22:23], v[10:11]
	s_delay_alu instid0(VALU_DEP_1) | instskip(NEXT) | instid1(VALU_DEP_1)
	v_ldexp_f64 v[10:11], v[20:21], s3
	v_dual_cndmask_b32 v7, v11, v7 :: v_dual_cndmask_b32 v6, v10, v6
	s_delay_alu instid0(VALU_DEP_1)
	v_mul_f64_e32 v[6:7], v[4:5], v[6:7]
	s_cbranch_execz .LBB60_71
	s_branch .LBB60_72
.LBB60_70:
                                        ; implicit-def: $vgpr6_vgpr7
.LBB60_71:
	v_div_scale_f64 v[6:7], null, v[2:3], v[2:3], v[4:5]
	v_div_scale_f64 v[22:23], vcc_lo, v[4:5], v[2:3], v[4:5]
	s_delay_alu instid0(VALU_DEP_2) | instskip(SKIP_1) | instid1(TRANS32_DEP_1)
	v_rcp_f64_e32 v[10:11], v[6:7]
	v_nop
	v_fma_f64 v[20:21], -v[6:7], v[10:11], 1.0
	s_delay_alu instid0(VALU_DEP_1) | instskip(NEXT) | instid1(VALU_DEP_1)
	v_fmac_f64_e32 v[10:11], v[10:11], v[20:21]
	v_fma_f64 v[20:21], -v[6:7], v[10:11], 1.0
	s_delay_alu instid0(VALU_DEP_1) | instskip(NEXT) | instid1(VALU_DEP_1)
	v_fmac_f64_e32 v[10:11], v[10:11], v[20:21]
	v_mul_f64_e32 v[20:21], v[22:23], v[10:11]
	s_delay_alu instid0(VALU_DEP_1) | instskip(NEXT) | instid1(VALU_DEP_1)
	v_fma_f64 v[6:7], -v[6:7], v[20:21], v[22:23]
	v_div_fmas_f64 v[6:7], v[6:7], v[10:11], v[20:21]
	s_delay_alu instid0(VALU_DEP_1) | instskip(NEXT) | instid1(VALU_DEP_1)
	v_div_fixup_f64 v[4:5], v[6:7], v[2:3], v[4:5]
	v_fma_f64 v[4:5], v[4:5], v[4:5], 1.0
	s_delay_alu instid0(VALU_DEP_1) | instskip(SKIP_2) | instid1(SALU_CYCLE_1)
	v_cmp_gt_f64_e32 vcc_lo, 0x10000000, v[4:5]
	s_and_b32 s3, vcc_lo, exec_lo
	s_cselect_b32 s3, 0x100, 0
	v_ldexp_f64 v[4:5], v[4:5], s3
	s_cselect_b32 s3, 0xffffff80, 0
	s_delay_alu instid0(VALU_DEP_1) | instskip(SKIP_1) | instid1(TRANS32_DEP_1)
	v_rsq_f64_e32 v[6:7], v[4:5]
	v_cmp_class_f64_e64 vcc_lo, v[4:5], 0x260
	v_mul_f64_e32 v[10:11], v[4:5], v[6:7]
	v_mul_f64_e32 v[6:7], 0.5, v[6:7]
	s_delay_alu instid0(VALU_DEP_1) | instskip(NEXT) | instid1(VALU_DEP_1)
	v_fma_f64 v[20:21], -v[6:7], v[10:11], 0.5
	v_fmac_f64_e32 v[10:11], v[10:11], v[20:21]
	v_fmac_f64_e32 v[6:7], v[6:7], v[20:21]
	s_delay_alu instid0(VALU_DEP_2) | instskip(NEXT) | instid1(VALU_DEP_1)
	v_fma_f64 v[20:21], -v[10:11], v[10:11], v[4:5]
	v_fmac_f64_e32 v[10:11], v[20:21], v[6:7]
	s_delay_alu instid0(VALU_DEP_1) | instskip(NEXT) | instid1(VALU_DEP_1)
	v_fma_f64 v[20:21], -v[10:11], v[10:11], v[4:5]
	v_fmac_f64_e32 v[10:11], v[20:21], v[6:7]
	s_delay_alu instid0(VALU_DEP_1) | instskip(NEXT) | instid1(VALU_DEP_1)
	v_ldexp_f64 v[6:7], v[10:11], s3
	v_dual_cndmask_b32 v5, v7, v5 :: v_dual_cndmask_b32 v4, v6, v4
	s_delay_alu instid0(VALU_DEP_1)
	v_mul_f64_e32 v[6:7], v[2:3], v[4:5]
.LBB60_72:
	s_delay_alu instid0(VALU_DEP_1) | instskip(SKIP_2) | instid1(SALU_CYCLE_1)
	v_cmp_gt_f64_e32 vcc_lo, 0x10000000, v[6:7]
	s_and_b32 s3, vcc_lo, exec_lo
	s_cselect_b32 s3, 0x100, 0
	v_ldexp_f64 v[2:3], v[6:7], s3
	s_cselect_b32 s3, 0xffffff80, 0
	s_delay_alu instid0(VALU_DEP_1) | instskip(SKIP_1) | instid1(TRANS32_DEP_1)
	v_rsq_f64_e32 v[4:5], v[2:3]
	v_cmp_class_f64_e64 vcc_lo, v[2:3], 0x260
	v_mul_f64_e32 v[6:7], v[2:3], v[4:5]
	v_mul_f64_e32 v[4:5], 0.5, v[4:5]
	s_delay_alu instid0(VALU_DEP_1) | instskip(NEXT) | instid1(VALU_DEP_1)
	v_fma_f64 v[10:11], -v[4:5], v[6:7], 0.5
	v_fmac_f64_e32 v[6:7], v[6:7], v[10:11]
	v_fmac_f64_e32 v[4:5], v[4:5], v[10:11]
	s_delay_alu instid0(VALU_DEP_2) | instskip(NEXT) | instid1(VALU_DEP_1)
	v_fma_f64 v[10:11], -v[6:7], v[6:7], v[2:3]
	v_fmac_f64_e32 v[6:7], v[10:11], v[4:5]
	s_delay_alu instid0(VALU_DEP_1) | instskip(NEXT) | instid1(VALU_DEP_1)
	v_fma_f64 v[10:11], -v[6:7], v[6:7], v[2:3]
	v_fmac_f64_e32 v[6:7], v[10:11], v[4:5]
	v_mov_b32_e32 v4, 0
	s_delay_alu instid0(VALU_DEP_1) | instskip(NEXT) | instid1(VALU_DEP_3)
	v_mov_b32_e32 v5, v4
	v_ldexp_f64 v[6:7], v[6:7], s3
	s_delay_alu instid0(VALU_DEP_1)
	v_dual_cndmask_b32 v3, v7, v3 :: v_dual_cndmask_b32 v2, v6, v2
	ds_store_b128 v4, v[2:5] offset:640
.LBB60_73:
	s_or_b32 exec_lo, exec_lo, s1
	v_mov_b32_e32 v2, 0
	s_wait_dscnt 0x0
	ds_load_b128 v[2:5], v2 offset:640
	s_wait_dscnt 0x0
	v_cmp_neq_f64_e32 vcc_lo, 0, v[2:3]
	v_cmp_neq_f64_e64 s1, 0, v[4:5]
	s_or_b32 vcc_lo, vcc_lo, s1
	v_cndmask_b32_e32 v3, 0x3ff00000, v3, vcc_lo
	v_dual_cndmask_b32 v2, 0, v2 :: v_dual_cndmask_b32 v5, 0, v5
	v_cndmask_b32_e32 v4, 0, v4, vcc_lo
	s_nor_b32 s1, vcc_lo, s0
	s_delay_alu instid0(SALU_CYCLE_1)
	s_and_saveexec_b32 s0, s1
	s_cbranch_execz .LBB60_77
; %bb.74:
	v_mbcnt_lo_u32_b32 v2, exec_lo, 0
	s_mov_b32 s1, exec_lo
	s_delay_alu instid0(VALU_DEP_1)
	v_cmpx_eq_u32_e32 0, v2
	s_cbranch_execz .LBB60_76
; %bb.75:
	v_dual_mov_b32 v2, 0 :: v_dual_mov_b32 v3, s2
	global_atomic_min_i32 v2, v3, s[10:11] scope:SCOPE_DEV
.LBB60_76:
	s_wait_xcnt 0x0
	s_or_b32 exec_lo, exec_lo, s1
	v_mov_b64_e32 v[4:5], 0
	v_mov_b64_e32 v[2:3], 1.0
.LBB60_77:
	s_or_b32 exec_lo, exec_lo, s0
	s_delay_alu instid0(SALU_CYCLE_1)
	s_mov_b32 s0, exec_lo
	v_cmpx_lt_u32_e32 1, v13
	s_cbranch_execz .LBB60_79
; %bb.78:
	s_delay_alu instid0(VALU_DEP_2) | instskip(NEXT) | instid1(VALU_DEP_1)
	v_mul_f64_e32 v[6:7], v[4:5], v[4:5]
	v_fmac_f64_e32 v[6:7], v[2:3], v[2:3]
	s_delay_alu instid0(VALU_DEP_1) | instskip(SKIP_1) | instid1(VALU_DEP_2)
	v_div_scale_f64 v[10:11], null, v[6:7], v[6:7], 1.0
	v_div_scale_f64 v[30:31], vcc_lo, 1.0, v[6:7], 1.0
	v_rcp_f64_e32 v[28:29], v[10:11]
	v_nop
	s_delay_alu instid0(TRANS32_DEP_1) | instskip(NEXT) | instid1(VALU_DEP_1)
	v_fma_f64 v[20:21], -v[10:11], v[28:29], 1.0
	v_fmac_f64_e32 v[28:29], v[28:29], v[20:21]
	s_delay_alu instid0(VALU_DEP_1) | instskip(NEXT) | instid1(VALU_DEP_1)
	v_fma_f64 v[20:21], -v[10:11], v[28:29], 1.0
	v_fmac_f64_e32 v[28:29], v[28:29], v[20:21]
	ds_load_b128 v[20:23], v18 offset:16
	ds_load_b128 v[24:27], v16 offset:16
	s_wait_dscnt 0x0
	v_add_f64_e64 v[22:23], v[22:23], -v[26:27]
	v_add_f64_e64 v[20:21], v[20:21], -v[24:25]
	v_mul_f64_e32 v[32:33], v[30:31], v[28:29]
	s_delay_alu instid0(VALU_DEP_3) | instskip(NEXT) | instid1(VALU_DEP_3)
	v_mul_f64_e32 v[24:25], v[4:5], v[22:23]
	v_mul_f64_e64 v[4:5], v[4:5], -v[20:21]
	s_delay_alu instid0(VALU_DEP_3) | instskip(NEXT) | instid1(VALU_DEP_3)
	v_fma_f64 v[10:11], -v[10:11], v[32:33], v[30:31]
	v_fmac_f64_e32 v[24:25], v[20:21], v[2:3]
	s_delay_alu instid0(VALU_DEP_3) | instskip(NEXT) | instid1(VALU_DEP_3)
	v_fmac_f64_e32 v[4:5], v[22:23], v[2:3]
	v_div_fmas_f64 v[10:11], v[10:11], v[28:29], v[32:33]
	s_delay_alu instid0(VALU_DEP_1) | instskip(NEXT) | instid1(VALU_DEP_1)
	v_div_fixup_f64 v[6:7], v[10:11], v[6:7], 1.0
	v_mul_f64_e32 v[2:3], v[6:7], v[24:25]
	s_delay_alu instid0(VALU_DEP_4)
	v_mul_f64_e32 v[4:5], v[6:7], v[4:5]
	ds_store_b128 v18, v[2:5] offset:16
	s_wait_storecnt_dscnt 0x0
	ds_load_b128 v[16:19], v17 offset:16
	ds_load_b128 v[20:23], v14
	s_wait_dscnt 0x0
	v_fmac_f64_e32 v[20:21], v[2:3], v[16:17]
	v_fmac_f64_e32 v[22:23], v[4:5], v[16:17]
	s_delay_alu instid0(VALU_DEP_2) | instskip(NEXT) | instid1(VALU_DEP_2)
	v_fmac_f64_e32 v[20:21], v[4:5], v[18:19]
	v_fma_f64 v[22:23], v[2:3], -v[18:19], v[22:23]
	ds_store_b128 v14, v[20:23]
.LBB60_79:
	s_or_b32 exec_lo, exec_lo, s0
	s_wait_storecnt_dscnt 0x0
	ds_load_2addr_b64 v[2:5], v8 offset1:1
	s_mov_b32 s0, 0
	s_mov_b32 s1, exec_lo
	s_wait_dscnt 0x0
	global_store_b128 v[0:1], v[2:5], off
	s_wait_xcnt 0x0
	v_cmpx_eq_u32_e32 0, v15
	s_cbranch_execz .LBB60_81
; %bb.80:
	v_dual_mov_b32 v0, 0 :: v_dual_mov_b32 v1, 1
	s_add_nc_u64 s[2:3], s[6:7], s[8:9]
	global_wb scope:SCOPE_DEV
	s_wait_storecnt 0x0
	global_store_b32 v0, v1, s[2:3] scope:SCOPE_DEV
.LBB60_81:
	s_wait_xcnt 0x0
	s_or_b32 exec_lo, exec_lo, s1
	s_delay_alu instid0(SALU_CYCLE_1)
	s_and_b32 vcc_lo, exec_lo, s0
	s_cbranch_vccz .LBB60_16
.LBB60_82:
	v_or_b32_e32 v0, v12, v13
	s_mov_b32 s0, exec_lo
	s_delay_alu instid0(VALU_DEP_1)
	v_cmpx_eq_u32_e32 0, v0
	s_cbranch_execz .LBB60_16
; %bb.83:
	v_mbcnt_lo_u32_b32 v0, exec_lo, 0
	s_mov_b32 s0, exec_lo
	s_delay_alu instid0(VALU_DEP_1)
	v_cmpx_eq_u32_e32 0, v0
	s_cbranch_execz .LBB60_85
; %bb.84:
	s_add_co_i32 s1, s16, s17
	s_delay_alu instid0(SALU_CYCLE_1)
	v_dual_mov_b32 v0, 0 :: v_dual_mov_b32 v1, s1
	global_atomic_min_i32 v0, v1, s[10:11] scope:SCOPE_DEV
.LBB60_85:
	s_wait_xcnt 0x0
	s_or_b32 exec_lo, exec_lo, s0
	v_dual_mov_b32 v0, 0 :: v_dual_mov_b32 v1, 1
	s_add_nc_u64 s[0:1], s[6:7], s[8:9]
	global_wb scope:SCOPE_DEV
	s_wait_storecnt 0x0
	global_store_b32 v0, v1, s[0:1] scope:SCOPE_DEV
	s_endpgm
.LBB60_86:
	v_mov_b64_e32 v[6:7], 0
	s_cbranch_execz .LBB60_58
	s_branch .LBB60_59
.LBB60_87:
	v_mov_b64_e32 v[6:7], 0
	s_cbranch_execz .LBB60_71
	s_branch .LBB60_72
	.section	.rodata,"a",@progbits
	.p2align	6, 0x0
	.amdhsa_kernel _ZN9rocsparseL26bsric0_2_8_unrolled_kernelILi4ELi32ELi2E21rocsparse_complex_numIdEEEv20rocsparse_direction_iiPKiS5_PT2_S5_PiS5_S8_21rocsparse_index_base_
		.amdhsa_group_segment_fixed_size 768
		.amdhsa_private_segment_fixed_size 0
		.amdhsa_kernarg_size 76
		.amdhsa_user_sgpr_count 2
		.amdhsa_user_sgpr_dispatch_ptr 0
		.amdhsa_user_sgpr_queue_ptr 0
		.amdhsa_user_sgpr_kernarg_segment_ptr 1
		.amdhsa_user_sgpr_dispatch_id 0
		.amdhsa_user_sgpr_kernarg_preload_length 0
		.amdhsa_user_sgpr_kernarg_preload_offset 0
		.amdhsa_user_sgpr_private_segment_size 0
		.amdhsa_wavefront_size32 1
		.amdhsa_uses_dynamic_stack 0
		.amdhsa_enable_private_segment 0
		.amdhsa_system_sgpr_workgroup_id_x 1
		.amdhsa_system_sgpr_workgroup_id_y 0
		.amdhsa_system_sgpr_workgroup_id_z 0
		.amdhsa_system_sgpr_workgroup_info 0
		.amdhsa_system_vgpr_workitem_id 1
		.amdhsa_next_free_vgpr 50
		.amdhsa_next_free_sgpr 37
		.amdhsa_named_barrier_count 0
		.amdhsa_reserve_vcc 1
		.amdhsa_float_round_mode_32 0
		.amdhsa_float_round_mode_16_64 0
		.amdhsa_float_denorm_mode_32 3
		.amdhsa_float_denorm_mode_16_64 3
		.amdhsa_fp16_overflow 0
		.amdhsa_memory_ordered 1
		.amdhsa_forward_progress 1
		.amdhsa_inst_pref_size 49
		.amdhsa_round_robin_scheduling 0
		.amdhsa_exception_fp_ieee_invalid_op 0
		.amdhsa_exception_fp_denorm_src 0
		.amdhsa_exception_fp_ieee_div_zero 0
		.amdhsa_exception_fp_ieee_overflow 0
		.amdhsa_exception_fp_ieee_underflow 0
		.amdhsa_exception_fp_ieee_inexact 0
		.amdhsa_exception_int_div_zero 0
	.end_amdhsa_kernel
	.section	.text._ZN9rocsparseL26bsric0_2_8_unrolled_kernelILi4ELi32ELi2E21rocsparse_complex_numIdEEEv20rocsparse_direction_iiPKiS5_PT2_S5_PiS5_S8_21rocsparse_index_base_,"axG",@progbits,_ZN9rocsparseL26bsric0_2_8_unrolled_kernelILi4ELi32ELi2E21rocsparse_complex_numIdEEEv20rocsparse_direction_iiPKiS5_PT2_S5_PiS5_S8_21rocsparse_index_base_,comdat
.Lfunc_end60:
	.size	_ZN9rocsparseL26bsric0_2_8_unrolled_kernelILi4ELi32ELi2E21rocsparse_complex_numIdEEEv20rocsparse_direction_iiPKiS5_PT2_S5_PiS5_S8_21rocsparse_index_base_, .Lfunc_end60-_ZN9rocsparseL26bsric0_2_8_unrolled_kernelILi4ELi32ELi2E21rocsparse_complex_numIdEEEv20rocsparse_direction_iiPKiS5_PT2_S5_PiS5_S8_21rocsparse_index_base_
                                        ; -- End function
	.set _ZN9rocsparseL26bsric0_2_8_unrolled_kernelILi4ELi32ELi2E21rocsparse_complex_numIdEEEv20rocsparse_direction_iiPKiS5_PT2_S5_PiS5_S8_21rocsparse_index_base_.num_vgpr, 50
	.set _ZN9rocsparseL26bsric0_2_8_unrolled_kernelILi4ELi32ELi2E21rocsparse_complex_numIdEEEv20rocsparse_direction_iiPKiS5_PT2_S5_PiS5_S8_21rocsparse_index_base_.num_agpr, 0
	.set _ZN9rocsparseL26bsric0_2_8_unrolled_kernelILi4ELi32ELi2E21rocsparse_complex_numIdEEEv20rocsparse_direction_iiPKiS5_PT2_S5_PiS5_S8_21rocsparse_index_base_.numbered_sgpr, 37
	.set _ZN9rocsparseL26bsric0_2_8_unrolled_kernelILi4ELi32ELi2E21rocsparse_complex_numIdEEEv20rocsparse_direction_iiPKiS5_PT2_S5_PiS5_S8_21rocsparse_index_base_.num_named_barrier, 0
	.set _ZN9rocsparseL26bsric0_2_8_unrolled_kernelILi4ELi32ELi2E21rocsparse_complex_numIdEEEv20rocsparse_direction_iiPKiS5_PT2_S5_PiS5_S8_21rocsparse_index_base_.private_seg_size, 0
	.set _ZN9rocsparseL26bsric0_2_8_unrolled_kernelILi4ELi32ELi2E21rocsparse_complex_numIdEEEv20rocsparse_direction_iiPKiS5_PT2_S5_PiS5_S8_21rocsparse_index_base_.uses_vcc, 1
	.set _ZN9rocsparseL26bsric0_2_8_unrolled_kernelILi4ELi32ELi2E21rocsparse_complex_numIdEEEv20rocsparse_direction_iiPKiS5_PT2_S5_PiS5_S8_21rocsparse_index_base_.uses_flat_scratch, 0
	.set _ZN9rocsparseL26bsric0_2_8_unrolled_kernelILi4ELi32ELi2E21rocsparse_complex_numIdEEEv20rocsparse_direction_iiPKiS5_PT2_S5_PiS5_S8_21rocsparse_index_base_.has_dyn_sized_stack, 0
	.set _ZN9rocsparseL26bsric0_2_8_unrolled_kernelILi4ELi32ELi2E21rocsparse_complex_numIdEEEv20rocsparse_direction_iiPKiS5_PT2_S5_PiS5_S8_21rocsparse_index_base_.has_recursion, 0
	.set _ZN9rocsparseL26bsric0_2_8_unrolled_kernelILi4ELi32ELi2E21rocsparse_complex_numIdEEEv20rocsparse_direction_iiPKiS5_PT2_S5_PiS5_S8_21rocsparse_index_base_.has_indirect_call, 0
	.section	.AMDGPU.csdata,"",@progbits
; Kernel info:
; codeLenInByte = 6216
; TotalNumSgprs: 39
; NumVgprs: 50
; ScratchSize: 0
; MemoryBound: 1
; FloatMode: 240
; IeeeMode: 1
; LDSByteSize: 768 bytes/workgroup (compile time only)
; SGPRBlocks: 0
; VGPRBlocks: 3
; NumSGPRsForWavesPerEU: 39
; NumVGPRsForWavesPerEU: 50
; NamedBarCnt: 0
; Occupancy: 16
; WaveLimiterHint : 1
; COMPUTE_PGM_RSRC2:SCRATCH_EN: 0
; COMPUTE_PGM_RSRC2:USER_SGPR: 2
; COMPUTE_PGM_RSRC2:TRAP_HANDLER: 0
; COMPUTE_PGM_RSRC2:TGID_X_EN: 1
; COMPUTE_PGM_RSRC2:TGID_Y_EN: 0
; COMPUTE_PGM_RSRC2:TGID_Z_EN: 0
; COMPUTE_PGM_RSRC2:TIDIG_COMP_CNT: 1
	.section	.text._ZN9rocsparseL26bsric0_2_8_unrolled_kernelILi9ELi32ELi3E21rocsparse_complex_numIdEEEv20rocsparse_direction_iiPKiS5_PT2_S5_PiS5_S8_21rocsparse_index_base_,"axG",@progbits,_ZN9rocsparseL26bsric0_2_8_unrolled_kernelILi9ELi32ELi3E21rocsparse_complex_numIdEEEv20rocsparse_direction_iiPKiS5_PT2_S5_PiS5_S8_21rocsparse_index_base_,comdat
	.globl	_ZN9rocsparseL26bsric0_2_8_unrolled_kernelILi9ELi32ELi3E21rocsparse_complex_numIdEEEv20rocsparse_direction_iiPKiS5_PT2_S5_PiS5_S8_21rocsparse_index_base_ ; -- Begin function _ZN9rocsparseL26bsric0_2_8_unrolled_kernelILi9ELi32ELi3E21rocsparse_complex_numIdEEEv20rocsparse_direction_iiPKiS5_PT2_S5_PiS5_S8_21rocsparse_index_base_
	.p2align	8
	.type	_ZN9rocsparseL26bsric0_2_8_unrolled_kernelILi9ELi32ELi3E21rocsparse_complex_numIdEEEv20rocsparse_direction_iiPKiS5_PT2_S5_PiS5_S8_21rocsparse_index_base_,@function
_ZN9rocsparseL26bsric0_2_8_unrolled_kernelILi9ELi32ELi3E21rocsparse_complex_numIdEEEv20rocsparse_direction_iiPKiS5_PT2_S5_PiS5_S8_21rocsparse_index_base_: ; @_ZN9rocsparseL26bsric0_2_8_unrolled_kernelILi9ELi32ELi3E21rocsparse_complex_numIdEEEv20rocsparse_direction_iiPKiS5_PT2_S5_PiS5_S8_21rocsparse_index_base_
; %bb.0:
	s_load_b256 s[4:11], s[0:1], 0x28
	s_bfe_u32 s2, ttmp6, 0x4000c
	s_and_b32 s3, ttmp6, 15
	s_add_co_i32 s2, s2, 1
	s_getreg_b32 s12, hwreg(HW_REG_IB_STS2, 6, 4)
	s_mul_i32 s2, ttmp9, s2
	v_and_b32_e32 v14, 0x3ff, v0
	s_add_co_i32 s3, s3, s2
	s_cmp_eq_u32 s12, 0
	v_bfe_u32 v15, v0, 10, 10
	s_cselect_b32 s2, ttmp9, s3
	s_wait_kmcnt 0x0
	s_load_b32 s16, s[8:9], s2 offset:0x0 scale_offset
	s_wait_kmcnt 0x0
	s_ashr_i32 s17, s16, 31
	s_delay_alu instid0(SALU_CYCLE_1) | instskip(NEXT) | instid1(SALU_CYCLE_1)
	s_lshl_b64 s[8:9], s[16:17], 2
	s_add_nc_u64 s[2:3], s[4:5], s[8:9]
	s_load_b32 s26, s[2:3], 0x0
	s_load_b32 s17, s[0:1], 0x48
	s_wait_kmcnt 0x0
	s_cmp_lg_u32 s26, -1
	s_cbranch_scc0 .LBB61_59
; %bb.1:
	s_clause 0x1
	s_load_b128 s[12:15], s[0:1], 0x10
	s_load_b64 s[18:19], s[0:1], 0x20
	v_mad_u32_u24 v16, v15, 3, v14
	v_mul_u32_u24_e32 v21, 3, v15
	s_wait_kmcnt 0x0
	s_add_nc_u64 s[2:3], s[12:13], s[8:9]
	s_load_b32 s3, s[2:3], 0x0
	s_wait_xcnt 0x0
	s_mov_b32 s2, exec_lo
	s_wait_kmcnt 0x0
	s_sub_co_i32 s27, s3, s17
	s_delay_alu instid0(SALU_CYCLE_1) | instskip(NEXT) | instid1(VALU_DEP_1)
	v_add_nc_u32_e32 v0, s27, v16
	v_cmpx_ge_i32_e64 s26, v0
	s_cbranch_execz .LBB61_14
; %bb.2:
	v_add_nc_u32_e32 v1, s3, v14
	s_add_co_i32 s20, s26, 1
	s_mov_b32 s21, -1
	s_delay_alu instid0(VALU_DEP_1) | instskip(NEXT) | instid1(VALU_DEP_1)
	v_add_nc_u32_e32 v2, v1, v21
	v_subrev_nc_u32_e32 v2, s17, v2
	s_delay_alu instid0(VALU_DEP_1) | instskip(SKIP_1) | instid1(VALU_DEP_1)
	v_add_max_i32_e64 v2, v2, 9, s20
	s_mov_b32 s20, exec_lo
	v_add_nc_u32_e32 v2, s17, v2
	s_delay_alu instid0(VALU_DEP_1) | instskip(NEXT) | instid1(VALU_DEP_1)
	v_sub_nc_u32_e32 v1, v2, v1
	v_add_nc_u32_e32 v1, -9, v1
	s_delay_alu instid0(VALU_DEP_1) | instskip(SKIP_1) | instid1(VALU_DEP_1)
	v_cmp_ne_u32_e32 vcc_lo, v1, v21
	v_add_co_ci_u32_e64 v2, null, 0, v21, vcc_lo
	v_sub_nc_u32_e32 v1, v1, v2
	s_delay_alu instid0(VALU_DEP_1) | instskip(NEXT) | instid1(VALU_DEP_1)
	v_mul_hi_u32 v1, 0x38e38e39, v1
	v_lshrrev_b32_e32 v1, 1, v1
	s_delay_alu instid0(VALU_DEP_1) | instskip(NEXT) | instid1(VALU_DEP_1)
	v_add_co_ci_u32_e64 v4, null, 0, v1, vcc_lo
	v_cmpx_ne_u32_e32 0, v4
	s_cbranch_execz .LBB61_11
; %bb.3:
	v_add_nc_u32_e32 v1, -1, v4
	s_mov_b32 s21, exec_lo
	s_delay_alu instid0(VALU_DEP_1) | instskip(NEXT) | instid1(VALU_DEP_1)
	v_dual_lshrrev_b32 v2, 1, v1 :: v_dual_add_nc_u32 v1, 9, v0
	v_add_nc_u32_e32 v5, 1, v2
	s_delay_alu instid0(VALU_DEP_2)
	v_mov_b64_e32 v[2:3], v[0:1]
	v_cmpx_lt_u32_e32 14, v4
	s_cbranch_execz .LBB61_7
; %bb.4:
	v_mov_b64_e32 v[2:3], v[0:1]
	v_and_b32_e32 v6, -8, v5
	s_mov_b32 s22, 0
.LBB61_5:                               ; =>This Inner Loop Header: Depth=1
	s_clause 0x1
	global_load_b32 v1, v2, s[14:15] scale_offset
	global_load_b32 v7, v3, s[14:15] scale_offset
	v_add_nc_u32_e32 v17, 0x48, v3
	v_dual_add_nc_u32 v12, 54, v3 :: v_dual_add_nc_u32 v13, 54, v2
	v_dual_add_nc_u32 v10, 36, v3 :: v_dual_add_nc_u32 v11, 36, v2
	;; [unrolled: 1-line block ×3, first 2 shown]
	v_add_nc_u32_e32 v18, 0x48, v2
	v_add_nc_u32_e32 v19, 0x5a, v3
	;; [unrolled: 1-line block ×7, first 2 shown]
	s_clause 0xd
	global_load_b32 v26, v17, s[14:15] scale_offset
	global_load_b32 v27, v12, s[14:15] scale_offset
	;; [unrolled: 1-line block ×14, first 2 shown]
	v_subrev_nc_u32_e32 v40, s27, v2
	v_subrev_nc_u32_e32 v41, s27, v3
	v_add_nc_u32_e32 v6, -8, v6
	s_wait_xcnt 0xa
	v_subrev_nc_u32_e32 v8, s27, v8
	s_wait_xcnt 0x9
	v_subrev_nc_u32_e32 v9, s27, v9
	v_dual_lshlrev_b32 v40, 2, v40 :: v_dual_lshlrev_b32 v41, 2, v41
	s_wait_xcnt 0x8
	v_subrev_nc_u32_e32 v11, s27, v11
	v_subrev_nc_u32_e32 v10, s27, v10
	v_cmp_eq_u32_e32 vcc_lo, 0, v6
	s_wait_xcnt 0x7
	v_subrev_nc_u32_e32 v13, s27, v13
	v_add_nc_u32_e32 v3, 0x90, v3
	v_subrev_nc_u32_e32 v12, s27, v12
	v_subrev_nc_u32_e32 v17, s27, v17
	s_wait_xcnt 0x6
	v_subrev_nc_u32_e32 v18, s27, v18
	s_wait_xcnt 0x3
	;; [unrolled: 2-line block ×3, first 2 shown]
	v_subrev_nc_u32_e32 v20, s27, v20
	v_subrev_nc_u32_e32 v22, s27, v22
	s_wait_xcnt 0x1
	v_subrev_nc_u32_e32 v23, s27, v23
	v_subrev_nc_u32_e32 v24, s27, v24
	s_wait_xcnt 0x0
	v_subrev_nc_u32_e32 v25, s27, v25
	v_add_nc_u32_e32 v2, 0x90, v2
	v_dual_lshlrev_b32 v9, 2, v9 :: v_dual_lshlrev_b32 v11, 2, v11
	v_dual_lshlrev_b32 v8, 2, v8 :: v_dual_lshlrev_b32 v10, 2, v10
	v_lshlrev_b32_e32 v13, 2, v13
	s_or_b32 s22, vcc_lo, s22
	v_dual_lshlrev_b32 v12, 2, v12 :: v_dual_lshlrev_b32 v18, 2, v18
	v_dual_lshlrev_b32 v17, 2, v17 :: v_dual_lshlrev_b32 v20, 2, v20
	;; [unrolled: 1-line block ×4, first 2 shown]
	v_lshlrev_b32_e32 v24, 2, v24
	s_wait_loadcnt 0xf
	v_subrev_nc_u32_e32 v1, s17, v1
	s_wait_loadcnt 0xe
	v_subrev_nc_u32_e32 v7, s17, v7
	ds_store_b32 v40, v1 offset:1024
	ds_store_b32 v41, v7 offset:1024
	s_wait_loadcnt 0xa
	v_subrev_nc_u32_e32 v1, s17, v29
	s_wait_loadcnt 0x9
	v_subrev_nc_u32_e32 v7, s17, v30
	;; [unrolled: 2-line block ×3, first 2 shown]
	v_subrev_nc_u32_e32 v28, s17, v28
	s_wait_loadcnt 0x7
	v_subrev_nc_u32_e32 v30, s17, v32
	v_subrev_nc_u32_e32 v27, s17, v27
	;; [unrolled: 1-line block ×3, first 2 shown]
	s_wait_loadcnt 0x6
	v_subrev_nc_u32_e32 v31, s17, v33
	s_wait_loadcnt 0x3
	v_subrev_nc_u32_e32 v32, s17, v36
	s_wait_loadcnt 0x2
	v_subrev_nc_u32_e32 v33, s17, v37
	v_subrev_nc_u32_e32 v35, s17, v35
	s_wait_loadcnt 0x1
	v_subrev_nc_u32_e32 v36, s17, v38
	v_subrev_nc_u32_e32 v34, s17, v34
	s_wait_loadcnt 0x0
	v_subrev_nc_u32_e32 v37, s17, v39
	ds_store_b32 v9, v7 offset:1024
	ds_store_b32 v8, v1 offset:1024
	;; [unrolled: 1-line block ×14, first 2 shown]
	s_and_not1_b32 exec_lo, exec_lo, s22
	s_cbranch_execnz .LBB61_5
; %bb.6:
	s_or_b32 exec_lo, exec_lo, s22
.LBB61_7:
	s_delay_alu instid0(SALU_CYCLE_1) | instskip(SKIP_3) | instid1(VALU_DEP_1)
	s_or_b32 exec_lo, exec_lo, s21
	v_and_b32_e32 v1, 7, v5
	s_mov_b32 s22, 0
	s_mov_b32 s21, exec_lo
	v_cmpx_ne_u32_e32 0, v1
	s_cbranch_execz .LBB61_10
; %bb.8:
	v_sub_nc_u32_e32 v1, 0, v1
.LBB61_9:                               ; =>This Inner Loop Header: Depth=1
	s_clause 0x1
	global_load_b32 v5, v3, s[14:15] scale_offset
	global_load_b32 v6, v2, s[14:15] scale_offset
	v_subrev_nc_u32_e32 v7, s27, v2
	v_subrev_nc_u32_e32 v8, s27, v3
	s_wait_xcnt 0x0
	v_dual_add_nc_u32 v3, 18, v3 :: v_dual_add_nc_u32 v2, 18, v2
	v_add_co_u32 v1, s23, v1, 1
	s_delay_alu instid0(VALU_DEP_3)
	v_dual_lshlrev_b32 v7, 2, v7 :: v_dual_lshlrev_b32 v8, 2, v8
	s_or_b32 s22, s23, s22
	s_wait_loadcnt 0x1
	v_subrev_nc_u32_e32 v5, s17, v5
	s_wait_loadcnt 0x0
	v_subrev_nc_u32_e32 v6, s17, v6
	ds_store_b32 v7, v6 offset:1024
	ds_store_b32 v8, v5 offset:1024
	s_and_not1_b32 exec_lo, exec_lo, s22
	s_cbranch_execnz .LBB61_9
.LBB61_10:
	s_or_b32 exec_lo, exec_lo, s21
	v_add_nc_u32_e32 v1, 1, v4
	s_delay_alu instid0(VALU_DEP_1) | instskip(NEXT) | instid1(VALU_DEP_1)
	v_and_b32_e32 v2, 0x7ffffffe, v1
	v_mad_u32 v0, v2, 9, v0
	v_cmp_ne_u32_e32 vcc_lo, v1, v2
	s_or_not1_b32 s21, vcc_lo, exec_lo
.LBB61_11:
	s_or_b32 exec_lo, exec_lo, s20
	s_delay_alu instid0(SALU_CYCLE_1)
	s_and_b32 exec_lo, exec_lo, s21
	s_cbranch_execz .LBB61_14
; %bb.12:
	s_delay_alu instid0(VALU_DEP_2) | instskip(NEXT) | instid1(VALU_DEP_1)
	v_add_nc_u32_e32 v1, s17, v0
	v_subrev_nc_u32_e32 v2, s3, v1
	v_ashrrev_i32_e32 v1, 31, v0
	s_mov_b32 s3, 0
	s_delay_alu instid0(VALU_DEP_2) | instskip(NEXT) | instid1(VALU_DEP_2)
	v_lshl_add_u32 v4, v2, 2, 0x400
	v_lshl_add_u64 v[2:3], v[0:1], 2, s[14:15]
.LBB61_13:                              ; =>This Inner Loop Header: Depth=1
	global_load_b32 v1, v[2:3], off
	v_add_nc_u32_e32 v0, 9, v0
	s_wait_xcnt 0x0
	v_add_nc_u64_e32 v[2:3], 36, v[2:3]
	s_delay_alu instid0(VALU_DEP_2)
	v_cmp_lt_i32_e32 vcc_lo, s26, v0
	s_or_b32 s3, vcc_lo, s3
	s_wait_loadcnt 0x0
	v_subrev_nc_u32_e32 v1, s17, v1
	ds_store_b32 v4, v1
	v_add_nc_u32_e32 v4, 36, v4
	s_and_not1_b32 exec_lo, exec_lo, s3
	s_cbranch_execnz .LBB61_13
.LBB61_14:
	s_or_b32 exec_lo, exec_lo, s2
	s_load_b32 s28, s[0:1], 0x0
	v_lshl_add_u32 v20, v15, 6, 0x240
	v_mov_b32_e32 v0, 0
	v_mad_u32_u24 v17, v14, 3, v15
	v_lshl_add_u32 v19, v14, 6, 0x180
	s_cmp_ge_i32 s27, s26
	v_lshl_add_u32 v18, v14, 4, v20
	v_dual_mov_b32 v1, v0 :: v_dual_mov_b32 v2, v0
	v_mov_b32_e32 v3, v0
	ds_store_b128 v18, v[0:3]
	s_wait_dscnt 0x0
	s_cbranch_scc1 .LBB61_53
; %bb.15:
	v_dual_lshlrev_b32 v2, 6, v15 :: v_dual_lshlrev_b32 v4, 4, v14
	s_wait_kmcnt 0x0
	s_cmp_lg_u32 s28, 0
	v_mad_u32_u24 v3, v14, 3, v15
	s_cselect_b32 s29, -1, 0
	s_cmp_eq_u32 s28, 0
	v_add_nc_u32_e32 v23, 0xc0, v2
	v_or_b32_e32 v5, v14, v15
	s_cselect_b32 vcc_lo, -1, 0
	v_dual_cndmask_b32 v27, v3, v16 :: v_dual_add_nc_u32 v22, 0x180, v2
	v_mul_u32_u24_e32 v1, 3, v14
	v_dual_add_nc_u32 v25, v2, v4 :: v_dual_add_nc_u32 v26, v23, v4
	s_delay_alu instid0(VALU_DEP_3)
	v_add_nc_u32_e32 v24, v22, v4
	v_cmp_ne_u32_e64 s0, 0, v5
	s_mov_b32 s2, s27
	s_branch .LBB61_19
.LBB61_16:                              ;   in Loop: Header=BB61_19 Depth=1
	s_wait_xcnt 0x0
	s_or_b32 exec_lo, exec_lo, s20
	v_mov_b64_e32 v[10:11], 0
	v_mov_b64_e32 v[8:9], 1.0
.LBB61_17:                              ;   in Loop: Header=BB61_19 Depth=1
	s_or_b32 exec_lo, exec_lo, s1
	s_delay_alu instid0(VALU_DEP_1)
	v_mul_f64_e32 v[12:13], v[10:11], v[10:11]
	ds_load_b128 v[28:31], v0 offset:128
	ds_load_b128 v[32:35], v23 offset:32
	ds_load_b128 v[36:39], v22
	ds_load_b128 v[40:43], v22 offset:16
	s_add_co_i32 s2, s2, 1
	s_delay_alu instid0(SALU_CYCLE_1)
	s_cmp_ge_i32 s2, s26
	s_cselect_b32 s23, -1, 0
	s_wait_dscnt 0x1
	v_fmac_f64_e32 v[34:35], v[30:31], v[36:37]
	v_fmac_f64_e32 v[32:33], v[28:29], v[36:37]
	;; [unrolled: 1-line block ×3, first 2 shown]
	s_delay_alu instid0(VALU_DEP_3) | instskip(NEXT) | instid1(VALU_DEP_3)
	v_fma_f64 v[34:35], v[28:29], -v[38:39], v[34:35]
	v_fmac_f64_e32 v[32:33], v[30:31], v[38:39]
	ds_load_b128 v[28:31], v0 offset:144
	v_div_scale_f64 v[44:45], null, v[12:13], v[12:13], 1.0
	v_div_scale_f64 v[38:39], vcc_lo, 1.0, v[12:13], 1.0
	s_wait_dscnt 0x0
	v_fmac_f64_e32 v[34:35], v[30:31], v[40:41]
	v_fmac_f64_e32 v[32:33], v[28:29], v[40:41]
	s_delay_alu instid0(VALU_DEP_4) | instskip(NEXT) | instid1(VALU_DEP_2)
	v_rcp_f64_e32 v[46:47], v[44:45]
	v_fma_f64 v[28:29], v[28:29], -v[42:43], v[34:35]
	s_delay_alu instid0(VALU_DEP_2) | instskip(NEXT) | instid1(TRANS32_DEP_1)
	v_fmac_f64_e32 v[32:33], v[30:31], v[42:43]
	v_fma_f64 v[48:49], -v[44:45], v[46:47], 1.0
	s_delay_alu instid0(VALU_DEP_3) | instskip(NEXT) | instid1(VALU_DEP_3)
	v_add_f64_e64 v[4:5], v[4:5], -v[28:29]
	v_add_f64_e64 v[2:3], v[2:3], -v[32:33]
	s_delay_alu instid0(VALU_DEP_3) | instskip(NEXT) | instid1(VALU_DEP_3)
	v_fmac_f64_e32 v[46:47], v[46:47], v[48:49]
	v_mul_f64_e32 v[30:31], v[10:11], v[4:5]
	s_delay_alu instid0(VALU_DEP_3) | instskip(NEXT) | instid1(VALU_DEP_3)
	v_mul_f64_e64 v[10:11], v[10:11], -v[2:3]
	v_fma_f64 v[36:37], -v[44:45], v[46:47], 1.0
	s_delay_alu instid0(VALU_DEP_3) | instskip(NEXT) | instid1(VALU_DEP_3)
	v_fmac_f64_e32 v[30:31], v[2:3], v[8:9]
	v_fmac_f64_e32 v[10:11], v[4:5], v[8:9]
	s_delay_alu instid0(VALU_DEP_3) | instskip(NEXT) | instid1(VALU_DEP_1)
	v_fmac_f64_e32 v[46:47], v[46:47], v[36:37]
	v_mul_f64_e32 v[34:35], v[38:39], v[46:47]
	s_delay_alu instid0(VALU_DEP_1) | instskip(NEXT) | instid1(VALU_DEP_1)
	v_fma_f64 v[28:29], -v[44:45], v[34:35], v[38:39]
	v_div_fmas_f64 v[28:29], v[28:29], v[46:47], v[34:35]
	s_delay_alu instid0(VALU_DEP_1) | instskip(NEXT) | instid1(VALU_DEP_1)
	v_div_fixup_f64 v[12:13], v[28:29], v[12:13], 1.0
	v_mul_f64_e32 v[2:3], v[12:13], v[30:31]
	v_mul_f64_e32 v[4:5], v[12:13], v[10:11]
	ds_store_b128 v22, v[2:5] offset:32
	s_wait_storecnt_dscnt 0x0
	ds_load_b128 v[8:11], v19 offset:32
	ds_load_b128 v[28:31], v18
	s_wait_dscnt 0x0
	v_fmac_f64_e32 v[28:29], v[2:3], v[8:9]
	v_fmac_f64_e32 v[30:31], v[4:5], v[8:9]
	s_delay_alu instid0(VALU_DEP_2) | instskip(NEXT) | instid1(VALU_DEP_2)
	v_fmac_f64_e32 v[28:29], v[4:5], v[10:11]
	v_fma_f64 v[30:31], v[2:3], -v[10:11], v[30:31]
	ds_store_b128 v18, v[28:31]
	s_wait_dscnt 0x0
	ds_load_2addr_b64 v[2:5], v24 offset1:1
	s_wait_dscnt 0x0
	global_store_b128 v[6:7], v[2:5], off
	global_wb scope:SCOPE_DEV
	s_wait_storecnt 0x0
	global_inv scope:SCOPE_DEV
.LBB61_18:                              ;   in Loop: Header=BB61_19 Depth=1
	s_and_b32 vcc_lo, exec_lo, s23
	s_cbranch_vccnz .LBB61_53
.LBB61_19:                              ; =>This Loop Header: Depth=1
                                        ;     Child Loop BB61_22 Depth 2
                                        ;     Child Loop BB61_33 Depth 2
	;; [unrolled: 1-line block ×3, first 2 shown]
	s_ashr_i32 s3, s2, 31
	s_delay_alu instid0(SALU_CYCLE_1) | instskip(NEXT) | instid1(SALU_CYCLE_1)
	s_lshl_b64 s[20:21], s[2:3], 2
	s_add_nc_u64 s[20:21], s[14:15], s[20:21]
	s_load_b32 s3, s[20:21], 0x0
	s_wait_kmcnt 0x0
	s_sub_co_i32 s22, s3, s17
	s_delay_alu instid0(SALU_CYCLE_1)
	s_ashr_i32 s23, s22, 31
	s_wait_xcnt 0x0
	s_lshl_b64 s[20:21], s[22:23], 2
	s_mov_b32 s23, -1
	s_add_nc_u64 s[24:25], s[4:5], s[20:21]
	s_load_b32 s1, s[24:25], 0x0
	s_wait_kmcnt 0x0
	s_cmp_eq_u32 s1, -1
	s_cbranch_scc1 .LBB61_18
; %bb.20:                               ;   in Loop: Header=BB61_19 Depth=1
	v_mad_u32 v2, s2, 9, v27
	s_wait_xcnt 0x0
	s_add_nc_u64 s[24:25], s[12:13], s[20:21]
	ds_load_b32 v3, v0 offset:1024
	s_load_b32 s23, s[24:25], 0x0
	global_load_b128 v[4:7], v2, s[18:19] scale_offset
	s_wait_dscnt 0x0
	v_cmp_ge_i32_e32 vcc_lo, s22, v3
	s_wait_kmcnt 0x0
	s_sub_co_i32 s24, s23, s17
	s_delay_alu instid0(SALU_CYCLE_1) | instskip(SKIP_1) | instid1(SALU_CYCLE_1)
	s_cmp_le_i32 s24, s1
	s_cselect_b32 s23, -1, 0
	s_and_b32 s23, s23, vcc_lo
	s_delay_alu instid0(SALU_CYCLE_1)
	s_and_not1_b32 vcc_lo, exec_lo, s23
	s_mov_b32 s23, 0
	s_wait_loadcnt 0x0
	ds_store_2addr_b64 v24, v[4:5], v[6:7] offset1:1
	s_cbranch_vccnz .LBB61_32
; %bb.21:                               ;   in Loop: Header=BB61_19 Depth=1
	s_mov_b32 s30, 0
	s_mov_b32 s31, 0
.LBB61_22:                              ;   Parent Loop BB61_19 Depth=1
                                        ; =>  This Inner Loop Header: Depth=2
	s_ashr_i32 s25, s24, 31
	s_lshl_b32 s23, s31, 2
	s_lshl_b64 s[34:35], s[24:25], 2
	v_mov_b32_e32 v3, s23
	s_add_nc_u64 s[34:35], s[14:15], s[34:35]
                                        ; implicit-def: $sgpr33
	s_load_b32 s23, s[34:35], 0x0
	s_wait_xcnt 0x0
	s_mov_b32 s35, -1
	ds_load_b32 v3, v3 offset:1024
                                        ; implicit-def: $sgpr34
	s_wait_kmcnt 0x0
	s_sub_co_i32 s36, s23, s17
                                        ; implicit-def: $sgpr23
	s_wait_dscnt 0x0
	v_readfirstlane_b32 s25, v3
	v_cmp_ge_i32_e32 vcc_lo, s36, v3
	s_cbranch_vccz .LBB61_28
; %bb.23:                               ;   in Loop: Header=BB61_22 Depth=2
	s_cmp_le_i32 s36, s25
                                        ; implicit-def: $sgpr23
                                        ; implicit-def: $sgpr34
                                        ; implicit-def: $sgpr33
	s_cbranch_scc0 .LBB61_25
; %bb.24:                               ;   in Loop: Header=BB61_22 Depth=2
	s_add_co_i32 s23, s31, s27
	s_lshl_b32 s33, s30, 2
	s_mul_i32 s23, s23, 9
	s_delay_alu instid0(SALU_CYCLE_1)
	v_dual_mov_b32 v3, s33 :: v_dual_mov_b32 v4, s23
	s_mul_i32 s33, s24, 9
	s_add_co_i32 s34, s24, 1
	v_mov_b32_e32 v5, s33
	s_add_co_i32 s33, s31, 1
	s_add_co_i32 s23, s30, 1
	s_mov_b32 s35, 0
	ds_store_2addr_b32 v3, v5, v4 offset0:192 offset1:224
.LBB61_25:                              ;   in Loop: Header=BB61_22 Depth=2
	s_and_not1_b32 vcc_lo, exec_lo, s35
	s_cbranch_vccnz .LBB61_27
; %bb.26:                               ;   in Loop: Header=BB61_22 Depth=2
	s_add_co_i32 s33, s31, 1
	s_mov_b32 s23, s30
	s_mov_b32 s34, s24
.LBB61_27:                              ;   in Loop: Header=BB61_22 Depth=2
	s_mov_b32 s35, 0
.LBB61_28:                              ;   in Loop: Header=BB61_22 Depth=2
	s_delay_alu instid0(SALU_CYCLE_1)
	s_and_not1_b32 vcc_lo, exec_lo, s35
	s_cbranch_vccnz .LBB61_30
; %bb.29:                               ;   in Loop: Header=BB61_22 Depth=2
	s_add_co_i32 s34, s24, 1
	s_mov_b32 s33, s31
	s_mov_b32 s23, s30
.LBB61_30:                              ;   in Loop: Header=BB61_22 Depth=2
	s_cmp_le_i32 s34, s1
	s_cselect_b32 s24, -1, 0
	s_cmp_le_i32 s25, s22
	s_cselect_b32 s25, -1, 0
	s_delay_alu instid0(SALU_CYCLE_1) | instskip(NEXT) | instid1(SALU_CYCLE_1)
	s_and_b32 s24, s24, s25
	s_and_b32 vcc_lo, exec_lo, s24
	s_cbranch_vccz .LBB61_32
; %bb.31:                               ;   in Loop: Header=BB61_22 Depth=2
	s_mov_b32 s30, s23
	s_mov_b32 s24, s34
	;; [unrolled: 1-line block ×3, first 2 shown]
	s_branch .LBB61_22
.LBB61_32:                              ;   in Loop: Header=BB61_19 Depth=1
	v_ashrrev_i32_e32 v3, 31, v2
	s_add_nc_u64 s[20:21], s[6:7], s[20:21]
	s_wait_dscnt 0x0
	s_delay_alu instid0(VALU_DEP_1)
	v_lshl_add_u64 v[6:7], v[2:3], 4, s[18:19]
.LBB61_33:                              ;   Parent Loop BB61_19 Depth=1
                                        ; =>  This Inner Loop Header: Depth=2
	global_load_b32 v2, v0, s[20:21] scope:SCOPE_DEV
	s_wait_loadcnt 0x0
	v_cmp_eq_u32_e32 vcc_lo, 0, v2
	s_cbranch_vccnz .LBB61_33
; %bb.34:                               ;   in Loop: Header=BB61_19 Depth=1
	v_mad_u32 v2, s1, 9, v27
	global_inv scope:SCOPE_DEV
	v_mov_b64_e32 v[4:5], 0
	s_cmp_lt_i32 s23, 2
	global_load_b128 v[8:11], v2, s[18:19] scale_offset
	s_wait_xcnt 0x0
	v_mov_b64_e32 v[2:3], 0
	s_wait_loadcnt 0x0
	ds_store_2addr_b64 v25, v[8:9], v[10:11] offset1:1
	s_wait_dscnt 0x0
	s_cbranch_scc1 .LBB61_42
; %bb.35:                               ;   in Loop: Header=BB61_19 Depth=1
	v_mov_b64_e32 v[10:11], 0
	v_mov_b64_e32 v[8:9], 0
	s_add_co_i32 s1, s23, -1
	s_movk_i32 s20, 0x300
.LBB61_36:                              ;   Parent Loop BB61_19 Depth=1
                                        ; =>  This Inner Loop Header: Depth=2
	s_delay_alu instid0(SALU_CYCLE_1)
	v_mov_b32_e32 v2, s20
	s_and_b32 vcc_lo, exec_lo, s29
	s_mov_b32 s21, -1
	s_wait_dscnt 0x0
	ds_load_2addr_b32 v[12:13], v2 offset1:32
                                        ; implicit-def: $vgpr4_vgpr5
	s_cbranch_vccz .LBB61_39
; %bb.37:                               ;   in Loop: Header=BB61_36 Depth=2
	s_wait_dscnt 0x0
	v_dual_add_nc_u32 v2, v12, v14 :: v_dual_add_nc_u32 v3, v13, v15
	s_clause 0x1
	global_load_b128 v[28:31], v2, s[18:19] scale_offset
	global_load_b128 v[32:35], v3, s[18:19] scale_offset
	v_dual_add_nc_u32 v4, 3, v2 :: v_dual_add_nc_u32 v5, 3, v3
	s_wait_xcnt 0x0
	v_dual_add_nc_u32 v2, 6, v2 :: v_dual_add_nc_u32 v3, 6, v3
	s_clause 0x3
	global_load_b128 v[36:39], v4, s[18:19] scale_offset
	global_load_b128 v[40:43], v5, s[18:19] scale_offset
	;; [unrolled: 1-line block ×4, first 2 shown]
	s_wait_loadcnt 0x4
	s_wait_xcnt 0x0
	v_fma_f64 v[2:3], v[28:29], v[32:33], v[8:9]
	v_fma_f64 v[4:5], v[30:31], v[32:33], v[10:11]
	s_delay_alu instid0(VALU_DEP_2) | instskip(NEXT) | instid1(VALU_DEP_2)
	v_fmac_f64_e32 v[2:3], v[30:31], v[34:35]
	v_fma_f64 v[4:5], v[28:29], -v[34:35], v[4:5]
	s_wait_loadcnt 0x2
	s_delay_alu instid0(VALU_DEP_2) | instskip(NEXT) | instid1(VALU_DEP_2)
	v_fmac_f64_e32 v[2:3], v[36:37], v[40:41]
	v_fmac_f64_e32 v[4:5], v[38:39], v[40:41]
	s_delay_alu instid0(VALU_DEP_2) | instskip(NEXT) | instid1(VALU_DEP_2)
	v_fmac_f64_e32 v[2:3], v[38:39], v[42:43]
	v_fma_f64 v[4:5], v[36:37], -v[42:43], v[4:5]
	s_wait_loadcnt 0x0
	s_delay_alu instid0(VALU_DEP_2) | instskip(NEXT) | instid1(VALU_DEP_2)
	v_fmac_f64_e32 v[2:3], v[44:45], v[48:49]
	v_fmac_f64_e32 v[4:5], v[46:47], v[48:49]
	s_delay_alu instid0(VALU_DEP_2) | instskip(NEXT) | instid1(VALU_DEP_2)
	v_fmac_f64_e32 v[2:3], v[46:47], v[50:51]
	v_fma_f64 v[4:5], v[44:45], -v[50:51], v[4:5]
	s_cbranch_execz .LBB61_40
.LBB61_38:                              ;   in Loop: Header=BB61_36 Depth=2
	s_add_co_i32 s1, s1, -1
	s_add_co_i32 s20, s20, 4
	s_cmp_eq_u32 s1, 0
	s_cbranch_scc0 .LBB61_41
	s_branch .LBB61_42
.LBB61_39:                              ;   in Loop: Header=BB61_36 Depth=2
	s_and_not1_b32 vcc_lo, exec_lo, s21
	s_cbranch_vccnz .LBB61_38
.LBB61_40:                              ;   in Loop: Header=BB61_36 Depth=2
	s_wait_dscnt 0x0
	v_add_nc_u32_e32 v13, v13, v21
	v_add_nc_u32_e32 v12, v12, v1
	s_clause 0x5
	global_load_b128 v[2:5], v13, s[18:19] scale_offset
	global_load_b128 v[28:31], v12, s[18:19] scale_offset
	global_load_b128 v[32:35], v12, s[18:19] offset:16 scale_offset
	global_load_b128 v[36:39], v13, s[18:19] offset:16 scale_offset
	;; [unrolled: 1-line block ×4, first 2 shown]
	s_wait_loadcnt 0x4
	v_fmac_f64_e32 v[8:9], v[28:29], v[2:3]
	v_fmac_f64_e32 v[10:11], v[30:31], v[2:3]
	s_delay_alu instid0(VALU_DEP_2) | instskip(NEXT) | instid1(VALU_DEP_2)
	v_fmac_f64_e32 v[8:9], v[30:31], v[4:5]
	v_fma_f64 v[2:3], v[28:29], -v[4:5], v[10:11]
	s_wait_loadcnt 0x2
	s_delay_alu instid0(VALU_DEP_2) | instskip(NEXT) | instid1(VALU_DEP_2)
	v_fmac_f64_e32 v[8:9], v[32:33], v[36:37]
	v_fmac_f64_e32 v[2:3], v[34:35], v[36:37]
	s_delay_alu instid0(VALU_DEP_2) | instskip(NEXT) | instid1(VALU_DEP_2)
	v_fmac_f64_e32 v[8:9], v[34:35], v[38:39]
	v_fma_f64 v[2:3], v[32:33], -v[38:39], v[2:3]
	s_wait_loadcnt 0x0
	s_delay_alu instid0(VALU_DEP_2) | instskip(NEXT) | instid1(VALU_DEP_2)
	v_fmac_f64_e32 v[8:9], v[40:41], v[44:45]
	v_fmac_f64_e32 v[2:3], v[42:43], v[44:45]
	s_delay_alu instid0(VALU_DEP_2) | instskip(NEXT) | instid1(VALU_DEP_2)
	v_fmac_f64_e32 v[8:9], v[42:43], v[46:47]
	v_fma_f64 v[4:5], v[40:41], -v[46:47], v[2:3]
	s_delay_alu instid0(VALU_DEP_2)
	v_mov_b64_e32 v[2:3], v[8:9]
	s_add_co_i32 s1, s1, -1
	s_add_co_i32 s20, s20, 4
	s_cmp_eq_u32 s1, 0
	s_cbranch_scc1 .LBB61_42
.LBB61_41:                              ;   in Loop: Header=BB61_36 Depth=2
	s_delay_alu instid0(VALU_DEP_1) | instskip(NEXT) | instid1(VALU_DEP_2)
	v_mov_b64_e32 v[10:11], v[4:5]
	v_mov_b64_e32 v[8:9], v[2:3]
	s_branch .LBB61_36
.LBB61_42:                              ;   in Loop: Header=BB61_19 Depth=1
	ds_store_b128 v26, v[2:5]
	s_wait_dscnt 0x0
	ds_load_b128 v[8:11], v0
	ds_load_b128 v[2:5], v22
	s_wait_dscnt 0x1
	v_cmp_neq_f64_e32 vcc_lo, 0, v[8:9]
	v_cmp_neq_f64_e64 s1, 0, v[10:11]
	s_or_b32 vcc_lo, vcc_lo, s1
	v_cndmask_b32_e32 v9, 0x3ff00000, v9, vcc_lo
	v_dual_cndmask_b32 v8, 0, v8 :: v_dual_cndmask_b32 v11, 0, v11
	v_cndmask_b32_e32 v10, 0, v10, vcc_lo
	s_nor_b32 s20, vcc_lo, s0
	s_delay_alu instid0(SALU_CYCLE_1)
	s_and_saveexec_b32 s1, s20
	s_cbranch_execz .LBB61_46
; %bb.43:                               ;   in Loop: Header=BB61_19 Depth=1
	v_mbcnt_lo_u32_b32 v8, exec_lo, 0
	s_mov_b32 s20, exec_lo
	s_delay_alu instid0(VALU_DEP_1)
	v_cmpx_eq_u32_e32 0, v8
	s_cbranch_execz .LBB61_45
; %bb.44:                               ;   in Loop: Header=BB61_19 Depth=1
	v_mov_b32_e32 v8, s3
	global_atomic_min_i32 v0, v8, s[10:11] scope:SCOPE_DEV
.LBB61_45:                              ;   in Loop: Header=BB61_19 Depth=1
	s_wait_xcnt 0x0
	s_or_b32 exec_lo, exec_lo, s20
	v_mov_b64_e32 v[10:11], 0
	v_mov_b64_e32 v[8:9], 1.0
.LBB61_46:                              ;   in Loop: Header=BB61_19 Depth=1
	s_or_b32 exec_lo, exec_lo, s1
	s_delay_alu instid0(VALU_DEP_1) | instskip(NEXT) | instid1(VALU_DEP_1)
	v_mul_f64_e32 v[12:13], v[10:11], v[10:11]
	v_fmac_f64_e32 v[12:13], v[8:9], v[8:9]
	s_delay_alu instid0(VALU_DEP_1) | instskip(SKIP_1) | instid1(VALU_DEP_2)
	v_div_scale_f64 v[32:33], null, v[12:13], v[12:13], 1.0
	v_div_scale_f64 v[36:37], vcc_lo, 1.0, v[12:13], 1.0
	v_rcp_f64_e32 v[34:35], v[32:33]
	v_nop
	s_delay_alu instid0(TRANS32_DEP_1) | instskip(NEXT) | instid1(VALU_DEP_1)
	v_fma_f64 v[28:29], -v[32:33], v[34:35], 1.0
	v_fmac_f64_e32 v[34:35], v[34:35], v[28:29]
	s_delay_alu instid0(VALU_DEP_1) | instskip(NEXT) | instid1(VALU_DEP_1)
	v_fma_f64 v[28:29], -v[32:33], v[34:35], 1.0
	v_fmac_f64_e32 v[34:35], v[34:35], v[28:29]
	ds_load_b128 v[28:31], v23
	s_wait_dscnt 0x0
	v_add_f64_e64 v[4:5], v[4:5], -v[30:31]
	v_add_f64_e64 v[2:3], v[2:3], -v[28:29]
	v_mul_f64_e32 v[38:39], v[36:37], v[34:35]
	s_delay_alu instid0(VALU_DEP_3) | instskip(NEXT) | instid1(VALU_DEP_3)
	v_mul_f64_e32 v[28:29], v[10:11], v[4:5]
	v_mul_f64_e64 v[10:11], v[10:11], -v[2:3]
	s_delay_alu instid0(VALU_DEP_3) | instskip(NEXT) | instid1(VALU_DEP_3)
	v_fma_f64 v[30:31], -v[32:33], v[38:39], v[36:37]
	v_fmac_f64_e32 v[28:29], v[2:3], v[8:9]
	s_delay_alu instid0(VALU_DEP_3) | instskip(NEXT) | instid1(VALU_DEP_3)
	v_fmac_f64_e32 v[10:11], v[4:5], v[8:9]
	v_div_fmas_f64 v[30:31], v[30:31], v[34:35], v[38:39]
	s_delay_alu instid0(VALU_DEP_1) | instskip(NEXT) | instid1(VALU_DEP_1)
	v_div_fixup_f64 v[12:13], v[30:31], v[12:13], 1.0
	v_mul_f64_e32 v[2:3], v[12:13], v[28:29]
	s_delay_alu instid0(VALU_DEP_4)
	v_mul_f64_e32 v[4:5], v[12:13], v[10:11]
	ds_store_b128 v22, v[2:5]
	s_wait_storecnt_dscnt 0x0
	ds_load_b128 v[8:11], v19
	ds_load_b128 v[28:31], v18
	s_wait_dscnt 0x0
	v_fmac_f64_e32 v[28:29], v[2:3], v[8:9]
	v_fmac_f64_e32 v[30:31], v[4:5], v[8:9]
	s_delay_alu instid0(VALU_DEP_2) | instskip(NEXT) | instid1(VALU_DEP_2)
	v_fmac_f64_e32 v[28:29], v[4:5], v[10:11]
	v_fma_f64 v[30:31], v[2:3], -v[10:11], v[30:31]
	ds_store_b128 v18, v[28:31]
	s_wait_dscnt 0x0
	ds_load_b128 v[8:11], v0 offset:80
	ds_load_b128 v[2:5], v22 offset:16
	s_wait_dscnt 0x1
	v_cmp_neq_f64_e32 vcc_lo, 0, v[8:9]
	v_cmp_neq_f64_e64 s1, 0, v[10:11]
	s_or_b32 vcc_lo, vcc_lo, s1
	v_cndmask_b32_e32 v9, 0x3ff00000, v9, vcc_lo
	v_dual_cndmask_b32 v8, 0, v8 :: v_dual_cndmask_b32 v11, 0, v11
	v_cndmask_b32_e32 v10, 0, v10, vcc_lo
	s_nor_b32 s20, vcc_lo, s0
	s_delay_alu instid0(SALU_CYCLE_1)
	s_and_saveexec_b32 s1, s20
	s_cbranch_execz .LBB61_50
; %bb.47:                               ;   in Loop: Header=BB61_19 Depth=1
	v_mbcnt_lo_u32_b32 v8, exec_lo, 0
	s_mov_b32 s20, exec_lo
	s_delay_alu instid0(VALU_DEP_1)
	v_cmpx_eq_u32_e32 0, v8
	s_cbranch_execz .LBB61_49
; %bb.48:                               ;   in Loop: Header=BB61_19 Depth=1
	v_mov_b32_e32 v8, s3
	global_atomic_min_i32 v0, v8, s[10:11] scope:SCOPE_DEV
.LBB61_49:                              ;   in Loop: Header=BB61_19 Depth=1
	s_wait_xcnt 0x0
	s_or_b32 exec_lo, exec_lo, s20
	v_mov_b64_e32 v[10:11], 0
	v_mov_b64_e32 v[8:9], 1.0
.LBB61_50:                              ;   in Loop: Header=BB61_19 Depth=1
	s_or_b32 exec_lo, exec_lo, s1
	s_delay_alu instid0(VALU_DEP_1) | instskip(NEXT) | instid1(VALU_DEP_1)
	v_mul_f64_e32 v[12:13], v[10:11], v[10:11]
	v_fmac_f64_e32 v[12:13], v[8:9], v[8:9]
	s_delay_alu instid0(VALU_DEP_1) | instskip(SKIP_1) | instid1(VALU_DEP_2)
	v_div_scale_f64 v[40:41], null, v[12:13], v[12:13], 1.0
	v_div_scale_f64 v[46:47], vcc_lo, 1.0, v[12:13], 1.0
	v_rcp_f64_e32 v[42:43], v[40:41]
	v_nop
	s_delay_alu instid0(TRANS32_DEP_1) | instskip(NEXT) | instid1(VALU_DEP_1)
	v_fma_f64 v[28:29], -v[40:41], v[42:43], 1.0
	v_fmac_f64_e32 v[42:43], v[42:43], v[28:29]
	ds_load_b128 v[28:31], v0 offset:64
	ds_load_b128 v[32:35], v22
	ds_load_b128 v[36:39], v23 offset:16
	s_wait_dscnt 0x0
	v_fmac_f64_e32 v[38:39], v[30:31], v[32:33]
	v_fmac_f64_e32 v[36:37], v[28:29], v[32:33]
	v_fma_f64 v[44:45], -v[40:41], v[42:43], 1.0
	s_delay_alu instid0(VALU_DEP_3) | instskip(NEXT) | instid1(VALU_DEP_3)
	v_fma_f64 v[28:29], v[28:29], -v[34:35], v[38:39]
	v_fmac_f64_e32 v[36:37], v[30:31], v[34:35]
	s_delay_alu instid0(VALU_DEP_3) | instskip(NEXT) | instid1(VALU_DEP_3)
	v_fmac_f64_e32 v[42:43], v[42:43], v[44:45]
	v_add_f64_e64 v[4:5], v[4:5], -v[28:29]
	s_delay_alu instid0(VALU_DEP_3) | instskip(NEXT) | instid1(VALU_DEP_3)
	v_add_f64_e64 v[2:3], v[2:3], -v[36:37]
	v_mul_f64_e32 v[32:33], v[46:47], v[42:43]
	s_delay_alu instid0(VALU_DEP_3) | instskip(NEXT) | instid1(VALU_DEP_3)
	v_mul_f64_e32 v[30:31], v[10:11], v[4:5]
	v_mul_f64_e64 v[10:11], v[10:11], -v[2:3]
	s_delay_alu instid0(VALU_DEP_3) | instskip(NEXT) | instid1(VALU_DEP_3)
	v_fma_f64 v[28:29], -v[40:41], v[32:33], v[46:47]
	v_fmac_f64_e32 v[30:31], v[2:3], v[8:9]
	s_delay_alu instid0(VALU_DEP_3) | instskip(NEXT) | instid1(VALU_DEP_3)
	v_fmac_f64_e32 v[10:11], v[4:5], v[8:9]
	v_div_fmas_f64 v[28:29], v[28:29], v[42:43], v[32:33]
	s_delay_alu instid0(VALU_DEP_1) | instskip(NEXT) | instid1(VALU_DEP_1)
	v_div_fixup_f64 v[12:13], v[28:29], v[12:13], 1.0
	v_mul_f64_e32 v[2:3], v[12:13], v[30:31]
	s_delay_alu instid0(VALU_DEP_4)
	v_mul_f64_e32 v[4:5], v[12:13], v[10:11]
	ds_store_b128 v22, v[2:5] offset:16
	s_wait_storecnt_dscnt 0x0
	ds_load_b128 v[8:11], v19 offset:16
	ds_load_b128 v[28:31], v18
	s_wait_dscnt 0x0
	v_fmac_f64_e32 v[28:29], v[2:3], v[8:9]
	v_fmac_f64_e32 v[30:31], v[4:5], v[8:9]
	s_delay_alu instid0(VALU_DEP_2) | instskip(NEXT) | instid1(VALU_DEP_2)
	v_fmac_f64_e32 v[28:29], v[4:5], v[10:11]
	v_fma_f64 v[30:31], v[2:3], -v[10:11], v[30:31]
	ds_store_b128 v18, v[28:31]
	s_wait_dscnt 0x0
	ds_load_b128 v[8:11], v0 offset:160
	ds_load_b128 v[2:5], v22 offset:32
	s_wait_dscnt 0x1
	v_cmp_neq_f64_e32 vcc_lo, 0, v[8:9]
	v_cmp_neq_f64_e64 s1, 0, v[10:11]
	s_or_b32 vcc_lo, vcc_lo, s1
	v_cndmask_b32_e32 v9, 0x3ff00000, v9, vcc_lo
	v_dual_cndmask_b32 v8, 0, v8 :: v_dual_cndmask_b32 v11, 0, v11
	v_cndmask_b32_e32 v10, 0, v10, vcc_lo
	s_nor_b32 s20, vcc_lo, s0
	s_delay_alu instid0(SALU_CYCLE_1)
	s_and_saveexec_b32 s1, s20
	s_cbranch_execz .LBB61_17
; %bb.51:                               ;   in Loop: Header=BB61_19 Depth=1
	v_mbcnt_lo_u32_b32 v8, exec_lo, 0
	s_mov_b32 s20, exec_lo
	s_delay_alu instid0(VALU_DEP_1)
	v_cmpx_eq_u32_e32 0, v8
	s_cbranch_execz .LBB61_16
; %bb.52:                               ;   in Loop: Header=BB61_19 Depth=1
	v_mov_b32_e32 v8, s3
	global_atomic_min_i32 v0, v8, s[10:11] scope:SCOPE_DEV
	s_branch .LBB61_16
.LBB61_53:
	v_mov_b32_e32 v0, v16
	s_wait_kmcnt 0x0
	s_cmp_lg_u32 s28, 0
	s_cselect_b32 s3, -1, 0
	s_cmp_eq_u32 s28, 0
	s_cbranch_scc1 .LBB61_55
; %bb.54:
	v_mad_u32_u24 v0, v14, 3, v15
.LBB61_55:
	s_mul_i32 s26, s26, 9
	s_wait_xcnt 0x0
	v_lshl_add_u32 v7, v15, 6, 0x180
	s_delay_alu instid0(VALU_DEP_2)
	v_add_nc_u32_e32 v0, s26, v0
	v_cmp_ne_u32_e64 s1, 0, v15
	s_mov_b32 s0, exec_lo
	v_lshl_add_u32 v6, v14, 4, v7
	global_load_b128 v[0:3], v0, s[18:19] scale_offset
	s_wait_loadcnt 0x0
	ds_store_2addr_b64 v6, v[0:1], v[2:3] offset1:1
	s_wait_dscnt 0x0
	s_wait_xcnt 0x0
	v_cmpx_eq_u32_e32 0, v15
	s_cbranch_execz .LBB61_64
; %bb.56:
	v_mov_b32_e32 v4, 0
	ds_load_b128 v[0:3], v4 offset:576
	ds_load_b128 v[8:11], v4 offset:384
	s_wait_dscnt 0x0
	v_add_f64_e64 v[0:1], v[8:9], -v[0:1]
	v_add_f64_e64 v[4:5], v[10:11], -v[2:3]
	s_delay_alu instid0(VALU_DEP_2) | instskip(SKIP_1) | instid1(VALU_DEP_3)
	v_cmp_gt_f64_e32 vcc_lo, 0, v[0:1]
	v_xor_b32_e32 v2, 0x80000000, v1
	v_xor_b32_e32 v3, 0x80000000, v5
	s_delay_alu instid0(VALU_DEP_2) | instskip(SKIP_1) | instid1(VALU_DEP_3)
	v_dual_cndmask_b32 v1, v1, v2 :: v_dual_mov_b32 v2, v4
	v_cmp_gt_f64_e32 vcc_lo, 0, v[4:5]
	v_cndmask_b32_e32 v3, v5, v3, vcc_lo
	s_delay_alu instid0(VALU_DEP_1)
	v_cmp_ngt_f64_e32 vcc_lo, v[0:1], v[2:3]
	s_cbranch_vccz .LBB61_61
; %bb.57:
	v_cmp_eq_f64_e32 vcc_lo, 0, v[4:5]
	s_cbranch_vccnz .LBB61_105
; %bb.58:
	v_div_scale_f64 v[4:5], null, v[2:3], v[2:3], v[0:1]
	v_div_scale_f64 v[12:13], vcc_lo, v[0:1], v[2:3], v[0:1]
	s_delay_alu instid0(VALU_DEP_2) | instskip(SKIP_1) | instid1(TRANS32_DEP_1)
	v_rcp_f64_e32 v[8:9], v[4:5]
	v_nop
	v_fma_f64 v[10:11], -v[4:5], v[8:9], 1.0
	s_delay_alu instid0(VALU_DEP_1) | instskip(NEXT) | instid1(VALU_DEP_1)
	v_fmac_f64_e32 v[8:9], v[8:9], v[10:11]
	v_fma_f64 v[10:11], -v[4:5], v[8:9], 1.0
	s_delay_alu instid0(VALU_DEP_1) | instskip(NEXT) | instid1(VALU_DEP_1)
	v_fmac_f64_e32 v[8:9], v[8:9], v[10:11]
	v_mul_f64_e32 v[10:11], v[12:13], v[8:9]
	s_delay_alu instid0(VALU_DEP_1) | instskip(NEXT) | instid1(VALU_DEP_1)
	v_fma_f64 v[4:5], -v[4:5], v[10:11], v[12:13]
	v_div_fmas_f64 v[4:5], v[4:5], v[8:9], v[10:11]
	s_delay_alu instid0(VALU_DEP_1) | instskip(NEXT) | instid1(VALU_DEP_1)
	v_div_fixup_f64 v[4:5], v[4:5], v[2:3], v[0:1]
	v_fma_f64 v[4:5], v[4:5], v[4:5], 1.0
	s_delay_alu instid0(VALU_DEP_1) | instskip(SKIP_2) | instid1(SALU_CYCLE_1)
	v_cmp_gt_f64_e32 vcc_lo, 0x10000000, v[4:5]
	s_and_b32 s2, vcc_lo, exec_lo
	s_cselect_b32 s2, 0x100, 0
	v_ldexp_f64 v[4:5], v[4:5], s2
	s_cselect_b32 s2, 0xffffff80, 0
	s_delay_alu instid0(VALU_DEP_1) | instskip(SKIP_1) | instid1(TRANS32_DEP_1)
	v_rsq_f64_e32 v[8:9], v[4:5]
	v_cmp_class_f64_e64 vcc_lo, v[4:5], 0x260
	v_mul_f64_e32 v[10:11], v[4:5], v[8:9]
	v_mul_f64_e32 v[8:9], 0.5, v[8:9]
	s_delay_alu instid0(VALU_DEP_1) | instskip(NEXT) | instid1(VALU_DEP_1)
	v_fma_f64 v[12:13], -v[8:9], v[10:11], 0.5
	v_fmac_f64_e32 v[10:11], v[10:11], v[12:13]
	v_fmac_f64_e32 v[8:9], v[8:9], v[12:13]
	s_delay_alu instid0(VALU_DEP_2) | instskip(NEXT) | instid1(VALU_DEP_1)
	v_fma_f64 v[12:13], -v[10:11], v[10:11], v[4:5]
	v_fmac_f64_e32 v[10:11], v[12:13], v[8:9]
	s_delay_alu instid0(VALU_DEP_1) | instskip(NEXT) | instid1(VALU_DEP_1)
	v_fma_f64 v[12:13], -v[10:11], v[10:11], v[4:5]
	v_fmac_f64_e32 v[10:11], v[12:13], v[8:9]
	s_delay_alu instid0(VALU_DEP_1) | instskip(NEXT) | instid1(VALU_DEP_1)
	v_ldexp_f64 v[8:9], v[10:11], s2
	v_dual_cndmask_b32 v5, v9, v5 :: v_dual_cndmask_b32 v4, v8, v4
	s_delay_alu instid0(VALU_DEP_1)
	v_mul_f64_e32 v[4:5], v[2:3], v[4:5]
	s_cbranch_execz .LBB61_62
	s_branch .LBB61_63
.LBB61_59:
	s_cbranch_execnz .LBB61_101
.LBB61_60:
	s_endpgm
.LBB61_61:
                                        ; implicit-def: $vgpr4_vgpr5
.LBB61_62:
	v_div_scale_f64 v[4:5], null, v[0:1], v[0:1], v[2:3]
	v_div_scale_f64 v[12:13], vcc_lo, v[2:3], v[0:1], v[2:3]
	s_delay_alu instid0(VALU_DEP_2) | instskip(SKIP_1) | instid1(TRANS32_DEP_1)
	v_rcp_f64_e32 v[8:9], v[4:5]
	v_nop
	v_fma_f64 v[10:11], -v[4:5], v[8:9], 1.0
	s_delay_alu instid0(VALU_DEP_1) | instskip(NEXT) | instid1(VALU_DEP_1)
	v_fmac_f64_e32 v[8:9], v[8:9], v[10:11]
	v_fma_f64 v[10:11], -v[4:5], v[8:9], 1.0
	s_delay_alu instid0(VALU_DEP_1) | instskip(NEXT) | instid1(VALU_DEP_1)
	v_fmac_f64_e32 v[8:9], v[8:9], v[10:11]
	v_mul_f64_e32 v[10:11], v[12:13], v[8:9]
	s_delay_alu instid0(VALU_DEP_1) | instskip(NEXT) | instid1(VALU_DEP_1)
	v_fma_f64 v[4:5], -v[4:5], v[10:11], v[12:13]
	v_div_fmas_f64 v[4:5], v[4:5], v[8:9], v[10:11]
	s_delay_alu instid0(VALU_DEP_1) | instskip(NEXT) | instid1(VALU_DEP_1)
	v_div_fixup_f64 v[2:3], v[4:5], v[0:1], v[2:3]
	v_fma_f64 v[2:3], v[2:3], v[2:3], 1.0
	s_delay_alu instid0(VALU_DEP_1) | instskip(SKIP_2) | instid1(SALU_CYCLE_1)
	v_cmp_gt_f64_e32 vcc_lo, 0x10000000, v[2:3]
	s_and_b32 s2, vcc_lo, exec_lo
	s_cselect_b32 s2, 0x100, 0
	v_ldexp_f64 v[2:3], v[2:3], s2
	s_cselect_b32 s2, 0xffffff80, 0
	s_delay_alu instid0(VALU_DEP_1) | instskip(SKIP_1) | instid1(TRANS32_DEP_1)
	v_rsq_f64_e32 v[4:5], v[2:3]
	v_cmp_class_f64_e64 vcc_lo, v[2:3], 0x260
	v_mul_f64_e32 v[8:9], v[2:3], v[4:5]
	v_mul_f64_e32 v[4:5], 0.5, v[4:5]
	s_delay_alu instid0(VALU_DEP_1) | instskip(NEXT) | instid1(VALU_DEP_1)
	v_fma_f64 v[10:11], -v[4:5], v[8:9], 0.5
	v_fmac_f64_e32 v[8:9], v[8:9], v[10:11]
	v_fmac_f64_e32 v[4:5], v[4:5], v[10:11]
	s_delay_alu instid0(VALU_DEP_2) | instskip(NEXT) | instid1(VALU_DEP_1)
	v_fma_f64 v[10:11], -v[8:9], v[8:9], v[2:3]
	v_fmac_f64_e32 v[8:9], v[10:11], v[4:5]
	s_delay_alu instid0(VALU_DEP_1) | instskip(NEXT) | instid1(VALU_DEP_1)
	v_fma_f64 v[10:11], -v[8:9], v[8:9], v[2:3]
	v_fmac_f64_e32 v[8:9], v[10:11], v[4:5]
	s_delay_alu instid0(VALU_DEP_1) | instskip(NEXT) | instid1(VALU_DEP_1)
	v_ldexp_f64 v[4:5], v[8:9], s2
	v_dual_cndmask_b32 v3, v5, v3 :: v_dual_cndmask_b32 v2, v4, v2
	s_delay_alu instid0(VALU_DEP_1)
	v_mul_f64_e32 v[4:5], v[0:1], v[2:3]
.LBB61_63:
	s_delay_alu instid0(VALU_DEP_1) | instskip(SKIP_2) | instid1(SALU_CYCLE_1)
	v_cmp_gt_f64_e32 vcc_lo, 0x10000000, v[4:5]
	s_and_b32 s2, vcc_lo, exec_lo
	s_cselect_b32 s2, 0x100, 0
	v_ldexp_f64 v[0:1], v[4:5], s2
	s_cselect_b32 s2, 0xffffff80, 0
	s_delay_alu instid0(VALU_DEP_1) | instskip(SKIP_1) | instid1(TRANS32_DEP_1)
	v_rsq_f64_e32 v[2:3], v[0:1]
	v_cmp_class_f64_e64 vcc_lo, v[0:1], 0x260
	v_mul_f64_e32 v[4:5], v[0:1], v[2:3]
	v_mul_f64_e32 v[2:3], 0.5, v[2:3]
	s_delay_alu instid0(VALU_DEP_1) | instskip(NEXT) | instid1(VALU_DEP_1)
	v_fma_f64 v[8:9], -v[2:3], v[4:5], 0.5
	v_fmac_f64_e32 v[4:5], v[4:5], v[8:9]
	v_fmac_f64_e32 v[2:3], v[2:3], v[8:9]
	s_delay_alu instid0(VALU_DEP_2) | instskip(NEXT) | instid1(VALU_DEP_1)
	v_fma_f64 v[8:9], -v[4:5], v[4:5], v[0:1]
	v_fmac_f64_e32 v[4:5], v[8:9], v[2:3]
	s_delay_alu instid0(VALU_DEP_1) | instskip(NEXT) | instid1(VALU_DEP_1)
	v_fma_f64 v[8:9], -v[4:5], v[4:5], v[0:1]
	v_fmac_f64_e32 v[4:5], v[8:9], v[2:3]
	v_mov_b32_e32 v2, 0
	s_delay_alu instid0(VALU_DEP_1) | instskip(NEXT) | instid1(VALU_DEP_3)
	v_mov_b32_e32 v3, v2
	v_ldexp_f64 v[4:5], v[4:5], s2
	s_delay_alu instid0(VALU_DEP_1)
	v_dual_cndmask_b32 v1, v5, v1 :: v_dual_cndmask_b32 v0, v4, v0
	ds_store_b128 v2, v[0:3] offset:384
.LBB61_64:
	s_or_b32 exec_lo, exec_lo, s0
	v_dual_mov_b32 v0, 0 :: v_dual_bitop2_b32 v8, v14, v15 bitop3:0x54
	s_wait_dscnt 0x0
	ds_load_b128 v[0:3], v0 offset:384
	v_cmp_ne_u32_e64 s0, 0, v8
	s_wait_dscnt 0x0
	v_cmp_neq_f64_e32 vcc_lo, 0, v[0:1]
	v_cmp_neq_f64_e64 s2, 0, v[2:3]
	s_or_b32 vcc_lo, vcc_lo, s2
	s_add_co_i32 s2, s16, s17
	v_cndmask_b32_e32 v1, 0x3ff00000, v1, vcc_lo
	v_dual_cndmask_b32 v0, 0, v0 :: v_dual_cndmask_b32 v3, 0, v3
	v_cndmask_b32_e32 v2, 0, v2, vcc_lo
	s_nor_b32 s5, vcc_lo, s0
	s_delay_alu instid0(SALU_CYCLE_1)
	s_and_saveexec_b32 s4, s5
	s_cbranch_execz .LBB61_68
; %bb.65:
	v_mbcnt_lo_u32_b32 v0, exec_lo, 0
	s_mov_b32 s5, exec_lo
	s_delay_alu instid0(VALU_DEP_1)
	v_cmpx_eq_u32_e32 0, v0
	s_cbranch_execz .LBB61_67
; %bb.66:
	v_dual_mov_b32 v0, 0 :: v_dual_mov_b32 v1, s2
	global_atomic_min_i32 v0, v1, s[10:11] scope:SCOPE_DEV
.LBB61_67:
	s_wait_xcnt 0x0
	s_or_b32 exec_lo, exec_lo, s5
	v_mov_b64_e32 v[2:3], 0
	v_mov_b64_e32 v[0:1], 1.0
.LBB61_68:
	s_or_b32 exec_lo, exec_lo, s4
	s_and_saveexec_b32 s4, s1
	s_cbranch_execz .LBB61_70
; %bb.69:
	s_delay_alu instid0(VALU_DEP_1) | instskip(NEXT) | instid1(VALU_DEP_1)
	v_mul_f64_e32 v[4:5], v[2:3], v[2:3]
	v_fmac_f64_e32 v[4:5], v[0:1], v[0:1]
	s_delay_alu instid0(VALU_DEP_1) | instskip(SKIP_1) | instid1(VALU_DEP_2)
	v_div_scale_f64 v[26:27], null, v[4:5], v[4:5], 1.0
	v_div_scale_f64 v[30:31], vcc_lo, 1.0, v[4:5], 1.0
	v_rcp_f64_e32 v[28:29], v[26:27]
	v_nop
	s_delay_alu instid0(TRANS32_DEP_1) | instskip(NEXT) | instid1(VALU_DEP_1)
	v_fma_f64 v[10:11], -v[26:27], v[28:29], 1.0
	v_fmac_f64_e32 v[28:29], v[28:29], v[10:11]
	s_delay_alu instid0(VALU_DEP_1) | instskip(NEXT) | instid1(VALU_DEP_1)
	v_fma_f64 v[10:11], -v[26:27], v[28:29], 1.0
	v_fmac_f64_e32 v[28:29], v[28:29], v[10:11]
	ds_load_b128 v[10:13], v7
	ds_load_b128 v[22:25], v20
	s_wait_dscnt 0x0
	v_add_f64_e64 v[12:13], v[12:13], -v[24:25]
	v_add_f64_e64 v[10:11], v[10:11], -v[22:23]
	v_mul_f64_e32 v[32:33], v[30:31], v[28:29]
	s_delay_alu instid0(VALU_DEP_3) | instskip(NEXT) | instid1(VALU_DEP_3)
	v_mul_f64_e32 v[22:23], v[2:3], v[12:13]
	v_mul_f64_e64 v[2:3], v[2:3], -v[10:11]
	s_delay_alu instid0(VALU_DEP_3) | instskip(NEXT) | instid1(VALU_DEP_3)
	v_fma_f64 v[24:25], -v[26:27], v[32:33], v[30:31]
	v_fmac_f64_e32 v[22:23], v[10:11], v[0:1]
	s_delay_alu instid0(VALU_DEP_3) | instskip(NEXT) | instid1(VALU_DEP_3)
	v_fmac_f64_e32 v[2:3], v[12:13], v[0:1]
	v_div_fmas_f64 v[24:25], v[24:25], v[28:29], v[32:33]
	s_delay_alu instid0(VALU_DEP_1) | instskip(NEXT) | instid1(VALU_DEP_1)
	v_div_fixup_f64 v[4:5], v[24:25], v[4:5], 1.0
	v_mul_f64_e32 v[0:1], v[4:5], v[22:23]
	s_delay_alu instid0(VALU_DEP_4)
	v_mul_f64_e32 v[2:3], v[4:5], v[2:3]
	ds_store_b128 v7, v[0:3]
	s_wait_storecnt_dscnt 0x0
	ds_load_b128 v[10:13], v19
	ds_load_b128 v[22:25], v18
	s_wait_dscnt 0x0
	v_fmac_f64_e32 v[22:23], v[0:1], v[10:11]
	v_fmac_f64_e32 v[24:25], v[2:3], v[10:11]
	s_delay_alu instid0(VALU_DEP_2) | instskip(NEXT) | instid1(VALU_DEP_2)
	v_fmac_f64_e32 v[22:23], v[2:3], v[12:13]
	v_fma_f64 v[24:25], v[0:1], -v[12:13], v[24:25]
	ds_store_b128 v18, v[22:25]
.LBB61_70:
	s_or_b32 exec_lo, exec_lo, s4
	s_delay_alu instid0(SALU_CYCLE_1)
	s_mov_b32 s1, exec_lo
	s_wait_storecnt_dscnt 0x0
	v_cmpx_eq_u32_e32 1, v15
	s_cbranch_execz .LBB61_77
; %bb.71:
	v_mov_b32_e32 v4, 0
	ds_load_b128 v[0:3], v4 offset:656
	ds_load_b128 v[10:13], v4 offset:464
	s_wait_dscnt 0x0
	v_add_f64_e64 v[0:1], v[10:11], -v[0:1]
	v_add_f64_e64 v[4:5], v[12:13], -v[2:3]
	s_delay_alu instid0(VALU_DEP_2) | instskip(SKIP_1) | instid1(VALU_DEP_3)
	v_cmp_gt_f64_e32 vcc_lo, 0, v[0:1]
	v_xor_b32_e32 v2, 0x80000000, v1
	v_xor_b32_e32 v3, 0x80000000, v5
	s_delay_alu instid0(VALU_DEP_2) | instskip(SKIP_1) | instid1(VALU_DEP_3)
	v_dual_cndmask_b32 v1, v1, v2 :: v_dual_mov_b32 v2, v4
	v_cmp_gt_f64_e32 vcc_lo, 0, v[4:5]
	v_cndmask_b32_e32 v3, v5, v3, vcc_lo
	s_delay_alu instid0(VALU_DEP_1)
	v_cmp_gt_f64_e32 vcc_lo, v[0:1], v[2:3]
	s_cbranch_vccnz .LBB61_74
; %bb.72:
	v_cmp_eq_f64_e32 vcc_lo, 0, v[4:5]
	s_cbranch_vccnz .LBB61_106
; %bb.73:
	v_div_scale_f64 v[4:5], null, v[2:3], v[2:3], v[0:1]
	v_div_scale_f64 v[22:23], vcc_lo, v[0:1], v[2:3], v[0:1]
	s_delay_alu instid0(VALU_DEP_2) | instskip(SKIP_1) | instid1(TRANS32_DEP_1)
	v_rcp_f64_e32 v[10:11], v[4:5]
	v_nop
	v_fma_f64 v[12:13], -v[4:5], v[10:11], 1.0
	s_delay_alu instid0(VALU_DEP_1) | instskip(NEXT) | instid1(VALU_DEP_1)
	v_fmac_f64_e32 v[10:11], v[10:11], v[12:13]
	v_fma_f64 v[12:13], -v[4:5], v[10:11], 1.0
	s_delay_alu instid0(VALU_DEP_1) | instskip(NEXT) | instid1(VALU_DEP_1)
	v_fmac_f64_e32 v[10:11], v[10:11], v[12:13]
	v_mul_f64_e32 v[12:13], v[22:23], v[10:11]
	s_delay_alu instid0(VALU_DEP_1) | instskip(NEXT) | instid1(VALU_DEP_1)
	v_fma_f64 v[4:5], -v[4:5], v[12:13], v[22:23]
	v_div_fmas_f64 v[4:5], v[4:5], v[10:11], v[12:13]
	s_delay_alu instid0(VALU_DEP_1) | instskip(NEXT) | instid1(VALU_DEP_1)
	v_div_fixup_f64 v[4:5], v[4:5], v[2:3], v[0:1]
	v_fma_f64 v[4:5], v[4:5], v[4:5], 1.0
	s_delay_alu instid0(VALU_DEP_1) | instskip(SKIP_2) | instid1(SALU_CYCLE_1)
	v_cmp_gt_f64_e32 vcc_lo, 0x10000000, v[4:5]
	s_and_b32 s4, vcc_lo, exec_lo
	s_cselect_b32 s4, 0x100, 0
	v_ldexp_f64 v[4:5], v[4:5], s4
	s_cselect_b32 s4, 0xffffff80, 0
	s_delay_alu instid0(VALU_DEP_1) | instskip(SKIP_1) | instid1(TRANS32_DEP_1)
	v_rsq_f64_e32 v[10:11], v[4:5]
	v_cmp_class_f64_e64 vcc_lo, v[4:5], 0x260
	v_mul_f64_e32 v[12:13], v[4:5], v[10:11]
	v_mul_f64_e32 v[10:11], 0.5, v[10:11]
	s_delay_alu instid0(VALU_DEP_1) | instskip(NEXT) | instid1(VALU_DEP_1)
	v_fma_f64 v[22:23], -v[10:11], v[12:13], 0.5
	v_fmac_f64_e32 v[12:13], v[12:13], v[22:23]
	v_fmac_f64_e32 v[10:11], v[10:11], v[22:23]
	s_delay_alu instid0(VALU_DEP_2) | instskip(NEXT) | instid1(VALU_DEP_1)
	v_fma_f64 v[22:23], -v[12:13], v[12:13], v[4:5]
	v_fmac_f64_e32 v[12:13], v[22:23], v[10:11]
	s_delay_alu instid0(VALU_DEP_1) | instskip(NEXT) | instid1(VALU_DEP_1)
	v_fma_f64 v[22:23], -v[12:13], v[12:13], v[4:5]
	v_fmac_f64_e32 v[12:13], v[22:23], v[10:11]
	s_delay_alu instid0(VALU_DEP_1) | instskip(NEXT) | instid1(VALU_DEP_1)
	v_ldexp_f64 v[10:11], v[12:13], s4
	v_dual_cndmask_b32 v5, v11, v5 :: v_dual_cndmask_b32 v4, v10, v4
	s_delay_alu instid0(VALU_DEP_1)
	v_mul_f64_e32 v[4:5], v[2:3], v[4:5]
	s_cbranch_execz .LBB61_75
	s_branch .LBB61_76
.LBB61_74:
                                        ; implicit-def: $vgpr4_vgpr5
.LBB61_75:
	v_div_scale_f64 v[4:5], null, v[0:1], v[0:1], v[2:3]
	v_div_scale_f64 v[22:23], vcc_lo, v[2:3], v[0:1], v[2:3]
	s_delay_alu instid0(VALU_DEP_2) | instskip(SKIP_1) | instid1(TRANS32_DEP_1)
	v_rcp_f64_e32 v[10:11], v[4:5]
	v_nop
	v_fma_f64 v[12:13], -v[4:5], v[10:11], 1.0
	s_delay_alu instid0(VALU_DEP_1) | instskip(NEXT) | instid1(VALU_DEP_1)
	v_fmac_f64_e32 v[10:11], v[10:11], v[12:13]
	v_fma_f64 v[12:13], -v[4:5], v[10:11], 1.0
	s_delay_alu instid0(VALU_DEP_1) | instskip(NEXT) | instid1(VALU_DEP_1)
	v_fmac_f64_e32 v[10:11], v[10:11], v[12:13]
	v_mul_f64_e32 v[12:13], v[22:23], v[10:11]
	s_delay_alu instid0(VALU_DEP_1) | instskip(NEXT) | instid1(VALU_DEP_1)
	v_fma_f64 v[4:5], -v[4:5], v[12:13], v[22:23]
	v_div_fmas_f64 v[4:5], v[4:5], v[10:11], v[12:13]
	s_delay_alu instid0(VALU_DEP_1) | instskip(NEXT) | instid1(VALU_DEP_1)
	v_div_fixup_f64 v[2:3], v[4:5], v[0:1], v[2:3]
	v_fma_f64 v[2:3], v[2:3], v[2:3], 1.0
	s_delay_alu instid0(VALU_DEP_1) | instskip(SKIP_2) | instid1(SALU_CYCLE_1)
	v_cmp_gt_f64_e32 vcc_lo, 0x10000000, v[2:3]
	s_and_b32 s4, vcc_lo, exec_lo
	s_cselect_b32 s4, 0x100, 0
	v_ldexp_f64 v[2:3], v[2:3], s4
	s_cselect_b32 s4, 0xffffff80, 0
	s_delay_alu instid0(VALU_DEP_1) | instskip(SKIP_1) | instid1(TRANS32_DEP_1)
	v_rsq_f64_e32 v[4:5], v[2:3]
	v_cmp_class_f64_e64 vcc_lo, v[2:3], 0x260
	v_mul_f64_e32 v[10:11], v[2:3], v[4:5]
	v_mul_f64_e32 v[4:5], 0.5, v[4:5]
	s_delay_alu instid0(VALU_DEP_1) | instskip(NEXT) | instid1(VALU_DEP_1)
	v_fma_f64 v[12:13], -v[4:5], v[10:11], 0.5
	v_fmac_f64_e32 v[10:11], v[10:11], v[12:13]
	v_fmac_f64_e32 v[4:5], v[4:5], v[12:13]
	s_delay_alu instid0(VALU_DEP_2) | instskip(NEXT) | instid1(VALU_DEP_1)
	v_fma_f64 v[12:13], -v[10:11], v[10:11], v[2:3]
	v_fmac_f64_e32 v[10:11], v[12:13], v[4:5]
	s_delay_alu instid0(VALU_DEP_1) | instskip(NEXT) | instid1(VALU_DEP_1)
	v_fma_f64 v[12:13], -v[10:11], v[10:11], v[2:3]
	v_fmac_f64_e32 v[10:11], v[12:13], v[4:5]
	s_delay_alu instid0(VALU_DEP_1) | instskip(NEXT) | instid1(VALU_DEP_1)
	v_ldexp_f64 v[4:5], v[10:11], s4
	v_dual_cndmask_b32 v3, v5, v3 :: v_dual_cndmask_b32 v2, v4, v2
	s_delay_alu instid0(VALU_DEP_1)
	v_mul_f64_e32 v[4:5], v[0:1], v[2:3]
.LBB61_76:
	s_delay_alu instid0(VALU_DEP_1) | instskip(SKIP_2) | instid1(SALU_CYCLE_1)
	v_cmp_gt_f64_e32 vcc_lo, 0x10000000, v[4:5]
	s_and_b32 s4, vcc_lo, exec_lo
	s_cselect_b32 s4, 0x100, 0
	v_ldexp_f64 v[0:1], v[4:5], s4
	s_cselect_b32 s4, 0xffffff80, 0
	s_delay_alu instid0(VALU_DEP_1) | instskip(SKIP_1) | instid1(TRANS32_DEP_1)
	v_rsq_f64_e32 v[2:3], v[0:1]
	v_cmp_class_f64_e64 vcc_lo, v[0:1], 0x260
	v_mul_f64_e32 v[4:5], v[0:1], v[2:3]
	v_mul_f64_e32 v[2:3], 0.5, v[2:3]
	s_delay_alu instid0(VALU_DEP_1) | instskip(NEXT) | instid1(VALU_DEP_1)
	v_fma_f64 v[10:11], -v[2:3], v[4:5], 0.5
	v_fmac_f64_e32 v[4:5], v[4:5], v[10:11]
	v_fmac_f64_e32 v[2:3], v[2:3], v[10:11]
	s_delay_alu instid0(VALU_DEP_2) | instskip(NEXT) | instid1(VALU_DEP_1)
	v_fma_f64 v[10:11], -v[4:5], v[4:5], v[0:1]
	v_fmac_f64_e32 v[4:5], v[10:11], v[2:3]
	s_delay_alu instid0(VALU_DEP_1) | instskip(NEXT) | instid1(VALU_DEP_1)
	v_fma_f64 v[10:11], -v[4:5], v[4:5], v[0:1]
	v_fmac_f64_e32 v[4:5], v[10:11], v[2:3]
	v_mov_b32_e32 v2, 0
	s_delay_alu instid0(VALU_DEP_1) | instskip(NEXT) | instid1(VALU_DEP_3)
	v_mov_b32_e32 v3, v2
	v_ldexp_f64 v[4:5], v[4:5], s4
	s_delay_alu instid0(VALU_DEP_1)
	v_dual_cndmask_b32 v1, v5, v1 :: v_dual_cndmask_b32 v0, v4, v0
	ds_store_b128 v2, v[0:3] offset:464
.LBB61_77:
	s_or_b32 exec_lo, exec_lo, s1
	v_mov_b32_e32 v0, 0
	s_wait_dscnt 0x0
	ds_load_b128 v[0:3], v0 offset:464
	s_wait_dscnt 0x0
	v_cmp_neq_f64_e32 vcc_lo, 0, v[0:1]
	v_cmp_neq_f64_e64 s1, 0, v[2:3]
	s_or_b32 vcc_lo, vcc_lo, s1
	v_cndmask_b32_e32 v1, 0x3ff00000, v1, vcc_lo
	v_dual_cndmask_b32 v0, 0, v0 :: v_dual_cndmask_b32 v3, 0, v3
	v_cndmask_b32_e32 v2, 0, v2, vcc_lo
	s_nor_b32 s4, vcc_lo, s0
	s_delay_alu instid0(SALU_CYCLE_1)
	s_and_saveexec_b32 s1, s4
	s_cbranch_execz .LBB61_81
; %bb.78:
	v_mbcnt_lo_u32_b32 v0, exec_lo, 0
	s_mov_b32 s4, exec_lo
	s_delay_alu instid0(VALU_DEP_1)
	v_cmpx_eq_u32_e32 0, v0
	s_cbranch_execz .LBB61_80
; %bb.79:
	v_dual_mov_b32 v0, 0 :: v_dual_mov_b32 v1, s2
	global_atomic_min_i32 v0, v1, s[10:11] scope:SCOPE_DEV
.LBB61_80:
	s_wait_xcnt 0x0
	s_or_b32 exec_lo, exec_lo, s4
	v_mov_b64_e32 v[2:3], 0
	v_mov_b64_e32 v[0:1], 1.0
.LBB61_81:
	s_or_b32 exec_lo, exec_lo, s1
	s_delay_alu instid0(SALU_CYCLE_1)
	s_mov_b32 s1, exec_lo
	v_cmpx_lt_u32_e32 1, v15
	s_cbranch_execz .LBB61_83
; %bb.82:
	s_delay_alu instid0(VALU_DEP_2) | instskip(NEXT) | instid1(VALU_DEP_1)
	v_mul_f64_e32 v[4:5], v[2:3], v[2:3]
	v_fmac_f64_e32 v[4:5], v[0:1], v[0:1]
	s_delay_alu instid0(VALU_DEP_1) | instskip(SKIP_1) | instid1(VALU_DEP_2)
	v_div_scale_f64 v[26:27], null, v[4:5], v[4:5], 1.0
	v_div_scale_f64 v[30:31], vcc_lo, 1.0, v[4:5], 1.0
	v_rcp_f64_e32 v[28:29], v[26:27]
	v_nop
	s_delay_alu instid0(TRANS32_DEP_1) | instskip(NEXT) | instid1(VALU_DEP_1)
	v_fma_f64 v[10:11], -v[26:27], v[28:29], 1.0
	v_fmac_f64_e32 v[28:29], v[28:29], v[10:11]
	s_delay_alu instid0(VALU_DEP_1) | instskip(NEXT) | instid1(VALU_DEP_1)
	v_fma_f64 v[10:11], -v[26:27], v[28:29], 1.0
	v_fmac_f64_e32 v[28:29], v[28:29], v[10:11]
	ds_load_b128 v[10:13], v7 offset:16
	ds_load_b128 v[22:25], v20 offset:16
	s_wait_dscnt 0x0
	v_add_f64_e64 v[12:13], v[12:13], -v[24:25]
	v_add_f64_e64 v[10:11], v[10:11], -v[22:23]
	v_mul_f64_e32 v[32:33], v[30:31], v[28:29]
	s_delay_alu instid0(VALU_DEP_3) | instskip(NEXT) | instid1(VALU_DEP_3)
	v_mul_f64_e32 v[22:23], v[2:3], v[12:13]
	v_mul_f64_e64 v[2:3], v[2:3], -v[10:11]
	s_delay_alu instid0(VALU_DEP_3) | instskip(NEXT) | instid1(VALU_DEP_3)
	v_fma_f64 v[24:25], -v[26:27], v[32:33], v[30:31]
	v_fmac_f64_e32 v[22:23], v[10:11], v[0:1]
	s_delay_alu instid0(VALU_DEP_3) | instskip(NEXT) | instid1(VALU_DEP_3)
	v_fmac_f64_e32 v[2:3], v[12:13], v[0:1]
	v_div_fmas_f64 v[24:25], v[24:25], v[28:29], v[32:33]
	s_delay_alu instid0(VALU_DEP_1) | instskip(NEXT) | instid1(VALU_DEP_1)
	v_div_fixup_f64 v[4:5], v[24:25], v[4:5], 1.0
	v_mul_f64_e32 v[0:1], v[4:5], v[22:23]
	s_delay_alu instid0(VALU_DEP_4)
	v_mul_f64_e32 v[2:3], v[4:5], v[2:3]
	ds_store_b128 v7, v[0:3] offset:16
	s_wait_storecnt_dscnt 0x0
	ds_load_b128 v[10:13], v19 offset:16
	ds_load_b128 v[22:25], v18
	s_wait_dscnt 0x0
	v_fmac_f64_e32 v[22:23], v[0:1], v[10:11]
	v_fmac_f64_e32 v[24:25], v[2:3], v[10:11]
	s_delay_alu instid0(VALU_DEP_2) | instskip(NEXT) | instid1(VALU_DEP_2)
	v_fmac_f64_e32 v[22:23], v[2:3], v[12:13]
	v_fma_f64 v[24:25], v[0:1], -v[12:13], v[24:25]
	ds_store_b128 v18, v[22:25]
.LBB61_83:
	s_or_b32 exec_lo, exec_lo, s1
	s_delay_alu instid0(SALU_CYCLE_1)
	s_mov_b32 s1, exec_lo
	s_wait_storecnt_dscnt 0x0
	v_cmpx_eq_u32_e32 2, v15
	s_cbranch_execz .LBB61_90
; %bb.84:
	v_mov_b32_e32 v4, 0
	ds_load_b128 v[0:3], v4 offset:736
	ds_load_b128 v[10:13], v4 offset:544
	s_wait_dscnt 0x0
	v_add_f64_e64 v[0:1], v[10:11], -v[0:1]
	v_add_f64_e64 v[4:5], v[12:13], -v[2:3]
	s_delay_alu instid0(VALU_DEP_2) | instskip(SKIP_1) | instid1(VALU_DEP_3)
	v_cmp_gt_f64_e32 vcc_lo, 0, v[0:1]
	v_xor_b32_e32 v2, 0x80000000, v1
	v_xor_b32_e32 v3, 0x80000000, v5
	s_delay_alu instid0(VALU_DEP_2) | instskip(SKIP_1) | instid1(VALU_DEP_3)
	v_dual_cndmask_b32 v1, v1, v2 :: v_dual_mov_b32 v2, v4
	v_cmp_gt_f64_e32 vcc_lo, 0, v[4:5]
	v_cndmask_b32_e32 v3, v5, v3, vcc_lo
	s_delay_alu instid0(VALU_DEP_1)
	v_cmp_gt_f64_e32 vcc_lo, v[0:1], v[2:3]
	s_cbranch_vccnz .LBB61_87
; %bb.85:
	v_cmp_eq_f64_e32 vcc_lo, 0, v[4:5]
	s_cbranch_vccnz .LBB61_107
; %bb.86:
	v_div_scale_f64 v[4:5], null, v[2:3], v[2:3], v[0:1]
	v_div_scale_f64 v[22:23], vcc_lo, v[0:1], v[2:3], v[0:1]
	s_delay_alu instid0(VALU_DEP_2) | instskip(SKIP_1) | instid1(TRANS32_DEP_1)
	v_rcp_f64_e32 v[10:11], v[4:5]
	v_nop
	v_fma_f64 v[12:13], -v[4:5], v[10:11], 1.0
	s_delay_alu instid0(VALU_DEP_1) | instskip(NEXT) | instid1(VALU_DEP_1)
	v_fmac_f64_e32 v[10:11], v[10:11], v[12:13]
	v_fma_f64 v[12:13], -v[4:5], v[10:11], 1.0
	s_delay_alu instid0(VALU_DEP_1) | instskip(NEXT) | instid1(VALU_DEP_1)
	v_fmac_f64_e32 v[10:11], v[10:11], v[12:13]
	v_mul_f64_e32 v[12:13], v[22:23], v[10:11]
	s_delay_alu instid0(VALU_DEP_1) | instskip(NEXT) | instid1(VALU_DEP_1)
	v_fma_f64 v[4:5], -v[4:5], v[12:13], v[22:23]
	v_div_fmas_f64 v[4:5], v[4:5], v[10:11], v[12:13]
	s_delay_alu instid0(VALU_DEP_1) | instskip(NEXT) | instid1(VALU_DEP_1)
	v_div_fixup_f64 v[4:5], v[4:5], v[2:3], v[0:1]
	v_fma_f64 v[4:5], v[4:5], v[4:5], 1.0
	s_delay_alu instid0(VALU_DEP_1) | instskip(SKIP_2) | instid1(SALU_CYCLE_1)
	v_cmp_gt_f64_e32 vcc_lo, 0x10000000, v[4:5]
	s_and_b32 s4, vcc_lo, exec_lo
	s_cselect_b32 s4, 0x100, 0
	v_ldexp_f64 v[4:5], v[4:5], s4
	s_cselect_b32 s4, 0xffffff80, 0
	s_delay_alu instid0(VALU_DEP_1) | instskip(SKIP_1) | instid1(TRANS32_DEP_1)
	v_rsq_f64_e32 v[10:11], v[4:5]
	v_cmp_class_f64_e64 vcc_lo, v[4:5], 0x260
	v_mul_f64_e32 v[12:13], v[4:5], v[10:11]
	v_mul_f64_e32 v[10:11], 0.5, v[10:11]
	s_delay_alu instid0(VALU_DEP_1) | instskip(NEXT) | instid1(VALU_DEP_1)
	v_fma_f64 v[22:23], -v[10:11], v[12:13], 0.5
	v_fmac_f64_e32 v[12:13], v[12:13], v[22:23]
	v_fmac_f64_e32 v[10:11], v[10:11], v[22:23]
	s_delay_alu instid0(VALU_DEP_2) | instskip(NEXT) | instid1(VALU_DEP_1)
	v_fma_f64 v[22:23], -v[12:13], v[12:13], v[4:5]
	v_fmac_f64_e32 v[12:13], v[22:23], v[10:11]
	s_delay_alu instid0(VALU_DEP_1) | instskip(NEXT) | instid1(VALU_DEP_1)
	v_fma_f64 v[22:23], -v[12:13], v[12:13], v[4:5]
	v_fmac_f64_e32 v[12:13], v[22:23], v[10:11]
	s_delay_alu instid0(VALU_DEP_1) | instskip(NEXT) | instid1(VALU_DEP_1)
	v_ldexp_f64 v[10:11], v[12:13], s4
	v_dual_cndmask_b32 v5, v11, v5 :: v_dual_cndmask_b32 v4, v10, v4
	s_delay_alu instid0(VALU_DEP_1)
	v_mul_f64_e32 v[4:5], v[2:3], v[4:5]
	s_cbranch_execz .LBB61_88
	s_branch .LBB61_89
.LBB61_87:
                                        ; implicit-def: $vgpr4_vgpr5
.LBB61_88:
	v_div_scale_f64 v[4:5], null, v[0:1], v[0:1], v[2:3]
	v_div_scale_f64 v[22:23], vcc_lo, v[2:3], v[0:1], v[2:3]
	s_delay_alu instid0(VALU_DEP_2) | instskip(SKIP_1) | instid1(TRANS32_DEP_1)
	v_rcp_f64_e32 v[10:11], v[4:5]
	v_nop
	v_fma_f64 v[12:13], -v[4:5], v[10:11], 1.0
	s_delay_alu instid0(VALU_DEP_1) | instskip(NEXT) | instid1(VALU_DEP_1)
	v_fmac_f64_e32 v[10:11], v[10:11], v[12:13]
	v_fma_f64 v[12:13], -v[4:5], v[10:11], 1.0
	s_delay_alu instid0(VALU_DEP_1) | instskip(NEXT) | instid1(VALU_DEP_1)
	v_fmac_f64_e32 v[10:11], v[10:11], v[12:13]
	v_mul_f64_e32 v[12:13], v[22:23], v[10:11]
	s_delay_alu instid0(VALU_DEP_1) | instskip(NEXT) | instid1(VALU_DEP_1)
	v_fma_f64 v[4:5], -v[4:5], v[12:13], v[22:23]
	v_div_fmas_f64 v[4:5], v[4:5], v[10:11], v[12:13]
	s_delay_alu instid0(VALU_DEP_1) | instskip(NEXT) | instid1(VALU_DEP_1)
	v_div_fixup_f64 v[2:3], v[4:5], v[0:1], v[2:3]
	v_fma_f64 v[2:3], v[2:3], v[2:3], 1.0
	s_delay_alu instid0(VALU_DEP_1) | instskip(SKIP_2) | instid1(SALU_CYCLE_1)
	v_cmp_gt_f64_e32 vcc_lo, 0x10000000, v[2:3]
	s_and_b32 s4, vcc_lo, exec_lo
	s_cselect_b32 s4, 0x100, 0
	v_ldexp_f64 v[2:3], v[2:3], s4
	s_cselect_b32 s4, 0xffffff80, 0
	s_delay_alu instid0(VALU_DEP_1) | instskip(SKIP_1) | instid1(TRANS32_DEP_1)
	v_rsq_f64_e32 v[4:5], v[2:3]
	v_cmp_class_f64_e64 vcc_lo, v[2:3], 0x260
	v_mul_f64_e32 v[10:11], v[2:3], v[4:5]
	v_mul_f64_e32 v[4:5], 0.5, v[4:5]
	s_delay_alu instid0(VALU_DEP_1) | instskip(NEXT) | instid1(VALU_DEP_1)
	v_fma_f64 v[12:13], -v[4:5], v[10:11], 0.5
	v_fmac_f64_e32 v[10:11], v[10:11], v[12:13]
	v_fmac_f64_e32 v[4:5], v[4:5], v[12:13]
	s_delay_alu instid0(VALU_DEP_2) | instskip(NEXT) | instid1(VALU_DEP_1)
	v_fma_f64 v[12:13], -v[10:11], v[10:11], v[2:3]
	v_fmac_f64_e32 v[10:11], v[12:13], v[4:5]
	s_delay_alu instid0(VALU_DEP_1) | instskip(NEXT) | instid1(VALU_DEP_1)
	v_fma_f64 v[12:13], -v[10:11], v[10:11], v[2:3]
	v_fmac_f64_e32 v[10:11], v[12:13], v[4:5]
	s_delay_alu instid0(VALU_DEP_1) | instskip(NEXT) | instid1(VALU_DEP_1)
	v_ldexp_f64 v[4:5], v[10:11], s4
	v_dual_cndmask_b32 v3, v5, v3 :: v_dual_cndmask_b32 v2, v4, v2
	s_delay_alu instid0(VALU_DEP_1)
	v_mul_f64_e32 v[4:5], v[0:1], v[2:3]
.LBB61_89:
	s_delay_alu instid0(VALU_DEP_1) | instskip(SKIP_2) | instid1(SALU_CYCLE_1)
	v_cmp_gt_f64_e32 vcc_lo, 0x10000000, v[4:5]
	s_and_b32 s4, vcc_lo, exec_lo
	s_cselect_b32 s4, 0x100, 0
	v_ldexp_f64 v[0:1], v[4:5], s4
	s_cselect_b32 s4, 0xffffff80, 0
	s_delay_alu instid0(VALU_DEP_1) | instskip(SKIP_1) | instid1(TRANS32_DEP_1)
	v_rsq_f64_e32 v[2:3], v[0:1]
	v_cmp_class_f64_e64 vcc_lo, v[0:1], 0x260
	v_mul_f64_e32 v[4:5], v[0:1], v[2:3]
	v_mul_f64_e32 v[2:3], 0.5, v[2:3]
	s_delay_alu instid0(VALU_DEP_1) | instskip(NEXT) | instid1(VALU_DEP_1)
	v_fma_f64 v[10:11], -v[2:3], v[4:5], 0.5
	v_fmac_f64_e32 v[4:5], v[4:5], v[10:11]
	v_fmac_f64_e32 v[2:3], v[2:3], v[10:11]
	s_delay_alu instid0(VALU_DEP_2) | instskip(NEXT) | instid1(VALU_DEP_1)
	v_fma_f64 v[10:11], -v[4:5], v[4:5], v[0:1]
	v_fmac_f64_e32 v[4:5], v[10:11], v[2:3]
	s_delay_alu instid0(VALU_DEP_1) | instskip(NEXT) | instid1(VALU_DEP_1)
	v_fma_f64 v[10:11], -v[4:5], v[4:5], v[0:1]
	v_fmac_f64_e32 v[4:5], v[10:11], v[2:3]
	v_mov_b32_e32 v2, 0
	s_delay_alu instid0(VALU_DEP_1) | instskip(NEXT) | instid1(VALU_DEP_3)
	v_mov_b32_e32 v3, v2
	v_ldexp_f64 v[4:5], v[4:5], s4
	s_delay_alu instid0(VALU_DEP_1)
	v_dual_cndmask_b32 v1, v5, v1 :: v_dual_cndmask_b32 v0, v4, v0
	ds_store_b128 v2, v[0:3] offset:544
.LBB61_90:
	s_or_b32 exec_lo, exec_lo, s1
	v_mov_b32_e32 v0, 0
	s_wait_dscnt 0x0
	ds_load_b128 v[0:3], v0 offset:544
	s_wait_dscnt 0x0
	v_cmp_neq_f64_e32 vcc_lo, 0, v[0:1]
	v_cmp_neq_f64_e64 s1, 0, v[2:3]
	s_or_b32 vcc_lo, vcc_lo, s1
	v_cndmask_b32_e32 v1, 0x3ff00000, v1, vcc_lo
	v_dual_cndmask_b32 v0, 0, v0 :: v_dual_cndmask_b32 v3, 0, v3
	v_cndmask_b32_e32 v2, 0, v2, vcc_lo
	s_nor_b32 s1, vcc_lo, s0
	s_delay_alu instid0(SALU_CYCLE_1)
	s_and_saveexec_b32 s0, s1
	s_cbranch_execz .LBB61_94
; %bb.91:
	v_mbcnt_lo_u32_b32 v0, exec_lo, 0
	s_mov_b32 s1, exec_lo
	s_delay_alu instid0(VALU_DEP_1)
	v_cmpx_eq_u32_e32 0, v0
	s_cbranch_execz .LBB61_93
; %bb.92:
	v_dual_mov_b32 v0, 0 :: v_dual_mov_b32 v1, s2
	global_atomic_min_i32 v0, v1, s[10:11] scope:SCOPE_DEV
.LBB61_93:
	s_wait_xcnt 0x0
	s_or_b32 exec_lo, exec_lo, s1
	v_mov_b64_e32 v[2:3], 0
	v_mov_b64_e32 v[0:1], 1.0
.LBB61_94:
	s_or_b32 exec_lo, exec_lo, s0
	s_delay_alu instid0(SALU_CYCLE_1)
	s_mov_b32 s0, exec_lo
	v_cmpx_lt_u32_e32 2, v15
	s_cbranch_execz .LBB61_96
; %bb.95:
	s_delay_alu instid0(VALU_DEP_2) | instskip(NEXT) | instid1(VALU_DEP_1)
	v_mul_f64_e32 v[4:5], v[2:3], v[2:3]
	v_fmac_f64_e32 v[4:5], v[0:1], v[0:1]
	s_delay_alu instid0(VALU_DEP_1) | instskip(SKIP_1) | instid1(VALU_DEP_2)
	v_div_scale_f64 v[24:25], null, v[4:5], v[4:5], 1.0
	v_div_scale_f64 v[28:29], vcc_lo, 1.0, v[4:5], 1.0
	v_rcp_f64_e32 v[26:27], v[24:25]
	v_nop
	s_delay_alu instid0(TRANS32_DEP_1) | instskip(NEXT) | instid1(VALU_DEP_1)
	v_fma_f64 v[10:11], -v[24:25], v[26:27], 1.0
	v_fmac_f64_e32 v[26:27], v[26:27], v[10:11]
	s_delay_alu instid0(VALU_DEP_1) | instskip(NEXT) | instid1(VALU_DEP_1)
	v_fma_f64 v[10:11], -v[24:25], v[26:27], 1.0
	v_fmac_f64_e32 v[26:27], v[26:27], v[10:11]
	ds_load_b128 v[10:13], v7 offset:32
	ds_load_b128 v[20:23], v20 offset:32
	s_wait_dscnt 0x0
	v_add_f64_e64 v[12:13], v[12:13], -v[22:23]
	v_add_f64_e64 v[10:11], v[10:11], -v[20:21]
	v_mul_f64_e32 v[30:31], v[28:29], v[26:27]
	s_delay_alu instid0(VALU_DEP_3) | instskip(NEXT) | instid1(VALU_DEP_3)
	v_mul_f64_e32 v[20:21], v[2:3], v[12:13]
	v_mul_f64_e64 v[2:3], v[2:3], -v[10:11]
	s_delay_alu instid0(VALU_DEP_3) | instskip(NEXT) | instid1(VALU_DEP_3)
	v_fma_f64 v[22:23], -v[24:25], v[30:31], v[28:29]
	v_fmac_f64_e32 v[20:21], v[10:11], v[0:1]
	s_delay_alu instid0(VALU_DEP_3) | instskip(NEXT) | instid1(VALU_DEP_3)
	v_fmac_f64_e32 v[2:3], v[12:13], v[0:1]
	v_div_fmas_f64 v[22:23], v[22:23], v[26:27], v[30:31]
	s_delay_alu instid0(VALU_DEP_1) | instskip(NEXT) | instid1(VALU_DEP_1)
	v_div_fixup_f64 v[4:5], v[22:23], v[4:5], 1.0
	v_mul_f64_e32 v[0:1], v[4:5], v[20:21]
	s_delay_alu instid0(VALU_DEP_4)
	v_mul_f64_e32 v[2:3], v[4:5], v[2:3]
	ds_store_b128 v7, v[0:3] offset:32
	s_wait_storecnt_dscnt 0x0
	ds_load_b128 v[10:13], v19 offset:32
	ds_load_b128 v[20:23], v18
	s_wait_dscnt 0x0
	v_fmac_f64_e32 v[20:21], v[0:1], v[10:11]
	v_fmac_f64_e32 v[22:23], v[2:3], v[10:11]
	s_delay_alu instid0(VALU_DEP_2) | instskip(NEXT) | instid1(VALU_DEP_2)
	v_fmac_f64_e32 v[20:21], v[2:3], v[12:13]
	v_fma_f64 v[22:23], v[0:1], -v[12:13], v[22:23]
	ds_store_b128 v18, v[20:23]
.LBB61_96:
	s_or_b32 exec_lo, exec_lo, s0
	s_delay_alu instid0(SALU_CYCLE_1)
	s_and_not1_b32 vcc_lo, exec_lo, s3
	s_wait_storecnt_dscnt 0x0
	s_cbranch_vccnz .LBB61_98
; %bb.97:
	v_mov_b32_e32 v16, v17
.LBB61_98:
	ds_load_2addr_b64 v[0:3], v6 offset1:1
	v_add_nc_u32_e32 v4, s26, v16
	s_mov_b32 s0, 0
	s_mov_b32 s1, exec_lo
	s_wait_dscnt 0x0
	global_store_b128 v4, v[0:3], s[18:19] scale_offset
	s_wait_xcnt 0x0
	v_cmpx_eq_u32_e32 0, v8
	s_cbranch_execz .LBB61_100
; %bb.99:
	v_dual_mov_b32 v0, 0 :: v_dual_mov_b32 v1, 1
	s_add_nc_u64 s[2:3], s[6:7], s[8:9]
	global_wb scope:SCOPE_DEV
	s_wait_storecnt 0x0
	global_store_b32 v0, v1, s[2:3] scope:SCOPE_DEV
.LBB61_100:
	s_wait_xcnt 0x0
	s_or_b32 exec_lo, exec_lo, s1
	s_delay_alu instid0(SALU_CYCLE_1)
	s_and_b32 vcc_lo, exec_lo, s0
	s_cbranch_vccz .LBB61_60
.LBB61_101:
	v_or_b32_e32 v0, v14, v15
	s_mov_b32 s0, exec_lo
	s_delay_alu instid0(VALU_DEP_1)
	v_cmpx_eq_u32_e32 0, v0
	s_cbranch_execz .LBB61_60
; %bb.102:
	v_mbcnt_lo_u32_b32 v0, exec_lo, 0
	s_mov_b32 s0, exec_lo
	s_delay_alu instid0(VALU_DEP_1)
	v_cmpx_eq_u32_e32 0, v0
	s_cbranch_execz .LBB61_104
; %bb.103:
	s_add_co_i32 s1, s16, s17
	s_delay_alu instid0(SALU_CYCLE_1)
	v_dual_mov_b32 v0, 0 :: v_dual_mov_b32 v1, s1
	global_atomic_min_i32 v0, v1, s[10:11] scope:SCOPE_DEV
.LBB61_104:
	s_wait_xcnt 0x0
	s_or_b32 exec_lo, exec_lo, s0
	v_dual_mov_b32 v0, 0 :: v_dual_mov_b32 v1, 1
	s_add_nc_u64 s[0:1], s[6:7], s[8:9]
	global_wb scope:SCOPE_DEV
	s_wait_storecnt 0x0
	global_store_b32 v0, v1, s[0:1] scope:SCOPE_DEV
	s_endpgm
.LBB61_105:
	v_mov_b64_e32 v[4:5], 0
	s_cbranch_execz .LBB61_62
	s_branch .LBB61_63
.LBB61_106:
	v_mov_b64_e32 v[4:5], 0
	s_cbranch_execz .LBB61_75
	s_branch .LBB61_76
.LBB61_107:
	v_mov_b64_e32 v[4:5], 0
	s_cbranch_execz .LBB61_88
	s_branch .LBB61_89
	.section	.rodata,"a",@progbits
	.p2align	6, 0x0
	.amdhsa_kernel _ZN9rocsparseL26bsric0_2_8_unrolled_kernelILi9ELi32ELi3E21rocsparse_complex_numIdEEEv20rocsparse_direction_iiPKiS5_PT2_S5_PiS5_S8_21rocsparse_index_base_
		.amdhsa_group_segment_fixed_size 1152
		.amdhsa_private_segment_fixed_size 0
		.amdhsa_kernarg_size 76
		.amdhsa_user_sgpr_count 2
		.amdhsa_user_sgpr_dispatch_ptr 0
		.amdhsa_user_sgpr_queue_ptr 0
		.amdhsa_user_sgpr_kernarg_segment_ptr 1
		.amdhsa_user_sgpr_dispatch_id 0
		.amdhsa_user_sgpr_kernarg_preload_length 0
		.amdhsa_user_sgpr_kernarg_preload_offset 0
		.amdhsa_user_sgpr_private_segment_size 0
		.amdhsa_wavefront_size32 1
		.amdhsa_uses_dynamic_stack 0
		.amdhsa_enable_private_segment 0
		.amdhsa_system_sgpr_workgroup_id_x 1
		.amdhsa_system_sgpr_workgroup_id_y 0
		.amdhsa_system_sgpr_workgroup_id_z 0
		.amdhsa_system_sgpr_workgroup_info 0
		.amdhsa_system_vgpr_workitem_id 1
		.amdhsa_next_free_vgpr 52
		.amdhsa_next_free_sgpr 37
		.amdhsa_named_barrier_count 0
		.amdhsa_reserve_vcc 1
		.amdhsa_float_round_mode_32 0
		.amdhsa_float_round_mode_16_64 0
		.amdhsa_float_denorm_mode_32 3
		.amdhsa_float_denorm_mode_16_64 3
		.amdhsa_fp16_overflow 0
		.amdhsa_memory_ordered 1
		.amdhsa_forward_progress 1
		.amdhsa_inst_pref_size 64
		.amdhsa_round_robin_scheduling 0
		.amdhsa_exception_fp_ieee_invalid_op 0
		.amdhsa_exception_fp_denorm_src 0
		.amdhsa_exception_fp_ieee_div_zero 0
		.amdhsa_exception_fp_ieee_overflow 0
		.amdhsa_exception_fp_ieee_underflow 0
		.amdhsa_exception_fp_ieee_inexact 0
		.amdhsa_exception_int_div_zero 0
	.end_amdhsa_kernel
	.section	.text._ZN9rocsparseL26bsric0_2_8_unrolled_kernelILi9ELi32ELi3E21rocsparse_complex_numIdEEEv20rocsparse_direction_iiPKiS5_PT2_S5_PiS5_S8_21rocsparse_index_base_,"axG",@progbits,_ZN9rocsparseL26bsric0_2_8_unrolled_kernelILi9ELi32ELi3E21rocsparse_complex_numIdEEEv20rocsparse_direction_iiPKiS5_PT2_S5_PiS5_S8_21rocsparse_index_base_,comdat
.Lfunc_end61:
	.size	_ZN9rocsparseL26bsric0_2_8_unrolled_kernelILi9ELi32ELi3E21rocsparse_complex_numIdEEEv20rocsparse_direction_iiPKiS5_PT2_S5_PiS5_S8_21rocsparse_index_base_, .Lfunc_end61-_ZN9rocsparseL26bsric0_2_8_unrolled_kernelILi9ELi32ELi3E21rocsparse_complex_numIdEEEv20rocsparse_direction_iiPKiS5_PT2_S5_PiS5_S8_21rocsparse_index_base_
                                        ; -- End function
	.set _ZN9rocsparseL26bsric0_2_8_unrolled_kernelILi9ELi32ELi3E21rocsparse_complex_numIdEEEv20rocsparse_direction_iiPKiS5_PT2_S5_PiS5_S8_21rocsparse_index_base_.num_vgpr, 52
	.set _ZN9rocsparseL26bsric0_2_8_unrolled_kernelILi9ELi32ELi3E21rocsparse_complex_numIdEEEv20rocsparse_direction_iiPKiS5_PT2_S5_PiS5_S8_21rocsparse_index_base_.num_agpr, 0
	.set _ZN9rocsparseL26bsric0_2_8_unrolled_kernelILi9ELi32ELi3E21rocsparse_complex_numIdEEEv20rocsparse_direction_iiPKiS5_PT2_S5_PiS5_S8_21rocsparse_index_base_.numbered_sgpr, 37
	.set _ZN9rocsparseL26bsric0_2_8_unrolled_kernelILi9ELi32ELi3E21rocsparse_complex_numIdEEEv20rocsparse_direction_iiPKiS5_PT2_S5_PiS5_S8_21rocsparse_index_base_.num_named_barrier, 0
	.set _ZN9rocsparseL26bsric0_2_8_unrolled_kernelILi9ELi32ELi3E21rocsparse_complex_numIdEEEv20rocsparse_direction_iiPKiS5_PT2_S5_PiS5_S8_21rocsparse_index_base_.private_seg_size, 0
	.set _ZN9rocsparseL26bsric0_2_8_unrolled_kernelILi9ELi32ELi3E21rocsparse_complex_numIdEEEv20rocsparse_direction_iiPKiS5_PT2_S5_PiS5_S8_21rocsparse_index_base_.uses_vcc, 1
	.set _ZN9rocsparseL26bsric0_2_8_unrolled_kernelILi9ELi32ELi3E21rocsparse_complex_numIdEEEv20rocsparse_direction_iiPKiS5_PT2_S5_PiS5_S8_21rocsparse_index_base_.uses_flat_scratch, 0
	.set _ZN9rocsparseL26bsric0_2_8_unrolled_kernelILi9ELi32ELi3E21rocsparse_complex_numIdEEEv20rocsparse_direction_iiPKiS5_PT2_S5_PiS5_S8_21rocsparse_index_base_.has_dyn_sized_stack, 0
	.set _ZN9rocsparseL26bsric0_2_8_unrolled_kernelILi9ELi32ELi3E21rocsparse_complex_numIdEEEv20rocsparse_direction_iiPKiS5_PT2_S5_PiS5_S8_21rocsparse_index_base_.has_recursion, 0
	.set _ZN9rocsparseL26bsric0_2_8_unrolled_kernelILi9ELi32ELi3E21rocsparse_complex_numIdEEEv20rocsparse_direction_iiPKiS5_PT2_S5_PiS5_S8_21rocsparse_index_base_.has_indirect_call, 0
	.section	.AMDGPU.csdata,"",@progbits
; Kernel info:
; codeLenInByte = 8072
; TotalNumSgprs: 39
; NumVgprs: 52
; ScratchSize: 0
; MemoryBound: 1
; FloatMode: 240
; IeeeMode: 1
; LDSByteSize: 1152 bytes/workgroup (compile time only)
; SGPRBlocks: 0
; VGPRBlocks: 3
; NumSGPRsForWavesPerEU: 39
; NumVGPRsForWavesPerEU: 52
; NamedBarCnt: 0
; Occupancy: 16
; WaveLimiterHint : 1
; COMPUTE_PGM_RSRC2:SCRATCH_EN: 0
; COMPUTE_PGM_RSRC2:USER_SGPR: 2
; COMPUTE_PGM_RSRC2:TRAP_HANDLER: 0
; COMPUTE_PGM_RSRC2:TGID_X_EN: 1
; COMPUTE_PGM_RSRC2:TGID_Y_EN: 0
; COMPUTE_PGM_RSRC2:TGID_Z_EN: 0
; COMPUTE_PGM_RSRC2:TIDIG_COMP_CNT: 1
	.section	.text._ZN9rocsparseL26bsric0_2_8_unrolled_kernelILi16ELi32ELi4E21rocsparse_complex_numIdEEEv20rocsparse_direction_iiPKiS5_PT2_S5_PiS5_S8_21rocsparse_index_base_,"axG",@progbits,_ZN9rocsparseL26bsric0_2_8_unrolled_kernelILi16ELi32ELi4E21rocsparse_complex_numIdEEEv20rocsparse_direction_iiPKiS5_PT2_S5_PiS5_S8_21rocsparse_index_base_,comdat
	.globl	_ZN9rocsparseL26bsric0_2_8_unrolled_kernelILi16ELi32ELi4E21rocsparse_complex_numIdEEEv20rocsparse_direction_iiPKiS5_PT2_S5_PiS5_S8_21rocsparse_index_base_ ; -- Begin function _ZN9rocsparseL26bsric0_2_8_unrolled_kernelILi16ELi32ELi4E21rocsparse_complex_numIdEEEv20rocsparse_direction_iiPKiS5_PT2_S5_PiS5_S8_21rocsparse_index_base_
	.p2align	8
	.type	_ZN9rocsparseL26bsric0_2_8_unrolled_kernelILi16ELi32ELi4E21rocsparse_complex_numIdEEEv20rocsparse_direction_iiPKiS5_PT2_S5_PiS5_S8_21rocsparse_index_base_,@function
_ZN9rocsparseL26bsric0_2_8_unrolled_kernelILi16ELi32ELi4E21rocsparse_complex_numIdEEEv20rocsparse_direction_iiPKiS5_PT2_S5_PiS5_S8_21rocsparse_index_base_: ; @_ZN9rocsparseL26bsric0_2_8_unrolled_kernelILi16ELi32ELi4E21rocsparse_complex_numIdEEEv20rocsparse_direction_iiPKiS5_PT2_S5_PiS5_S8_21rocsparse_index_base_
; %bb.0:
	s_load_b256 s[4:11], s[0:1], 0x28
	s_bfe_u32 s2, ttmp6, 0x4000c
	s_and_b32 s3, ttmp6, 15
	s_add_co_i32 s2, s2, 1
	s_getreg_b32 s12, hwreg(HW_REG_IB_STS2, 6, 4)
	s_mul_i32 s2, ttmp9, s2
	v_and_b32_e32 v12, 0x3ff, v0
	s_add_co_i32 s3, s3, s2
	s_cmp_eq_u32 s12, 0
	v_bfe_u32 v13, v0, 10, 10
	s_cselect_b32 s2, ttmp9, s3
	s_wait_kmcnt 0x0
	s_load_b32 s16, s[8:9], s2 offset:0x0 scale_offset
	s_wait_kmcnt 0x0
	s_ashr_i32 s17, s16, 31
	s_delay_alu instid0(SALU_CYCLE_1) | instskip(NEXT) | instid1(SALU_CYCLE_1)
	s_lshl_b64 s[8:9], s[16:17], 2
	s_add_nc_u64 s[2:3], s[4:5], s[8:9]
	s_load_b32 s26, s[2:3], 0x0
	s_load_b32 s17, s[0:1], 0x48
	s_wait_kmcnt 0x0
	s_cmp_lg_u32 s26, -1
	s_cbranch_scc0 .LBB62_15
; %bb.1:
	s_load_b128 s[12:15], s[0:1], 0x10
	v_lshlrev_b32_e32 v18, 2, v13
	s_delay_alu instid0(VALU_DEP_1)
	v_add_nc_u32_e32 v17, v18, v12
	s_wait_kmcnt 0x0
	s_add_nc_u64 s[2:3], s[12:13], s[8:9]
	s_load_b32 s3, s[2:3], 0x0
	s_wait_xcnt 0x0
	s_mov_b32 s2, exec_lo
	s_wait_kmcnt 0x0
	s_sub_co_i32 s27, s3, s17
	s_delay_alu instid0(SALU_CYCLE_1) | instskip(NEXT) | instid1(VALU_DEP_1)
	v_add_nc_u32_e32 v0, s27, v17
	v_cmpx_ge_i32_e64 s26, v0
	s_cbranch_execz .LBB62_13
; %bb.2:
	v_add_nc_u32_e32 v1, s3, v17
	s_add_co_i32 s18, s26, 1
	v_not_b32_e32 v2, v12
	s_mov_b32 s19, -1
	s_delay_alu instid0(VALU_DEP_2) | instskip(NEXT) | instid1(VALU_DEP_1)
	v_subrev_nc_u32_e32 v1, s17, v1
	v_add_max_i32_e64 v1, v1, 16, s18
	s_mov_b32 s18, exec_lo
	s_delay_alu instid0(VALU_DEP_1) | instskip(SKIP_1) | instid1(VALU_DEP_1)
	v_add3_u32 v1, s17, v1, v2
	v_add_nc_u32_e32 v2, s3, v18
	v_sub_nc_u32_e32 v1, v1, v2
	s_delay_alu instid0(VALU_DEP_1)
	v_cmpx_lt_u32_e32 15, v1
	s_cbranch_execz .LBB62_10
; %bb.3:
	v_dual_lshrrev_b32 v4, 4, v1 :: v_dual_add_nc_u32 v1, 16, v0
	s_delay_alu instid0(VALU_DEP_1) | instskip(NEXT) | instid1(VALU_DEP_1)
	v_add_nc_u32_e32 v2, -1, v4
	v_lshrrev_b32_e32 v3, 1, v2
	s_delay_alu instid0(VALU_DEP_1)
	v_add_nc_u32_e32 v5, 1, v3
	v_cmp_lt_u32_e32 vcc_lo, 13, v2
	v_mov_b64_e32 v[2:3], v[0:1]
	s_and_saveexec_b32 s19, vcc_lo
	s_cbranch_execz .LBB62_7
; %bb.4:
	v_mov_b64_e32 v[2:3], v[0:1]
	v_and_b32_e32 v6, -8, v5
	s_mov_b32 s20, 0
.LBB62_5:                               ; =>This Inner Loop Header: Depth=1
	s_clause 0x1
	global_load_b32 v1, v2, s[14:15] scale_offset
	global_load_b32 v7, v3, s[14:15] scale_offset
	v_add_nc_u32_e32 v16, 0x80, v3
	v_add_nc_u32_e32 v14, 0x60, v3
	v_dual_add_nc_u32 v10, 64, v3 :: v_dual_add_nc_u32 v11, 64, v2
	v_dual_add_nc_u32 v8, 32, v3 :: v_dual_add_nc_u32 v9, 32, v2
	v_add_nc_u32_e32 v15, 0x60, v2
	v_add_nc_u32_e32 v19, 0x80, v2
	;; [unrolled: 1-line block ×8, first 2 shown]
	s_clause 0xd
	global_load_b32 v26, v16, s[14:15] scale_offset
	global_load_b32 v27, v14, s[14:15] scale_offset
	;; [unrolled: 1-line block ×14, first 2 shown]
	v_subrev_nc_u32_e32 v40, s27, v2
	v_subrev_nc_u32_e32 v41, s27, v3
	v_add_nc_u32_e32 v6, -8, v6
	s_wait_xcnt 0xa
	v_subrev_nc_u32_e32 v8, s27, v8
	s_wait_xcnt 0x9
	v_subrev_nc_u32_e32 v9, s27, v9
	v_dual_lshlrev_b32 v40, 2, v40 :: v_dual_lshlrev_b32 v41, 2, v41
	s_wait_xcnt 0x8
	v_subrev_nc_u32_e32 v11, s27, v11
	v_subrev_nc_u32_e32 v10, s27, v10
	v_cmp_eq_u32_e32 vcc_lo, 0, v6
	s_wait_xcnt 0x7
	v_subrev_nc_u32_e32 v15, s27, v15
	v_add_nc_u32_e32 v3, 0x100, v3
	v_subrev_nc_u32_e32 v14, s27, v14
	v_subrev_nc_u32_e32 v16, s27, v16
	s_wait_xcnt 0x6
	v_subrev_nc_u32_e32 v19, s27, v19
	s_wait_xcnt 0x3
	;; [unrolled: 2-line block ×3, first 2 shown]
	v_subrev_nc_u32_e32 v21, s27, v21
	v_subrev_nc_u32_e32 v22, s27, v22
	s_wait_xcnt 0x1
	v_subrev_nc_u32_e32 v23, s27, v23
	v_subrev_nc_u32_e32 v24, s27, v24
	s_wait_xcnt 0x0
	v_subrev_nc_u32_e32 v25, s27, v25
	v_add_nc_u32_e32 v2, 0x100, v2
	v_dual_lshlrev_b32 v9, 2, v9 :: v_dual_lshlrev_b32 v11, 2, v11
	v_dual_lshlrev_b32 v8, 2, v8 :: v_dual_lshlrev_b32 v10, 2, v10
	v_lshlrev_b32_e32 v15, 2, v15
	s_or_b32 s20, vcc_lo, s20
	v_dual_lshlrev_b32 v14, 2, v14 :: v_dual_lshlrev_b32 v19, 2, v19
	v_dual_lshlrev_b32 v16, 2, v16 :: v_dual_lshlrev_b32 v21, 2, v21
	;; [unrolled: 1-line block ×4, first 2 shown]
	v_lshlrev_b32_e32 v24, 2, v24
	s_wait_loadcnt 0xf
	v_subrev_nc_u32_e32 v1, s17, v1
	s_wait_loadcnt 0xe
	v_subrev_nc_u32_e32 v7, s17, v7
	ds_store_b32 v40, v1 offset:1536
	ds_store_b32 v41, v7 offset:1536
	s_wait_loadcnt 0xa
	v_subrev_nc_u32_e32 v1, s17, v29
	s_wait_loadcnt 0x9
	v_subrev_nc_u32_e32 v7, s17, v30
	;; [unrolled: 2-line block ×3, first 2 shown]
	v_subrev_nc_u32_e32 v28, s17, v28
	s_wait_loadcnt 0x7
	v_subrev_nc_u32_e32 v30, s17, v32
	v_subrev_nc_u32_e32 v27, s17, v27
	;; [unrolled: 1-line block ×3, first 2 shown]
	s_wait_loadcnt 0x6
	v_subrev_nc_u32_e32 v31, s17, v33
	s_wait_loadcnt 0x3
	v_subrev_nc_u32_e32 v32, s17, v36
	;; [unrolled: 2-line block ×3, first 2 shown]
	v_subrev_nc_u32_e32 v35, s17, v35
	s_wait_loadcnt 0x1
	v_subrev_nc_u32_e32 v36, s17, v38
	v_subrev_nc_u32_e32 v34, s17, v34
	s_wait_loadcnt 0x0
	v_subrev_nc_u32_e32 v37, s17, v39
	ds_store_b32 v9, v7 offset:1536
	ds_store_b32 v8, v1 offset:1536
	;; [unrolled: 1-line block ×14, first 2 shown]
	s_and_not1_b32 exec_lo, exec_lo, s20
	s_cbranch_execnz .LBB62_5
; %bb.6:
	s_or_b32 exec_lo, exec_lo, s20
.LBB62_7:
	s_delay_alu instid0(SALU_CYCLE_1) | instskip(SKIP_3) | instid1(VALU_DEP_1)
	s_or_b32 exec_lo, exec_lo, s19
	v_and_b32_e32 v1, 7, v5
	s_mov_b32 s20, 0
	s_mov_b32 s19, exec_lo
	v_cmpx_ne_u32_e32 0, v1
	s_cbranch_execz .LBB62_9
.LBB62_8:                               ; =>This Inner Loop Header: Depth=1
	s_clause 0x1
	global_load_b32 v5, v2, s[14:15] scale_offset
	global_load_b32 v6, v3, s[14:15] scale_offset
	v_add_nc_u32_e32 v1, -1, v1
	v_subrev_nc_u32_e32 v7, s27, v2
	v_subrev_nc_u32_e32 v8, s27, v3
	s_wait_xcnt 0x0
	v_dual_add_nc_u32 v3, 32, v3 :: v_dual_add_nc_u32 v2, 32, v2
	v_cmp_eq_u32_e32 vcc_lo, 0, v1
	s_delay_alu instid0(VALU_DEP_3)
	v_dual_lshlrev_b32 v7, 2, v7 :: v_dual_lshlrev_b32 v8, 2, v8
	s_or_b32 s20, vcc_lo, s20
	s_wait_loadcnt 0x1
	v_subrev_nc_u32_e32 v5, s17, v5
	s_wait_loadcnt 0x0
	v_subrev_nc_u32_e32 v6, s17, v6
	ds_store_b32 v7, v5 offset:1536
	ds_store_b32 v8, v6 offset:1536
	s_and_not1_b32 exec_lo, exec_lo, s20
	s_cbranch_execnz .LBB62_8
.LBB62_9:
	s_or_b32 exec_lo, exec_lo, s19
	v_add_nc_u32_e32 v1, 1, v4
	s_delay_alu instid0(VALU_DEP_1) | instskip(NEXT) | instid1(VALU_DEP_1)
	v_and_b32_e32 v2, 0x1ffffffe, v1
	v_cmp_ne_u32_e32 vcc_lo, v1, v2
	v_lshl_add_u32 v0, v2, 4, v0
	s_or_not1_b32 s19, vcc_lo, exec_lo
.LBB62_10:
	s_or_b32 exec_lo, exec_lo, s18
	s_delay_alu instid0(SALU_CYCLE_1)
	s_and_b32 exec_lo, exec_lo, s19
	s_cbranch_execz .LBB62_13
; %bb.11:
	v_add_nc_u32_e32 v1, s17, v0
	s_delay_alu instid0(VALU_DEP_1) | instskip(SKIP_2) | instid1(VALU_DEP_2)
	v_subrev_nc_u32_e32 v2, s3, v1
	v_ashrrev_i32_e32 v1, 31, v0
	s_mov_b32 s3, 0
	v_lshl_add_u32 v4, v2, 2, 0x600
	s_delay_alu instid0(VALU_DEP_2)
	v_lshl_add_u64 v[2:3], v[0:1], 2, s[14:15]
.LBB62_12:                              ; =>This Inner Loop Header: Depth=1
	global_load_b32 v1, v[2:3], off
	v_add_nc_u32_e32 v0, 16, v0
	s_wait_xcnt 0x0
	v_add_nc_u64_e32 v[2:3], 64, v[2:3]
	s_delay_alu instid0(VALU_DEP_2)
	v_cmp_lt_i32_e32 vcc_lo, s26, v0
	s_or_b32 s3, vcc_lo, s3
	s_wait_loadcnt 0x0
	v_subrev_nc_u32_e32 v1, s17, v1
	ds_store_b32 v4, v1
	v_add_nc_u32_e32 v4, 64, v4
	s_and_not1_b32 exec_lo, exec_lo, s3
	s_cbranch_execnz .LBB62_12
.LBB62_13:
	s_or_b32 exec_lo, exec_lo, s2
	s_load_b64 s[2:3], s[0:1], 0x20
	s_movk_i32 s18, 0x50
	v_mov_b32_e32 v0, 0
	v_mad_u32_u24 v16, v13, s18, 0x3c0
	s_mov_b32 s18, 0
	s_cmp_lt_i32 s27, s26
	s_delay_alu instid0(VALU_DEP_2) | instskip(NEXT) | instid1(VALU_DEP_2)
	v_dual_mov_b32 v1, v0 :: v_dual_mov_b32 v2, v0
	v_lshl_add_u32 v14, v12, 4, v16
	v_mov_b32_e32 v3, v0
	ds_store_b128 v14, v[0:3]
	s_wait_dscnt 0x0
	s_cbranch_scc1 .LBB62_17
; %bb.14:
	v_lshl_add_u32 v19, v12, 2, v13
	v_or_b32_e32 v15, v12, v13
	s_load_b32 s28, s[0:1], 0x0
	s_and_not1_b32 vcc_lo, exec_lo, s18
	s_cbranch_vccz .LBB62_18
	s_branch .LBB62_60
.LBB62_15:
	s_cbranch_execnz .LBB62_115
.LBB62_16:
	s_endpgm
.LBB62_17:
                                        ; implicit-def: $vgpr19
                                        ; implicit-def: $vgpr15
	s_load_b32 s28, s[0:1], 0x0
.LBB62_18:
	v_dual_lshlrev_b32 v20, 2, v12 :: v_dual_lshlrev_b32 v0, 4, v12
	s_wait_xcnt 0x0
	s_movk_i32 s0, 0x50
	s_movk_i32 s1, 0x140
	s_wait_kmcnt 0x0
	s_cmp_lg_u32 s28, 0
	v_mad_u32_u24 v21, v13, s0, 0x280
	v_mad_u32_u24 v22, 0x50, v13, s1
	v_add_nc_u32_e32 v19, v20, v13
	v_or_b32_e32 v15, v12, v13
	s_cselect_b32 s29, -1, 0
	s_cmp_eq_u32 s28, 0
	v_add_nc_u32_e32 v23, v21, v0
	s_cselect_b32 vcc_lo, -1, 0
	v_mad_u32_u24 v24, 0x50, v13, v0
	v_add_nc_u32_e32 v25, v22, v0
	v_mad_u32_u24 v26, v12, s0, 0x280
	v_cmp_ne_u32_e64 s0, 0, v15
	v_dual_cndmask_b32 v27, v19, v17 :: v_dual_mov_b32 v28, 0
	s_mov_b32 s18, s27
	s_branch .LBB62_22
.LBB62_19:                              ;   in Loop: Header=BB62_22 Depth=1
	s_wait_xcnt 0x0
	s_or_b32 exec_lo, exec_lo, s20
	v_mov_b64_e32 v[8:9], 0
	v_mov_b64_e32 v[6:7], 1.0
.LBB62_20:                              ;   in Loop: Header=BB62_22 Depth=1
	s_or_b32 exec_lo, exec_lo, s1
	s_delay_alu instid0(VALU_DEP_1)
	v_mul_f64_e32 v[10:11], v[8:9], v[8:9]
	ds_load_b128 v[30:33], v28 offset:240
	ds_load_b128 v[34:37], v21
	ds_load_b128 v[38:41], v22 offset:48
	ds_load_b128 v[42:45], v28 offset:256
	;; [unrolled: 1-line block ×3, first 2 shown]
	s_add_co_i32 s18, s18, 1
	s_delay_alu instid0(SALU_CYCLE_1)
	s_cmp_ge_i32 s18, s26
	s_cselect_b32 s23, -1, 0
	s_wait_dscnt 0x2
	v_fmac_f64_e32 v[40:41], v[32:33], v[34:35]
	v_fmac_f64_e32 v[38:39], v[30:31], v[34:35]
	;; [unrolled: 1-line block ×3, first 2 shown]
	s_delay_alu instid0(VALU_DEP_3) | instskip(NEXT) | instid1(VALU_DEP_3)
	v_fma_f64 v[30:31], v[30:31], -v[36:37], v[40:41]
	v_fmac_f64_e32 v[38:39], v[32:33], v[36:37]
	s_delay_alu instid0(VALU_DEP_3) | instskip(SKIP_1) | instid1(VALU_DEP_3)
	v_div_scale_f64 v[50:51], null, v[10:11], v[10:11], 1.0
	s_wait_dscnt 0x0
	v_fmac_f64_e32 v[30:31], v[44:45], v[46:47]
	s_delay_alu instid0(VALU_DEP_3) | instskip(NEXT) | instid1(VALU_DEP_3)
	v_fmac_f64_e32 v[38:39], v[42:43], v[46:47]
	v_rcp_f64_e32 v[52:53], v[50:51]
	s_delay_alu instid0(VALU_DEP_2) | instskip(NEXT) | instid1(VALU_DEP_2)
	v_fma_f64 v[40:41], v[42:43], -v[48:49], v[30:31]
	v_fmac_f64_e32 v[38:39], v[44:45], v[48:49]
	v_div_scale_f64 v[44:45], vcc_lo, 1.0, v[10:11], 1.0
	s_delay_alu instid0(TRANS32_DEP_1) | instskip(NEXT) | instid1(VALU_DEP_1)
	v_fma_f64 v[34:35], -v[50:51], v[52:53], 1.0
	v_fmac_f64_e32 v[52:53], v[52:53], v[34:35]
	ds_load_b128 v[30:33], v21 offset:32
	ds_load_b128 v[34:37], v28 offset:272
	s_wait_dscnt 0x0
	v_fmac_f64_e32 v[40:41], v[36:37], v[30:31]
	v_fmac_f64_e32 v[38:39], v[34:35], v[30:31]
	v_fma_f64 v[42:43], -v[50:51], v[52:53], 1.0
	s_delay_alu instid0(VALU_DEP_3) | instskip(NEXT) | instid1(VALU_DEP_3)
	v_fma_f64 v[30:31], v[34:35], -v[32:33], v[40:41]
	v_fmac_f64_e32 v[38:39], v[36:37], v[32:33]
	s_delay_alu instid0(VALU_DEP_3) | instskip(NEXT) | instid1(VALU_DEP_3)
	v_fmac_f64_e32 v[52:53], v[52:53], v[42:43]
	v_add_f64_e64 v[2:3], v[2:3], -v[30:31]
	s_delay_alu instid0(VALU_DEP_3) | instskip(NEXT) | instid1(VALU_DEP_3)
	v_add_f64_e64 v[0:1], v[0:1], -v[38:39]
	v_mul_f64_e32 v[34:35], v[44:45], v[52:53]
	s_delay_alu instid0(VALU_DEP_3) | instskip(NEXT) | instid1(VALU_DEP_3)
	v_mul_f64_e32 v[32:33], v[8:9], v[2:3]
	v_mul_f64_e64 v[8:9], v[8:9], -v[0:1]
	s_delay_alu instid0(VALU_DEP_3) | instskip(NEXT) | instid1(VALU_DEP_3)
	v_fma_f64 v[30:31], -v[50:51], v[34:35], v[44:45]
	v_fmac_f64_e32 v[32:33], v[0:1], v[6:7]
	s_delay_alu instid0(VALU_DEP_3) | instskip(NEXT) | instid1(VALU_DEP_3)
	v_fmac_f64_e32 v[8:9], v[2:3], v[6:7]
	v_div_fmas_f64 v[30:31], v[30:31], v[52:53], v[34:35]
	s_delay_alu instid0(VALU_DEP_1) | instskip(NEXT) | instid1(VALU_DEP_1)
	v_div_fixup_f64 v[10:11], v[30:31], v[10:11], 1.0
	v_mul_f64_e32 v[0:1], v[10:11], v[32:33]
	s_delay_alu instid0(VALU_DEP_4)
	v_mul_f64_e32 v[2:3], v[10:11], v[8:9]
	ds_store_b128 v21, v[0:3] offset:48
	s_wait_storecnt_dscnt 0x0
	ds_load_b128 v[6:9], v26 offset:48
	ds_load_b128 v[30:33], v14
	s_wait_dscnt 0x0
	v_fmac_f64_e32 v[30:31], v[0:1], v[6:7]
	v_fmac_f64_e32 v[32:33], v[2:3], v[6:7]
	s_delay_alu instid0(VALU_DEP_2) | instskip(NEXT) | instid1(VALU_DEP_2)
	v_fmac_f64_e32 v[30:31], v[2:3], v[8:9]
	v_fma_f64 v[32:33], v[0:1], -v[8:9], v[32:33]
	ds_store_b128 v14, v[30:33]
	s_wait_dscnt 0x0
	ds_load_2addr_b64 v[0:3], v23 offset1:1
	s_wait_dscnt 0x0
	global_store_b128 v[4:5], v[0:3], off
	global_wb scope:SCOPE_DEV
	s_wait_storecnt 0x0
	global_inv scope:SCOPE_DEV
.LBB62_21:                              ;   in Loop: Header=BB62_22 Depth=1
	s_and_b32 vcc_lo, exec_lo, s23
	s_cbranch_vccnz .LBB62_60
.LBB62_22:                              ; =>This Loop Header: Depth=1
                                        ;     Child Loop BB62_25 Depth 2
                                        ;     Child Loop BB62_36 Depth 2
	;; [unrolled: 1-line block ×3, first 2 shown]
	s_ashr_i32 s19, s18, 31
	s_delay_alu instid0(SALU_CYCLE_1) | instskip(NEXT) | instid1(SALU_CYCLE_1)
	s_lshl_b64 s[20:21], s[18:19], 2
	s_add_nc_u64 s[20:21], s[14:15], s[20:21]
	s_load_b32 s19, s[20:21], 0x0
	s_wait_kmcnt 0x0
	s_sub_co_i32 s22, s19, s17
	s_delay_alu instid0(SALU_CYCLE_1)
	s_ashr_i32 s23, s22, 31
	s_wait_xcnt 0x0
	s_lshl_b64 s[20:21], s[22:23], 2
	s_mov_b32 s23, -1
	s_add_nc_u64 s[24:25], s[4:5], s[20:21]
	s_load_b32 s1, s[24:25], 0x0
	s_wait_kmcnt 0x0
	s_cmp_eq_u32 s1, -1
	s_cbranch_scc1 .LBB62_21
; %bb.23:                               ;   in Loop: Header=BB62_22 Depth=1
	v_lshl_add_u32 v0, s18, 4, v27
	s_wait_xcnt 0x0
	s_add_nc_u64 s[24:25], s[12:13], s[20:21]
	ds_load_b32 v1, v28 offset:1536
	s_load_b32 s23, s[24:25], 0x0
	global_load_b128 v[2:5], v0, s[2:3] scale_offset
	s_wait_dscnt 0x0
	v_cmp_ge_i32_e32 vcc_lo, s22, v1
	s_wait_kmcnt 0x0
	s_sub_co_i32 s24, s23, s17
	s_delay_alu instid0(SALU_CYCLE_1) | instskip(SKIP_1) | instid1(SALU_CYCLE_1)
	s_cmp_le_i32 s24, s1
	s_cselect_b32 s23, -1, 0
	s_and_b32 s23, s23, vcc_lo
	s_delay_alu instid0(SALU_CYCLE_1)
	s_and_not1_b32 vcc_lo, exec_lo, s23
	s_mov_b32 s23, 0
	s_wait_loadcnt 0x0
	ds_store_2addr_b64 v23, v[2:3], v[4:5] offset1:1
	s_cbranch_vccnz .LBB62_35
; %bb.24:                               ;   in Loop: Header=BB62_22 Depth=1
	s_mov_b32 s30, 0
	s_mov_b32 s31, 0
.LBB62_25:                              ;   Parent Loop BB62_22 Depth=1
                                        ; =>  This Inner Loop Header: Depth=2
	s_ashr_i32 s25, s24, 31
	s_lshl_b32 s23, s31, 2
	s_lshl_b64 s[34:35], s[24:25], 2
	v_mov_b32_e32 v1, s23
	s_add_nc_u64 s[34:35], s[14:15], s[34:35]
                                        ; implicit-def: $sgpr33
	s_load_b32 s23, s[34:35], 0x0
	s_wait_xcnt 0x0
	s_mov_b32 s35, -1
	ds_load_b32 v1, v1 offset:1536
                                        ; implicit-def: $sgpr34
	s_wait_kmcnt 0x0
	s_sub_co_i32 s36, s23, s17
                                        ; implicit-def: $sgpr23
	s_wait_dscnt 0x0
	v_readfirstlane_b32 s25, v1
	v_cmp_ge_i32_e32 vcc_lo, s36, v1
	s_cbranch_vccz .LBB62_31
; %bb.26:                               ;   in Loop: Header=BB62_25 Depth=2
	s_cmp_le_i32 s36, s25
                                        ; implicit-def: $sgpr23
                                        ; implicit-def: $sgpr34
                                        ; implicit-def: $sgpr33
	s_cbranch_scc0 .LBB62_28
; %bb.27:                               ;   in Loop: Header=BB62_25 Depth=2
	s_add_co_i32 s23, s31, s27
	s_lshl_b32 s33, s30, 2
	s_lshl_b32 s23, s23, 4
	;; [unrolled: 1-line block ×3, first 2 shown]
	s_delay_alu instid0(SALU_CYCLE_1)
	v_dual_mov_b32 v1, s23 :: v_dual_mov_b32 v2, s34
	v_add_nc_u32_e64 v3, 0x400, s33
	s_add_co_i32 s33, s31, 1
	s_add_co_i32 s34, s24, 1
	;; [unrolled: 1-line block ×3, first 2 shown]
	s_mov_b32 s35, 0
	ds_store_2addr_b32 v3, v2, v1 offset0:64 offset1:96
.LBB62_28:                              ;   in Loop: Header=BB62_25 Depth=2
	s_and_not1_b32 vcc_lo, exec_lo, s35
	s_cbranch_vccnz .LBB62_30
; %bb.29:                               ;   in Loop: Header=BB62_25 Depth=2
	s_add_co_i32 s33, s31, 1
	s_mov_b32 s23, s30
	s_mov_b32 s34, s24
.LBB62_30:                              ;   in Loop: Header=BB62_25 Depth=2
	s_mov_b32 s35, 0
.LBB62_31:                              ;   in Loop: Header=BB62_25 Depth=2
	s_delay_alu instid0(SALU_CYCLE_1)
	s_and_not1_b32 vcc_lo, exec_lo, s35
	s_cbranch_vccnz .LBB62_33
; %bb.32:                               ;   in Loop: Header=BB62_25 Depth=2
	s_add_co_i32 s34, s24, 1
	s_mov_b32 s33, s31
	s_mov_b32 s23, s30
.LBB62_33:                              ;   in Loop: Header=BB62_25 Depth=2
	s_cmp_le_i32 s34, s1
	s_cselect_b32 s24, -1, 0
	s_cmp_le_i32 s25, s22
	s_cselect_b32 s25, -1, 0
	s_delay_alu instid0(SALU_CYCLE_1) | instskip(NEXT) | instid1(SALU_CYCLE_1)
	s_and_b32 s24, s24, s25
	s_and_b32 vcc_lo, exec_lo, s24
	s_cbranch_vccz .LBB62_35
; %bb.34:                               ;   in Loop: Header=BB62_25 Depth=2
	s_mov_b32 s30, s23
	s_mov_b32 s24, s34
	;; [unrolled: 1-line block ×3, first 2 shown]
	s_branch .LBB62_25
.LBB62_35:                              ;   in Loop: Header=BB62_22 Depth=1
	v_ashrrev_i32_e32 v1, 31, v0
	s_add_nc_u64 s[20:21], s[6:7], s[20:21]
	s_wait_dscnt 0x0
	s_delay_alu instid0(VALU_DEP_1)
	v_lshl_add_u64 v[4:5], v[0:1], 4, s[2:3]
.LBB62_36:                              ;   Parent Loop BB62_22 Depth=1
                                        ; =>  This Inner Loop Header: Depth=2
	global_load_b32 v0, v28, s[20:21] scope:SCOPE_DEV
	s_wait_loadcnt 0x0
	v_cmp_eq_u32_e32 vcc_lo, 0, v0
	s_cbranch_vccnz .LBB62_36
; %bb.37:                               ;   in Loop: Header=BB62_22 Depth=1
	v_lshl_add_u32 v0, s1, 4, v27
	global_inv scope:SCOPE_DEV
	v_mov_b64_e32 v[2:3], 0
	s_cmp_lt_i32 s23, 2
	global_load_b128 v[6:9], v0, s[2:3] scale_offset
	s_wait_xcnt 0x0
	v_mov_b64_e32 v[0:1], 0
	s_wait_loadcnt 0x0
	ds_store_2addr_b64 v24, v[6:7], v[8:9] offset1:1
	s_wait_dscnt 0x0
	s_cbranch_scc1 .LBB62_45
; %bb.38:                               ;   in Loop: Header=BB62_22 Depth=1
	v_mov_b64_e32 v[8:9], 0
	v_mov_b64_e32 v[6:7], 0
	s_add_co_i32 s1, s23, -1
	s_movk_i32 s20, 0x500
.LBB62_39:                              ;   Parent Loop BB62_22 Depth=1
                                        ; =>  This Inner Loop Header: Depth=2
	s_delay_alu instid0(SALU_CYCLE_1)
	v_mov_b32_e32 v0, s20
	s_and_b32 vcc_lo, exec_lo, s29
	s_mov_b32 s21, -1
	s_wait_dscnt 0x0
	ds_load_2addr_b32 v[10:11], v0 offset1:32
                                        ; implicit-def: $vgpr2_vgpr3
	s_cbranch_vccz .LBB62_42
; %bb.40:                               ;   in Loop: Header=BB62_39 Depth=2
	s_wait_dscnt 0x0
	v_dual_add_nc_u32 v0, v10, v12 :: v_dual_add_nc_u32 v1, v11, v13
	s_clause 0x1
	global_load_b128 v[30:33], v0, s[2:3] scale_offset
	global_load_b128 v[34:37], v1, s[2:3] scale_offset
	v_dual_add_nc_u32 v2, 4, v0 :: v_dual_add_nc_u32 v3, 4, v1
	s_clause 0x1
	global_load_b128 v[38:41], v2, s[2:3] scale_offset
	global_load_b128 v[42:45], v3, s[2:3] scale_offset
	s_wait_xcnt 0x0
	v_dual_add_nc_u32 v2, 8, v0 :: v_dual_add_nc_u32 v3, 8, v1
	v_dual_add_nc_u32 v0, 12, v0 :: v_dual_add_nc_u32 v1, 12, v1
	s_clause 0x3
	global_load_b128 v[46:49], v2, s[2:3] scale_offset
	global_load_b128 v[50:53], v3, s[2:3] scale_offset
	;; [unrolled: 1-line block ×4, first 2 shown]
	s_wait_loadcnt 0x6
	s_wait_xcnt 0x0
	v_fma_f64 v[0:1], v[30:31], v[34:35], v[6:7]
	v_fma_f64 v[2:3], v[32:33], v[34:35], v[8:9]
	s_delay_alu instid0(VALU_DEP_2) | instskip(NEXT) | instid1(VALU_DEP_2)
	v_fmac_f64_e32 v[0:1], v[32:33], v[36:37]
	v_fma_f64 v[2:3], v[30:31], -v[36:37], v[2:3]
	s_wait_loadcnt 0x4
	s_delay_alu instid0(VALU_DEP_2) | instskip(NEXT) | instid1(VALU_DEP_2)
	v_fmac_f64_e32 v[0:1], v[38:39], v[42:43]
	v_fmac_f64_e32 v[2:3], v[40:41], v[42:43]
	s_delay_alu instid0(VALU_DEP_2) | instskip(NEXT) | instid1(VALU_DEP_2)
	v_fmac_f64_e32 v[0:1], v[40:41], v[44:45]
	v_fma_f64 v[2:3], v[38:39], -v[44:45], v[2:3]
	s_wait_loadcnt 0x2
	s_delay_alu instid0(VALU_DEP_2) | instskip(NEXT) | instid1(VALU_DEP_2)
	v_fmac_f64_e32 v[0:1], v[46:47], v[50:51]
	v_fmac_f64_e32 v[2:3], v[48:49], v[50:51]
	;; [unrolled: 7-line block ×3, first 2 shown]
	s_delay_alu instid0(VALU_DEP_2) | instskip(NEXT) | instid1(VALU_DEP_2)
	v_fmac_f64_e32 v[0:1], v[56:57], v[60:61]
	v_fma_f64 v[2:3], v[54:55], -v[60:61], v[2:3]
	s_cbranch_execz .LBB62_43
.LBB62_41:                              ;   in Loop: Header=BB62_39 Depth=2
	s_add_co_i32 s1, s1, -1
	s_add_co_i32 s20, s20, 4
	s_cmp_eq_u32 s1, 0
	s_cbranch_scc0 .LBB62_44
	s_branch .LBB62_45
.LBB62_42:                              ;   in Loop: Header=BB62_39 Depth=2
	s_and_not1_b32 vcc_lo, exec_lo, s21
	s_cbranch_vccnz .LBB62_41
.LBB62_43:                              ;   in Loop: Header=BB62_39 Depth=2
	s_wait_dscnt 0x0
	v_dual_add_nc_u32 v11, v11, v18 :: v_dual_add_nc_u32 v10, v10, v20
	s_clause 0x7
	global_load_b128 v[0:3], v11, s[2:3] scale_offset
	global_load_b128 v[30:33], v10, s[2:3] scale_offset
	global_load_b128 v[34:37], v10, s[2:3] offset:16 scale_offset
	global_load_b128 v[38:41], v11, s[2:3] offset:16 scale_offset
	;; [unrolled: 1-line block ×6, first 2 shown]
	s_wait_loadcnt 0x6
	v_fmac_f64_e32 v[6:7], v[30:31], v[0:1]
	v_fmac_f64_e32 v[8:9], v[32:33], v[0:1]
	s_delay_alu instid0(VALU_DEP_2) | instskip(NEXT) | instid1(VALU_DEP_2)
	v_fmac_f64_e32 v[6:7], v[32:33], v[2:3]
	v_fma_f64 v[0:1], v[30:31], -v[2:3], v[8:9]
	s_wait_loadcnt 0x4
	s_delay_alu instid0(VALU_DEP_2) | instskip(NEXT) | instid1(VALU_DEP_2)
	v_fmac_f64_e32 v[6:7], v[34:35], v[38:39]
	v_fmac_f64_e32 v[0:1], v[36:37], v[38:39]
	s_delay_alu instid0(VALU_DEP_2) | instskip(NEXT) | instid1(VALU_DEP_2)
	v_fmac_f64_e32 v[6:7], v[36:37], v[40:41]
	v_fma_f64 v[0:1], v[34:35], -v[40:41], v[0:1]
	s_wait_loadcnt 0x2
	s_delay_alu instid0(VALU_DEP_2) | instskip(NEXT) | instid1(VALU_DEP_2)
	;; [unrolled: 7-line block ×3, first 2 shown]
	v_fmac_f64_e32 v[6:7], v[50:51], v[54:55]
	v_fmac_f64_e32 v[0:1], v[52:53], v[54:55]
	s_delay_alu instid0(VALU_DEP_2) | instskip(NEXT) | instid1(VALU_DEP_2)
	v_fmac_f64_e32 v[6:7], v[52:53], v[56:57]
	v_fma_f64 v[2:3], v[50:51], -v[56:57], v[0:1]
	s_delay_alu instid0(VALU_DEP_2)
	v_mov_b64_e32 v[0:1], v[6:7]
	s_add_co_i32 s1, s1, -1
	s_add_co_i32 s20, s20, 4
	s_cmp_eq_u32 s1, 0
	s_cbranch_scc1 .LBB62_45
.LBB62_44:                              ;   in Loop: Header=BB62_39 Depth=2
	s_delay_alu instid0(VALU_DEP_1) | instskip(NEXT) | instid1(VALU_DEP_2)
	v_mov_b64_e32 v[8:9], v[2:3]
	v_mov_b64_e32 v[6:7], v[0:1]
	s_branch .LBB62_39
.LBB62_45:                              ;   in Loop: Header=BB62_22 Depth=1
	ds_store_b128 v25, v[0:3]
	s_wait_dscnt 0x0
	ds_load_b128 v[6:9], v28
	ds_load_b128 v[0:3], v21
	s_wait_dscnt 0x1
	v_cmp_neq_f64_e32 vcc_lo, 0, v[6:7]
	v_cmp_neq_f64_e64 s1, 0, v[8:9]
	s_or_b32 vcc_lo, vcc_lo, s1
	v_cndmask_b32_e32 v7, 0x3ff00000, v7, vcc_lo
	v_dual_cndmask_b32 v6, 0, v6 :: v_dual_cndmask_b32 v9, 0, v9
	v_cndmask_b32_e32 v8, 0, v8, vcc_lo
	s_nor_b32 s20, vcc_lo, s0
	s_delay_alu instid0(SALU_CYCLE_1)
	s_and_saveexec_b32 s1, s20
	s_cbranch_execz .LBB62_49
; %bb.46:                               ;   in Loop: Header=BB62_22 Depth=1
	v_mbcnt_lo_u32_b32 v6, exec_lo, 0
	s_mov_b32 s20, exec_lo
	s_delay_alu instid0(VALU_DEP_1)
	v_cmpx_eq_u32_e32 0, v6
	s_cbranch_execz .LBB62_48
; %bb.47:                               ;   in Loop: Header=BB62_22 Depth=1
	v_mov_b32_e32 v6, s19
	global_atomic_min_i32 v28, v6, s[10:11] scope:SCOPE_DEV
.LBB62_48:                              ;   in Loop: Header=BB62_22 Depth=1
	s_wait_xcnt 0x0
	s_or_b32 exec_lo, exec_lo, s20
	v_mov_b64_e32 v[8:9], 0
	v_mov_b64_e32 v[6:7], 1.0
.LBB62_49:                              ;   in Loop: Header=BB62_22 Depth=1
	s_or_b32 exec_lo, exec_lo, s1
	s_delay_alu instid0(VALU_DEP_1) | instskip(NEXT) | instid1(VALU_DEP_1)
	v_mul_f64_e32 v[10:11], v[8:9], v[8:9]
	v_fmac_f64_e32 v[10:11], v[6:7], v[6:7]
	s_delay_alu instid0(VALU_DEP_1) | instskip(SKIP_1) | instid1(VALU_DEP_2)
	v_div_scale_f64 v[34:35], null, v[10:11], v[10:11], 1.0
	v_div_scale_f64 v[38:39], vcc_lo, 1.0, v[10:11], 1.0
	v_rcp_f64_e32 v[36:37], v[34:35]
	v_nop
	s_delay_alu instid0(TRANS32_DEP_1) | instskip(NEXT) | instid1(VALU_DEP_1)
	v_fma_f64 v[30:31], -v[34:35], v[36:37], 1.0
	v_fmac_f64_e32 v[36:37], v[36:37], v[30:31]
	s_delay_alu instid0(VALU_DEP_1) | instskip(NEXT) | instid1(VALU_DEP_1)
	v_fma_f64 v[30:31], -v[34:35], v[36:37], 1.0
	v_fmac_f64_e32 v[36:37], v[36:37], v[30:31]
	ds_load_b128 v[30:33], v22
	s_wait_dscnt 0x0
	v_add_f64_e64 v[2:3], v[2:3], -v[32:33]
	v_add_f64_e64 v[0:1], v[0:1], -v[30:31]
	v_mul_f64_e32 v[40:41], v[38:39], v[36:37]
	s_delay_alu instid0(VALU_DEP_3) | instskip(NEXT) | instid1(VALU_DEP_3)
	v_mul_f64_e32 v[30:31], v[8:9], v[2:3]
	v_mul_f64_e64 v[8:9], v[8:9], -v[0:1]
	s_delay_alu instid0(VALU_DEP_3) | instskip(NEXT) | instid1(VALU_DEP_3)
	v_fma_f64 v[32:33], -v[34:35], v[40:41], v[38:39]
	v_fmac_f64_e32 v[30:31], v[0:1], v[6:7]
	s_delay_alu instid0(VALU_DEP_3) | instskip(NEXT) | instid1(VALU_DEP_3)
	v_fmac_f64_e32 v[8:9], v[2:3], v[6:7]
	v_div_fmas_f64 v[32:33], v[32:33], v[36:37], v[40:41]
	s_delay_alu instid0(VALU_DEP_1) | instskip(NEXT) | instid1(VALU_DEP_1)
	v_div_fixup_f64 v[10:11], v[32:33], v[10:11], 1.0
	v_mul_f64_e32 v[0:1], v[10:11], v[30:31]
	s_delay_alu instid0(VALU_DEP_4)
	v_mul_f64_e32 v[2:3], v[10:11], v[8:9]
	ds_store_b128 v21, v[0:3]
	s_wait_storecnt_dscnt 0x0
	ds_load_b128 v[6:9], v26
	ds_load_b128 v[30:33], v14
	s_wait_dscnt 0x0
	v_fmac_f64_e32 v[30:31], v[0:1], v[6:7]
	v_fmac_f64_e32 v[32:33], v[2:3], v[6:7]
	s_delay_alu instid0(VALU_DEP_2) | instskip(NEXT) | instid1(VALU_DEP_2)
	v_fmac_f64_e32 v[30:31], v[2:3], v[8:9]
	v_fma_f64 v[32:33], v[0:1], -v[8:9], v[32:33]
	ds_store_b128 v14, v[30:33]
	s_wait_dscnt 0x0
	ds_load_b128 v[6:9], v28 offset:96
	ds_load_b128 v[0:3], v21 offset:16
	s_wait_dscnt 0x1
	v_cmp_neq_f64_e32 vcc_lo, 0, v[6:7]
	v_cmp_neq_f64_e64 s1, 0, v[8:9]
	s_or_b32 vcc_lo, vcc_lo, s1
	v_cndmask_b32_e32 v7, 0x3ff00000, v7, vcc_lo
	v_dual_cndmask_b32 v6, 0, v6 :: v_dual_cndmask_b32 v9, 0, v9
	v_cndmask_b32_e32 v8, 0, v8, vcc_lo
	s_nor_b32 s20, vcc_lo, s0
	s_delay_alu instid0(SALU_CYCLE_1)
	s_and_saveexec_b32 s1, s20
	s_cbranch_execz .LBB62_53
; %bb.50:                               ;   in Loop: Header=BB62_22 Depth=1
	v_mbcnt_lo_u32_b32 v6, exec_lo, 0
	s_mov_b32 s20, exec_lo
	s_delay_alu instid0(VALU_DEP_1)
	v_cmpx_eq_u32_e32 0, v6
	s_cbranch_execz .LBB62_52
; %bb.51:                               ;   in Loop: Header=BB62_22 Depth=1
	v_mov_b32_e32 v6, s19
	global_atomic_min_i32 v28, v6, s[10:11] scope:SCOPE_DEV
.LBB62_52:                              ;   in Loop: Header=BB62_22 Depth=1
	s_wait_xcnt 0x0
	s_or_b32 exec_lo, exec_lo, s20
	v_mov_b64_e32 v[8:9], 0
	v_mov_b64_e32 v[6:7], 1.0
.LBB62_53:                              ;   in Loop: Header=BB62_22 Depth=1
	s_or_b32 exec_lo, exec_lo, s1
	s_delay_alu instid0(VALU_DEP_1) | instskip(NEXT) | instid1(VALU_DEP_1)
	v_mul_f64_e32 v[10:11], v[8:9], v[8:9]
	v_fmac_f64_e32 v[10:11], v[6:7], v[6:7]
	s_delay_alu instid0(VALU_DEP_1) | instskip(SKIP_1) | instid1(VALU_DEP_2)
	v_div_scale_f64 v[42:43], null, v[10:11], v[10:11], 1.0
	v_div_scale_f64 v[48:49], vcc_lo, 1.0, v[10:11], 1.0
	v_rcp_f64_e32 v[44:45], v[42:43]
	v_nop
	s_delay_alu instid0(TRANS32_DEP_1) | instskip(NEXT) | instid1(VALU_DEP_1)
	v_fma_f64 v[30:31], -v[42:43], v[44:45], 1.0
	v_fmac_f64_e32 v[44:45], v[44:45], v[30:31]
	ds_load_b128 v[30:33], v28 offset:80
	ds_load_b128 v[34:37], v21
	ds_load_b128 v[38:41], v22 offset:16
	s_wait_dscnt 0x0
	v_fmac_f64_e32 v[40:41], v[32:33], v[34:35]
	v_fmac_f64_e32 v[38:39], v[30:31], v[34:35]
	v_fma_f64 v[46:47], -v[42:43], v[44:45], 1.0
	s_delay_alu instid0(VALU_DEP_3) | instskip(NEXT) | instid1(VALU_DEP_3)
	v_fma_f64 v[30:31], v[30:31], -v[36:37], v[40:41]
	v_fmac_f64_e32 v[38:39], v[32:33], v[36:37]
	s_delay_alu instid0(VALU_DEP_3) | instskip(NEXT) | instid1(VALU_DEP_3)
	v_fmac_f64_e32 v[44:45], v[44:45], v[46:47]
	v_add_f64_e64 v[2:3], v[2:3], -v[30:31]
	s_delay_alu instid0(VALU_DEP_3) | instskip(NEXT) | instid1(VALU_DEP_3)
	v_add_f64_e64 v[0:1], v[0:1], -v[38:39]
	v_mul_f64_e32 v[34:35], v[48:49], v[44:45]
	s_delay_alu instid0(VALU_DEP_3) | instskip(NEXT) | instid1(VALU_DEP_3)
	v_mul_f64_e32 v[32:33], v[8:9], v[2:3]
	v_mul_f64_e64 v[8:9], v[8:9], -v[0:1]
	s_delay_alu instid0(VALU_DEP_3) | instskip(NEXT) | instid1(VALU_DEP_3)
	v_fma_f64 v[30:31], -v[42:43], v[34:35], v[48:49]
	v_fmac_f64_e32 v[32:33], v[0:1], v[6:7]
	s_delay_alu instid0(VALU_DEP_3) | instskip(NEXT) | instid1(VALU_DEP_3)
	v_fmac_f64_e32 v[8:9], v[2:3], v[6:7]
	v_div_fmas_f64 v[30:31], v[30:31], v[44:45], v[34:35]
	s_delay_alu instid0(VALU_DEP_1) | instskip(NEXT) | instid1(VALU_DEP_1)
	v_div_fixup_f64 v[10:11], v[30:31], v[10:11], 1.0
	v_mul_f64_e32 v[0:1], v[10:11], v[32:33]
	s_delay_alu instid0(VALU_DEP_4)
	v_mul_f64_e32 v[2:3], v[10:11], v[8:9]
	ds_store_b128 v21, v[0:3] offset:16
	s_wait_storecnt_dscnt 0x0
	ds_load_b128 v[6:9], v26 offset:16
	ds_load_b128 v[30:33], v14
	s_wait_dscnt 0x0
	v_fmac_f64_e32 v[30:31], v[0:1], v[6:7]
	v_fmac_f64_e32 v[32:33], v[2:3], v[6:7]
	s_delay_alu instid0(VALU_DEP_2) | instskip(NEXT) | instid1(VALU_DEP_2)
	v_fmac_f64_e32 v[30:31], v[2:3], v[8:9]
	v_fma_f64 v[32:33], v[0:1], -v[8:9], v[32:33]
	ds_store_b128 v14, v[30:33]
	s_wait_dscnt 0x0
	ds_load_b128 v[6:9], v28 offset:192
	ds_load_b128 v[0:3], v21 offset:32
	s_wait_dscnt 0x1
	v_cmp_neq_f64_e32 vcc_lo, 0, v[6:7]
	v_cmp_neq_f64_e64 s1, 0, v[8:9]
	s_or_b32 vcc_lo, vcc_lo, s1
	v_cndmask_b32_e32 v7, 0x3ff00000, v7, vcc_lo
	v_dual_cndmask_b32 v6, 0, v6 :: v_dual_cndmask_b32 v9, 0, v9
	v_cndmask_b32_e32 v8, 0, v8, vcc_lo
	s_nor_b32 s20, vcc_lo, s0
	s_delay_alu instid0(SALU_CYCLE_1)
	s_and_saveexec_b32 s1, s20
	s_cbranch_execz .LBB62_57
; %bb.54:                               ;   in Loop: Header=BB62_22 Depth=1
	v_mbcnt_lo_u32_b32 v6, exec_lo, 0
	s_mov_b32 s20, exec_lo
	s_delay_alu instid0(VALU_DEP_1)
	v_cmpx_eq_u32_e32 0, v6
	s_cbranch_execz .LBB62_56
; %bb.55:                               ;   in Loop: Header=BB62_22 Depth=1
	v_mov_b32_e32 v6, s19
	global_atomic_min_i32 v28, v6, s[10:11] scope:SCOPE_DEV
.LBB62_56:                              ;   in Loop: Header=BB62_22 Depth=1
	s_wait_xcnt 0x0
	s_or_b32 exec_lo, exec_lo, s20
	v_mov_b64_e32 v[8:9], 0
	v_mov_b64_e32 v[6:7], 1.0
.LBB62_57:                              ;   in Loop: Header=BB62_22 Depth=1
	s_or_b32 exec_lo, exec_lo, s1
	s_delay_alu instid0(VALU_DEP_1)
	v_mul_f64_e32 v[10:11], v[8:9], v[8:9]
	ds_load_b128 v[30:33], v28 offset:160
	ds_load_b128 v[34:37], v22 offset:32
	ds_load_b128 v[38:41], v21
	ds_load_b128 v[42:45], v21 offset:16
	s_wait_dscnt 0x1
	v_fmac_f64_e32 v[36:37], v[32:33], v[38:39]
	v_fmac_f64_e32 v[34:35], v[30:31], v[38:39]
	;; [unrolled: 1-line block ×3, first 2 shown]
	s_delay_alu instid0(VALU_DEP_3) | instskip(NEXT) | instid1(VALU_DEP_3)
	v_fma_f64 v[36:37], v[30:31], -v[40:41], v[36:37]
	v_fmac_f64_e32 v[34:35], v[32:33], v[40:41]
	ds_load_b128 v[30:33], v28 offset:176
	v_div_scale_f64 v[46:47], null, v[10:11], v[10:11], 1.0
	v_div_scale_f64 v[40:41], vcc_lo, 1.0, v[10:11], 1.0
	s_wait_dscnt 0x0
	v_fmac_f64_e32 v[36:37], v[32:33], v[42:43]
	v_fmac_f64_e32 v[34:35], v[30:31], v[42:43]
	s_delay_alu instid0(VALU_DEP_4) | instskip(NEXT) | instid1(VALU_DEP_2)
	v_rcp_f64_e32 v[48:49], v[46:47]
	v_fma_f64 v[30:31], v[30:31], -v[44:45], v[36:37]
	s_delay_alu instid0(VALU_DEP_2) | instskip(NEXT) | instid1(TRANS32_DEP_1)
	v_fmac_f64_e32 v[34:35], v[32:33], v[44:45]
	v_fma_f64 v[50:51], -v[46:47], v[48:49], 1.0
	s_delay_alu instid0(VALU_DEP_3) | instskip(NEXT) | instid1(VALU_DEP_3)
	v_add_f64_e64 v[2:3], v[2:3], -v[30:31]
	v_add_f64_e64 v[0:1], v[0:1], -v[34:35]
	s_delay_alu instid0(VALU_DEP_3) | instskip(NEXT) | instid1(VALU_DEP_3)
	v_fmac_f64_e32 v[48:49], v[48:49], v[50:51]
	v_mul_f64_e32 v[32:33], v[8:9], v[2:3]
	s_delay_alu instid0(VALU_DEP_3) | instskip(NEXT) | instid1(VALU_DEP_3)
	v_mul_f64_e64 v[8:9], v[8:9], -v[0:1]
	v_fma_f64 v[38:39], -v[46:47], v[48:49], 1.0
	s_delay_alu instid0(VALU_DEP_3) | instskip(NEXT) | instid1(VALU_DEP_3)
	v_fmac_f64_e32 v[32:33], v[0:1], v[6:7]
	v_fmac_f64_e32 v[8:9], v[2:3], v[6:7]
	s_delay_alu instid0(VALU_DEP_3) | instskip(NEXT) | instid1(VALU_DEP_1)
	v_fmac_f64_e32 v[48:49], v[48:49], v[38:39]
	v_mul_f64_e32 v[36:37], v[40:41], v[48:49]
	s_delay_alu instid0(VALU_DEP_1) | instskip(NEXT) | instid1(VALU_DEP_1)
	v_fma_f64 v[30:31], -v[46:47], v[36:37], v[40:41]
	v_div_fmas_f64 v[30:31], v[30:31], v[48:49], v[36:37]
	s_delay_alu instid0(VALU_DEP_1) | instskip(NEXT) | instid1(VALU_DEP_1)
	v_div_fixup_f64 v[10:11], v[30:31], v[10:11], 1.0
	v_mul_f64_e32 v[0:1], v[10:11], v[32:33]
	v_mul_f64_e32 v[2:3], v[10:11], v[8:9]
	ds_store_b128 v21, v[0:3] offset:32
	s_wait_storecnt_dscnt 0x0
	ds_load_b128 v[6:9], v26 offset:32
	ds_load_b128 v[30:33], v14
	s_wait_dscnt 0x0
	v_fmac_f64_e32 v[30:31], v[0:1], v[6:7]
	v_fmac_f64_e32 v[32:33], v[2:3], v[6:7]
	s_delay_alu instid0(VALU_DEP_2) | instskip(NEXT) | instid1(VALU_DEP_2)
	v_fmac_f64_e32 v[30:31], v[2:3], v[8:9]
	v_fma_f64 v[32:33], v[0:1], -v[8:9], v[32:33]
	ds_store_b128 v14, v[30:33]
	s_wait_dscnt 0x0
	ds_load_b128 v[6:9], v28 offset:288
	ds_load_b128 v[0:3], v21 offset:48
	s_wait_dscnt 0x1
	v_cmp_neq_f64_e32 vcc_lo, 0, v[6:7]
	v_cmp_neq_f64_e64 s1, 0, v[8:9]
	s_or_b32 vcc_lo, vcc_lo, s1
	v_cndmask_b32_e32 v7, 0x3ff00000, v7, vcc_lo
	v_dual_cndmask_b32 v6, 0, v6 :: v_dual_cndmask_b32 v9, 0, v9
	v_cndmask_b32_e32 v8, 0, v8, vcc_lo
	s_nor_b32 s20, vcc_lo, s0
	s_delay_alu instid0(SALU_CYCLE_1)
	s_and_saveexec_b32 s1, s20
	s_cbranch_execz .LBB62_20
; %bb.58:                               ;   in Loop: Header=BB62_22 Depth=1
	v_mbcnt_lo_u32_b32 v6, exec_lo, 0
	s_mov_b32 s20, exec_lo
	s_delay_alu instid0(VALU_DEP_1)
	v_cmpx_eq_u32_e32 0, v6
	s_cbranch_execz .LBB62_19
; %bb.59:                               ;   in Loop: Header=BB62_22 Depth=1
	v_mov_b32_e32 v6, s19
	global_atomic_min_i32 v28, v6, s[10:11] scope:SCOPE_DEV
	s_branch .LBB62_19
.LBB62_60:
	s_wait_kmcnt 0x0
	s_cmp_eq_u32 s28, 0
	s_wait_xcnt 0x0
	s_movk_i32 s0, 0x50
	s_cselect_b32 vcc_lo, -1, 0
	v_mad_u32_u24 v9, v13, s0, 0x280
	v_cndmask_b32_e32 v0, v19, v17, vcc_lo
	v_cmp_ne_u32_e64 s1, 0, v13
	s_mov_b32 s0, exec_lo
	v_lshl_add_u32 v8, v12, 4, v9
	v_lshl_add_u32 v0, s26, 4, v0
	global_load_b128 v[2:5], v0, s[2:3] scale_offset
	v_ashrrev_i32_e32 v1, 31, v0
	s_wait_loadcnt 0x0
	ds_store_2addr_b64 v8, v[2:3], v[4:5] offset1:1
	s_wait_dscnt 0x0
	s_wait_xcnt 0x0
	v_cmpx_eq_u32_e32 0, v13
	s_cbranch_execz .LBB62_67
; %bb.61:
	v_mov_b32_e32 v6, 0
	ds_load_b128 v[2:5], v6 offset:960
	ds_load_b128 v[18:21], v6 offset:640
	s_wait_dscnt 0x0
	v_add_f64_e64 v[2:3], v[18:19], -v[2:3]
	v_add_f64_e64 v[6:7], v[20:21], -v[4:5]
	s_delay_alu instid0(VALU_DEP_2) | instskip(SKIP_1) | instid1(VALU_DEP_3)
	v_cmp_gt_f64_e32 vcc_lo, 0, v[2:3]
	v_xor_b32_e32 v4, 0x80000000, v3
	v_xor_b32_e32 v5, 0x80000000, v7
	s_delay_alu instid0(VALU_DEP_2) | instskip(SKIP_1) | instid1(VALU_DEP_3)
	v_dual_cndmask_b32 v3, v3, v4 :: v_dual_mov_b32 v4, v6
	v_cmp_gt_f64_e32 vcc_lo, 0, v[6:7]
	v_cndmask_b32_e32 v5, v7, v5, vcc_lo
	s_delay_alu instid0(VALU_DEP_1)
	v_cmp_ngt_f64_e32 vcc_lo, v[2:3], v[4:5]
	s_cbranch_vccz .LBB62_64
; %bb.62:
	v_cmp_eq_f64_e32 vcc_lo, 0, v[6:7]
	s_cbranch_vccnz .LBB62_119
; %bb.63:
	v_div_scale_f64 v[6:7], null, v[4:5], v[4:5], v[2:3]
	v_div_scale_f64 v[20:21], vcc_lo, v[2:3], v[4:5], v[2:3]
	s_delay_alu instid0(VALU_DEP_2) | instskip(SKIP_1) | instid1(TRANS32_DEP_1)
	v_rcp_f64_e32 v[10:11], v[6:7]
	v_nop
	v_fma_f64 v[18:19], -v[6:7], v[10:11], 1.0
	s_delay_alu instid0(VALU_DEP_1) | instskip(NEXT) | instid1(VALU_DEP_1)
	v_fmac_f64_e32 v[10:11], v[10:11], v[18:19]
	v_fma_f64 v[18:19], -v[6:7], v[10:11], 1.0
	s_delay_alu instid0(VALU_DEP_1) | instskip(NEXT) | instid1(VALU_DEP_1)
	v_fmac_f64_e32 v[10:11], v[10:11], v[18:19]
	v_mul_f64_e32 v[18:19], v[20:21], v[10:11]
	s_delay_alu instid0(VALU_DEP_1) | instskip(NEXT) | instid1(VALU_DEP_1)
	v_fma_f64 v[6:7], -v[6:7], v[18:19], v[20:21]
	v_div_fmas_f64 v[6:7], v[6:7], v[10:11], v[18:19]
	s_delay_alu instid0(VALU_DEP_1) | instskip(NEXT) | instid1(VALU_DEP_1)
	v_div_fixup_f64 v[6:7], v[6:7], v[4:5], v[2:3]
	v_fma_f64 v[6:7], v[6:7], v[6:7], 1.0
	s_delay_alu instid0(VALU_DEP_1) | instskip(SKIP_2) | instid1(SALU_CYCLE_1)
	v_cmp_gt_f64_e32 vcc_lo, 0x10000000, v[6:7]
	s_and_b32 s4, vcc_lo, exec_lo
	s_cselect_b32 s4, 0x100, 0
	v_ldexp_f64 v[6:7], v[6:7], s4
	s_cselect_b32 s4, 0xffffff80, 0
	s_delay_alu instid0(VALU_DEP_1) | instskip(SKIP_1) | instid1(TRANS32_DEP_1)
	v_rsq_f64_e32 v[10:11], v[6:7]
	v_cmp_class_f64_e64 vcc_lo, v[6:7], 0x260
	v_mul_f64_e32 v[18:19], v[6:7], v[10:11]
	v_mul_f64_e32 v[10:11], 0.5, v[10:11]
	s_delay_alu instid0(VALU_DEP_1) | instskip(NEXT) | instid1(VALU_DEP_1)
	v_fma_f64 v[20:21], -v[10:11], v[18:19], 0.5
	v_fmac_f64_e32 v[18:19], v[18:19], v[20:21]
	v_fmac_f64_e32 v[10:11], v[10:11], v[20:21]
	s_delay_alu instid0(VALU_DEP_2) | instskip(NEXT) | instid1(VALU_DEP_1)
	v_fma_f64 v[20:21], -v[18:19], v[18:19], v[6:7]
	v_fmac_f64_e32 v[18:19], v[20:21], v[10:11]
	s_delay_alu instid0(VALU_DEP_1) | instskip(NEXT) | instid1(VALU_DEP_1)
	v_fma_f64 v[20:21], -v[18:19], v[18:19], v[6:7]
	v_fmac_f64_e32 v[18:19], v[20:21], v[10:11]
	s_delay_alu instid0(VALU_DEP_1) | instskip(NEXT) | instid1(VALU_DEP_1)
	v_ldexp_f64 v[10:11], v[18:19], s4
	v_dual_cndmask_b32 v7, v11, v7 :: v_dual_cndmask_b32 v6, v10, v6
	s_delay_alu instid0(VALU_DEP_1)
	v_mul_f64_e32 v[6:7], v[4:5], v[6:7]
	s_cbranch_execz .LBB62_65
	s_branch .LBB62_66
.LBB62_64:
                                        ; implicit-def: $vgpr6_vgpr7
.LBB62_65:
	v_div_scale_f64 v[6:7], null, v[2:3], v[2:3], v[4:5]
	v_div_scale_f64 v[20:21], vcc_lo, v[4:5], v[2:3], v[4:5]
	s_delay_alu instid0(VALU_DEP_2) | instskip(SKIP_1) | instid1(TRANS32_DEP_1)
	v_rcp_f64_e32 v[10:11], v[6:7]
	v_nop
	v_fma_f64 v[18:19], -v[6:7], v[10:11], 1.0
	s_delay_alu instid0(VALU_DEP_1) | instskip(NEXT) | instid1(VALU_DEP_1)
	v_fmac_f64_e32 v[10:11], v[10:11], v[18:19]
	v_fma_f64 v[18:19], -v[6:7], v[10:11], 1.0
	s_delay_alu instid0(VALU_DEP_1) | instskip(NEXT) | instid1(VALU_DEP_1)
	v_fmac_f64_e32 v[10:11], v[10:11], v[18:19]
	v_mul_f64_e32 v[18:19], v[20:21], v[10:11]
	s_delay_alu instid0(VALU_DEP_1) | instskip(NEXT) | instid1(VALU_DEP_1)
	v_fma_f64 v[6:7], -v[6:7], v[18:19], v[20:21]
	v_div_fmas_f64 v[6:7], v[6:7], v[10:11], v[18:19]
	s_delay_alu instid0(VALU_DEP_1) | instskip(NEXT) | instid1(VALU_DEP_1)
	v_div_fixup_f64 v[4:5], v[6:7], v[2:3], v[4:5]
	v_fma_f64 v[4:5], v[4:5], v[4:5], 1.0
	s_delay_alu instid0(VALU_DEP_1) | instskip(SKIP_2) | instid1(SALU_CYCLE_1)
	v_cmp_gt_f64_e32 vcc_lo, 0x10000000, v[4:5]
	s_and_b32 s4, vcc_lo, exec_lo
	s_cselect_b32 s4, 0x100, 0
	v_ldexp_f64 v[4:5], v[4:5], s4
	s_cselect_b32 s4, 0xffffff80, 0
	s_delay_alu instid0(VALU_DEP_1) | instskip(SKIP_1) | instid1(TRANS32_DEP_1)
	v_rsq_f64_e32 v[6:7], v[4:5]
	v_cmp_class_f64_e64 vcc_lo, v[4:5], 0x260
	v_mul_f64_e32 v[10:11], v[4:5], v[6:7]
	v_mul_f64_e32 v[6:7], 0.5, v[6:7]
	s_delay_alu instid0(VALU_DEP_1) | instskip(NEXT) | instid1(VALU_DEP_1)
	v_fma_f64 v[18:19], -v[6:7], v[10:11], 0.5
	v_fmac_f64_e32 v[10:11], v[10:11], v[18:19]
	v_fmac_f64_e32 v[6:7], v[6:7], v[18:19]
	s_delay_alu instid0(VALU_DEP_2) | instskip(NEXT) | instid1(VALU_DEP_1)
	v_fma_f64 v[18:19], -v[10:11], v[10:11], v[4:5]
	v_fmac_f64_e32 v[10:11], v[18:19], v[6:7]
	s_delay_alu instid0(VALU_DEP_1) | instskip(NEXT) | instid1(VALU_DEP_1)
	v_fma_f64 v[18:19], -v[10:11], v[10:11], v[4:5]
	v_fmac_f64_e32 v[10:11], v[18:19], v[6:7]
	s_delay_alu instid0(VALU_DEP_1) | instskip(NEXT) | instid1(VALU_DEP_1)
	v_ldexp_f64 v[6:7], v[10:11], s4
	v_dual_cndmask_b32 v5, v7, v5 :: v_dual_cndmask_b32 v4, v6, v4
	s_delay_alu instid0(VALU_DEP_1)
	v_mul_f64_e32 v[6:7], v[2:3], v[4:5]
.LBB62_66:
	s_delay_alu instid0(VALU_DEP_1) | instskip(SKIP_2) | instid1(SALU_CYCLE_1)
	v_cmp_gt_f64_e32 vcc_lo, 0x10000000, v[6:7]
	s_and_b32 s4, vcc_lo, exec_lo
	s_cselect_b32 s4, 0x100, 0
	v_ldexp_f64 v[2:3], v[6:7], s4
	s_cselect_b32 s4, 0xffffff80, 0
	s_delay_alu instid0(VALU_DEP_1) | instskip(SKIP_1) | instid1(TRANS32_DEP_1)
	v_rsq_f64_e32 v[4:5], v[2:3]
	v_cmp_class_f64_e64 vcc_lo, v[2:3], 0x260
	v_mul_f64_e32 v[6:7], v[2:3], v[4:5]
	v_mul_f64_e32 v[4:5], 0.5, v[4:5]
	s_delay_alu instid0(VALU_DEP_1) | instskip(NEXT) | instid1(VALU_DEP_1)
	v_fma_f64 v[10:11], -v[4:5], v[6:7], 0.5
	v_fmac_f64_e32 v[6:7], v[6:7], v[10:11]
	v_fmac_f64_e32 v[4:5], v[4:5], v[10:11]
	s_delay_alu instid0(VALU_DEP_2) | instskip(NEXT) | instid1(VALU_DEP_1)
	v_fma_f64 v[10:11], -v[6:7], v[6:7], v[2:3]
	v_fmac_f64_e32 v[6:7], v[10:11], v[4:5]
	s_delay_alu instid0(VALU_DEP_1) | instskip(NEXT) | instid1(VALU_DEP_1)
	v_fma_f64 v[10:11], -v[6:7], v[6:7], v[2:3]
	v_fmac_f64_e32 v[6:7], v[10:11], v[4:5]
	v_mov_b32_e32 v4, 0
	s_delay_alu instid0(VALU_DEP_1) | instskip(NEXT) | instid1(VALU_DEP_3)
	v_mov_b32_e32 v5, v4
	v_ldexp_f64 v[6:7], v[6:7], s4
	s_delay_alu instid0(VALU_DEP_1)
	v_dual_cndmask_b32 v3, v7, v3 :: v_dual_cndmask_b32 v2, v6, v2
	ds_store_b128 v4, v[2:5] offset:640
.LBB62_67:
	s_or_b32 exec_lo, exec_lo, s0
	v_mov_b32_e32 v2, 0
	s_wait_dscnt 0x0
	v_lshl_add_u64 v[0:1], v[0:1], 4, s[2:3]
	v_cmp_ne_u32_e64 s0, 0, v15
	ds_load_b128 v[2:5], v2 offset:640
	s_wait_dscnt 0x0
	v_cmp_neq_f64_e32 vcc_lo, 0, v[2:3]
	v_cmp_neq_f64_e64 s2, 0, v[4:5]
	s_or_b32 vcc_lo, vcc_lo, s2
	s_add_co_i32 s2, s16, s17
	v_cndmask_b32_e32 v3, 0x3ff00000, v3, vcc_lo
	v_dual_cndmask_b32 v2, 0, v2 :: v_dual_cndmask_b32 v5, 0, v5
	v_cndmask_b32_e32 v4, 0, v4, vcc_lo
	s_nor_b32 s4, vcc_lo, s0
	s_delay_alu instid0(SALU_CYCLE_1)
	s_and_saveexec_b32 s3, s4
	s_cbranch_execz .LBB62_71
; %bb.68:
	v_mbcnt_lo_u32_b32 v2, exec_lo, 0
	s_mov_b32 s4, exec_lo
	s_delay_alu instid0(VALU_DEP_1)
	v_cmpx_eq_u32_e32 0, v2
	s_cbranch_execz .LBB62_70
; %bb.69:
	v_dual_mov_b32 v2, 0 :: v_dual_mov_b32 v3, s2
	global_atomic_min_i32 v2, v3, s[10:11] scope:SCOPE_DEV
.LBB62_70:
	s_wait_xcnt 0x0
	s_or_b32 exec_lo, exec_lo, s4
	v_mov_b64_e32 v[4:5], 0
	v_mov_b64_e32 v[2:3], 1.0
.LBB62_71:
	s_or_b32 exec_lo, exec_lo, s3
	s_movk_i32 s3, 0x50
	s_delay_alu instid0(SALU_CYCLE_1)
	v_mad_u32_u24 v10, v12, s3, 0x280
	s_and_saveexec_b32 s3, s1
	s_cbranch_execz .LBB62_73
; %bb.72:
	v_mul_f64_e32 v[6:7], v[4:5], v[4:5]
	s_delay_alu instid0(VALU_DEP_1) | instskip(NEXT) | instid1(VALU_DEP_1)
	v_fmac_f64_e32 v[6:7], v[2:3], v[2:3]
	v_div_scale_f64 v[26:27], null, v[6:7], v[6:7], 1.0
	v_div_scale_f64 v[30:31], vcc_lo, 1.0, v[6:7], 1.0
	s_delay_alu instid0(VALU_DEP_2) | instskip(SKIP_1) | instid1(TRANS32_DEP_1)
	v_rcp_f64_e32 v[28:29], v[26:27]
	v_nop
	v_fma_f64 v[18:19], -v[26:27], v[28:29], 1.0
	s_delay_alu instid0(VALU_DEP_1) | instskip(NEXT) | instid1(VALU_DEP_1)
	v_fmac_f64_e32 v[28:29], v[28:29], v[18:19]
	v_fma_f64 v[18:19], -v[26:27], v[28:29], 1.0
	s_delay_alu instid0(VALU_DEP_1)
	v_fmac_f64_e32 v[28:29], v[28:29], v[18:19]
	ds_load_b128 v[18:21], v9
	ds_load_b128 v[22:25], v16
	s_wait_dscnt 0x0
	v_add_f64_e64 v[20:21], v[20:21], -v[24:25]
	v_add_f64_e64 v[18:19], v[18:19], -v[22:23]
	v_mul_f64_e32 v[32:33], v[30:31], v[28:29]
	s_delay_alu instid0(VALU_DEP_3) | instskip(NEXT) | instid1(VALU_DEP_3)
	v_mul_f64_e32 v[22:23], v[4:5], v[20:21]
	v_mul_f64_e64 v[4:5], v[4:5], -v[18:19]
	s_delay_alu instid0(VALU_DEP_3) | instskip(NEXT) | instid1(VALU_DEP_3)
	v_fma_f64 v[24:25], -v[26:27], v[32:33], v[30:31]
	v_fmac_f64_e32 v[22:23], v[18:19], v[2:3]
	s_delay_alu instid0(VALU_DEP_3) | instskip(NEXT) | instid1(VALU_DEP_3)
	v_fmac_f64_e32 v[4:5], v[20:21], v[2:3]
	v_div_fmas_f64 v[24:25], v[24:25], v[28:29], v[32:33]
	s_delay_alu instid0(VALU_DEP_1) | instskip(NEXT) | instid1(VALU_DEP_1)
	v_div_fixup_f64 v[6:7], v[24:25], v[6:7], 1.0
	v_mul_f64_e32 v[2:3], v[6:7], v[22:23]
	s_delay_alu instid0(VALU_DEP_4)
	v_mul_f64_e32 v[4:5], v[6:7], v[4:5]
	ds_store_b128 v9, v[2:5]
	s_wait_storecnt_dscnt 0x0
	ds_load_b128 v[18:21], v10
	ds_load_b128 v[22:25], v14
	s_wait_dscnt 0x0
	v_fmac_f64_e32 v[22:23], v[2:3], v[18:19]
	v_fmac_f64_e32 v[24:25], v[4:5], v[18:19]
	s_delay_alu instid0(VALU_DEP_2) | instskip(NEXT) | instid1(VALU_DEP_2)
	v_fmac_f64_e32 v[22:23], v[4:5], v[20:21]
	v_fma_f64 v[24:25], v[2:3], -v[20:21], v[24:25]
	ds_store_b128 v14, v[22:25]
.LBB62_73:
	s_or_b32 exec_lo, exec_lo, s3
	s_delay_alu instid0(SALU_CYCLE_1)
	s_mov_b32 s1, exec_lo
	s_wait_storecnt_dscnt 0x0
	v_cmpx_eq_u32_e32 1, v13
	s_cbranch_execz .LBB62_80
; %bb.74:
	v_mov_b32_e32 v6, 0
	ds_load_b128 v[2:5], v6 offset:1056
	ds_load_b128 v[18:21], v6 offset:736
	s_wait_dscnt 0x0
	v_add_f64_e64 v[2:3], v[18:19], -v[2:3]
	v_add_f64_e64 v[6:7], v[20:21], -v[4:5]
	s_delay_alu instid0(VALU_DEP_2) | instskip(SKIP_1) | instid1(VALU_DEP_3)
	v_cmp_gt_f64_e32 vcc_lo, 0, v[2:3]
	v_xor_b32_e32 v4, 0x80000000, v3
	v_xor_b32_e32 v5, 0x80000000, v7
	s_delay_alu instid0(VALU_DEP_2) | instskip(SKIP_1) | instid1(VALU_DEP_3)
	v_dual_cndmask_b32 v3, v3, v4 :: v_dual_mov_b32 v4, v6
	v_cmp_gt_f64_e32 vcc_lo, 0, v[6:7]
	v_cndmask_b32_e32 v5, v7, v5, vcc_lo
	s_delay_alu instid0(VALU_DEP_1)
	v_cmp_gt_f64_e32 vcc_lo, v[2:3], v[4:5]
	s_cbranch_vccnz .LBB62_77
; %bb.75:
	v_cmp_eq_f64_e32 vcc_lo, 0, v[6:7]
	s_cbranch_vccnz .LBB62_120
; %bb.76:
	v_div_scale_f64 v[6:7], null, v[4:5], v[4:5], v[2:3]
	v_div_scale_f64 v[22:23], vcc_lo, v[2:3], v[4:5], v[2:3]
	s_delay_alu instid0(VALU_DEP_2) | instskip(SKIP_1) | instid1(TRANS32_DEP_1)
	v_rcp_f64_e32 v[18:19], v[6:7]
	v_nop
	v_fma_f64 v[20:21], -v[6:7], v[18:19], 1.0
	s_delay_alu instid0(VALU_DEP_1) | instskip(NEXT) | instid1(VALU_DEP_1)
	v_fmac_f64_e32 v[18:19], v[18:19], v[20:21]
	v_fma_f64 v[20:21], -v[6:7], v[18:19], 1.0
	s_delay_alu instid0(VALU_DEP_1) | instskip(NEXT) | instid1(VALU_DEP_1)
	v_fmac_f64_e32 v[18:19], v[18:19], v[20:21]
	v_mul_f64_e32 v[20:21], v[22:23], v[18:19]
	s_delay_alu instid0(VALU_DEP_1) | instskip(NEXT) | instid1(VALU_DEP_1)
	v_fma_f64 v[6:7], -v[6:7], v[20:21], v[22:23]
	v_div_fmas_f64 v[6:7], v[6:7], v[18:19], v[20:21]
	s_delay_alu instid0(VALU_DEP_1) | instskip(NEXT) | instid1(VALU_DEP_1)
	v_div_fixup_f64 v[6:7], v[6:7], v[4:5], v[2:3]
	v_fma_f64 v[6:7], v[6:7], v[6:7], 1.0
	s_delay_alu instid0(VALU_DEP_1) | instskip(SKIP_2) | instid1(SALU_CYCLE_1)
	v_cmp_gt_f64_e32 vcc_lo, 0x10000000, v[6:7]
	s_and_b32 s3, vcc_lo, exec_lo
	s_cselect_b32 s3, 0x100, 0
	v_ldexp_f64 v[6:7], v[6:7], s3
	s_cselect_b32 s3, 0xffffff80, 0
	s_delay_alu instid0(VALU_DEP_1) | instskip(SKIP_1) | instid1(TRANS32_DEP_1)
	v_rsq_f64_e32 v[18:19], v[6:7]
	v_cmp_class_f64_e64 vcc_lo, v[6:7], 0x260
	v_mul_f64_e32 v[20:21], v[6:7], v[18:19]
	v_mul_f64_e32 v[18:19], 0.5, v[18:19]
	s_delay_alu instid0(VALU_DEP_1) | instskip(NEXT) | instid1(VALU_DEP_1)
	v_fma_f64 v[22:23], -v[18:19], v[20:21], 0.5
	v_fmac_f64_e32 v[20:21], v[20:21], v[22:23]
	v_fmac_f64_e32 v[18:19], v[18:19], v[22:23]
	s_delay_alu instid0(VALU_DEP_2) | instskip(NEXT) | instid1(VALU_DEP_1)
	v_fma_f64 v[22:23], -v[20:21], v[20:21], v[6:7]
	v_fmac_f64_e32 v[20:21], v[22:23], v[18:19]
	s_delay_alu instid0(VALU_DEP_1) | instskip(NEXT) | instid1(VALU_DEP_1)
	v_fma_f64 v[22:23], -v[20:21], v[20:21], v[6:7]
	v_fmac_f64_e32 v[20:21], v[22:23], v[18:19]
	s_delay_alu instid0(VALU_DEP_1) | instskip(NEXT) | instid1(VALU_DEP_1)
	v_ldexp_f64 v[18:19], v[20:21], s3
	v_dual_cndmask_b32 v7, v19, v7 :: v_dual_cndmask_b32 v6, v18, v6
	s_delay_alu instid0(VALU_DEP_1)
	v_mul_f64_e32 v[6:7], v[4:5], v[6:7]
	s_cbranch_execz .LBB62_78
	s_branch .LBB62_79
.LBB62_77:
                                        ; implicit-def: $vgpr6_vgpr7
.LBB62_78:
	v_div_scale_f64 v[6:7], null, v[2:3], v[2:3], v[4:5]
	v_div_scale_f64 v[22:23], vcc_lo, v[4:5], v[2:3], v[4:5]
	s_delay_alu instid0(VALU_DEP_2) | instskip(SKIP_1) | instid1(TRANS32_DEP_1)
	v_rcp_f64_e32 v[18:19], v[6:7]
	v_nop
	v_fma_f64 v[20:21], -v[6:7], v[18:19], 1.0
	s_delay_alu instid0(VALU_DEP_1) | instskip(NEXT) | instid1(VALU_DEP_1)
	v_fmac_f64_e32 v[18:19], v[18:19], v[20:21]
	v_fma_f64 v[20:21], -v[6:7], v[18:19], 1.0
	s_delay_alu instid0(VALU_DEP_1) | instskip(NEXT) | instid1(VALU_DEP_1)
	v_fmac_f64_e32 v[18:19], v[18:19], v[20:21]
	v_mul_f64_e32 v[20:21], v[22:23], v[18:19]
	s_delay_alu instid0(VALU_DEP_1) | instskip(NEXT) | instid1(VALU_DEP_1)
	v_fma_f64 v[6:7], -v[6:7], v[20:21], v[22:23]
	v_div_fmas_f64 v[6:7], v[6:7], v[18:19], v[20:21]
	s_delay_alu instid0(VALU_DEP_1) | instskip(NEXT) | instid1(VALU_DEP_1)
	v_div_fixup_f64 v[4:5], v[6:7], v[2:3], v[4:5]
	v_fma_f64 v[4:5], v[4:5], v[4:5], 1.0
	s_delay_alu instid0(VALU_DEP_1) | instskip(SKIP_2) | instid1(SALU_CYCLE_1)
	v_cmp_gt_f64_e32 vcc_lo, 0x10000000, v[4:5]
	s_and_b32 s3, vcc_lo, exec_lo
	s_cselect_b32 s3, 0x100, 0
	v_ldexp_f64 v[4:5], v[4:5], s3
	s_cselect_b32 s3, 0xffffff80, 0
	s_delay_alu instid0(VALU_DEP_1) | instskip(SKIP_1) | instid1(TRANS32_DEP_1)
	v_rsq_f64_e32 v[6:7], v[4:5]
	v_cmp_class_f64_e64 vcc_lo, v[4:5], 0x260
	v_mul_f64_e32 v[18:19], v[4:5], v[6:7]
	v_mul_f64_e32 v[6:7], 0.5, v[6:7]
	s_delay_alu instid0(VALU_DEP_1) | instskip(NEXT) | instid1(VALU_DEP_1)
	v_fma_f64 v[20:21], -v[6:7], v[18:19], 0.5
	v_fmac_f64_e32 v[18:19], v[18:19], v[20:21]
	v_fmac_f64_e32 v[6:7], v[6:7], v[20:21]
	s_delay_alu instid0(VALU_DEP_2) | instskip(NEXT) | instid1(VALU_DEP_1)
	v_fma_f64 v[20:21], -v[18:19], v[18:19], v[4:5]
	v_fmac_f64_e32 v[18:19], v[20:21], v[6:7]
	s_delay_alu instid0(VALU_DEP_1) | instskip(NEXT) | instid1(VALU_DEP_1)
	v_fma_f64 v[20:21], -v[18:19], v[18:19], v[4:5]
	v_fmac_f64_e32 v[18:19], v[20:21], v[6:7]
	s_delay_alu instid0(VALU_DEP_1) | instskip(NEXT) | instid1(VALU_DEP_1)
	v_ldexp_f64 v[6:7], v[18:19], s3
	v_dual_cndmask_b32 v5, v7, v5 :: v_dual_cndmask_b32 v4, v6, v4
	s_delay_alu instid0(VALU_DEP_1)
	v_mul_f64_e32 v[6:7], v[2:3], v[4:5]
.LBB62_79:
	s_delay_alu instid0(VALU_DEP_1) | instskip(SKIP_2) | instid1(SALU_CYCLE_1)
	v_cmp_gt_f64_e32 vcc_lo, 0x10000000, v[6:7]
	s_and_b32 s3, vcc_lo, exec_lo
	s_cselect_b32 s3, 0x100, 0
	v_ldexp_f64 v[2:3], v[6:7], s3
	s_cselect_b32 s3, 0xffffff80, 0
	s_delay_alu instid0(VALU_DEP_1) | instskip(SKIP_1) | instid1(TRANS32_DEP_1)
	v_rsq_f64_e32 v[4:5], v[2:3]
	v_cmp_class_f64_e64 vcc_lo, v[2:3], 0x260
	v_mul_f64_e32 v[6:7], v[2:3], v[4:5]
	v_mul_f64_e32 v[4:5], 0.5, v[4:5]
	s_delay_alu instid0(VALU_DEP_1) | instskip(NEXT) | instid1(VALU_DEP_1)
	v_fma_f64 v[18:19], -v[4:5], v[6:7], 0.5
	v_fmac_f64_e32 v[6:7], v[6:7], v[18:19]
	v_fmac_f64_e32 v[4:5], v[4:5], v[18:19]
	s_delay_alu instid0(VALU_DEP_2) | instskip(NEXT) | instid1(VALU_DEP_1)
	v_fma_f64 v[18:19], -v[6:7], v[6:7], v[2:3]
	v_fmac_f64_e32 v[6:7], v[18:19], v[4:5]
	s_delay_alu instid0(VALU_DEP_1) | instskip(NEXT) | instid1(VALU_DEP_1)
	v_fma_f64 v[18:19], -v[6:7], v[6:7], v[2:3]
	v_fmac_f64_e32 v[6:7], v[18:19], v[4:5]
	v_mov_b32_e32 v4, 0
	s_delay_alu instid0(VALU_DEP_1) | instskip(NEXT) | instid1(VALU_DEP_3)
	v_mov_b32_e32 v5, v4
	v_ldexp_f64 v[6:7], v[6:7], s3
	s_delay_alu instid0(VALU_DEP_1)
	v_dual_cndmask_b32 v3, v7, v3 :: v_dual_cndmask_b32 v2, v6, v2
	ds_store_b128 v4, v[2:5] offset:736
.LBB62_80:
	s_or_b32 exec_lo, exec_lo, s1
	v_mov_b32_e32 v2, 0
	s_wait_dscnt 0x0
	ds_load_b128 v[2:5], v2 offset:736
	s_wait_dscnt 0x0
	v_cmp_neq_f64_e32 vcc_lo, 0, v[2:3]
	v_cmp_neq_f64_e64 s1, 0, v[4:5]
	s_or_b32 vcc_lo, vcc_lo, s1
	v_cndmask_b32_e32 v3, 0x3ff00000, v3, vcc_lo
	v_dual_cndmask_b32 v2, 0, v2 :: v_dual_cndmask_b32 v5, 0, v5
	v_cndmask_b32_e32 v4, 0, v4, vcc_lo
	s_nor_b32 s3, vcc_lo, s0
	s_delay_alu instid0(SALU_CYCLE_1)
	s_and_saveexec_b32 s1, s3
	s_cbranch_execz .LBB62_84
; %bb.81:
	v_mbcnt_lo_u32_b32 v2, exec_lo, 0
	s_mov_b32 s3, exec_lo
	s_delay_alu instid0(VALU_DEP_1)
	v_cmpx_eq_u32_e32 0, v2
	s_cbranch_execz .LBB62_83
; %bb.82:
	v_dual_mov_b32 v2, 0 :: v_dual_mov_b32 v3, s2
	global_atomic_min_i32 v2, v3, s[10:11] scope:SCOPE_DEV
.LBB62_83:
	s_wait_xcnt 0x0
	s_or_b32 exec_lo, exec_lo, s3
	v_mov_b64_e32 v[4:5], 0
	v_mov_b64_e32 v[2:3], 1.0
.LBB62_84:
	s_or_b32 exec_lo, exec_lo, s1
	s_delay_alu instid0(SALU_CYCLE_1)
	s_mov_b32 s1, exec_lo
	v_cmpx_lt_u32_e32 1, v13
	s_cbranch_execz .LBB62_86
; %bb.85:
	s_delay_alu instid0(VALU_DEP_2) | instskip(NEXT) | instid1(VALU_DEP_1)
	v_mul_f64_e32 v[6:7], v[4:5], v[4:5]
	v_fmac_f64_e32 v[6:7], v[2:3], v[2:3]
	s_delay_alu instid0(VALU_DEP_1) | instskip(SKIP_1) | instid1(VALU_DEP_2)
	v_div_scale_f64 v[26:27], null, v[6:7], v[6:7], 1.0
	v_div_scale_f64 v[30:31], vcc_lo, 1.0, v[6:7], 1.0
	v_rcp_f64_e32 v[28:29], v[26:27]
	v_nop
	s_delay_alu instid0(TRANS32_DEP_1) | instskip(NEXT) | instid1(VALU_DEP_1)
	v_fma_f64 v[18:19], -v[26:27], v[28:29], 1.0
	v_fmac_f64_e32 v[28:29], v[28:29], v[18:19]
	s_delay_alu instid0(VALU_DEP_1) | instskip(NEXT) | instid1(VALU_DEP_1)
	v_fma_f64 v[18:19], -v[26:27], v[28:29], 1.0
	v_fmac_f64_e32 v[28:29], v[28:29], v[18:19]
	ds_load_b128 v[18:21], v9 offset:16
	ds_load_b128 v[22:25], v16 offset:16
	s_wait_dscnt 0x0
	v_add_f64_e64 v[20:21], v[20:21], -v[24:25]
	v_add_f64_e64 v[18:19], v[18:19], -v[22:23]
	v_mul_f64_e32 v[32:33], v[30:31], v[28:29]
	s_delay_alu instid0(VALU_DEP_3) | instskip(NEXT) | instid1(VALU_DEP_3)
	v_mul_f64_e32 v[22:23], v[4:5], v[20:21]
	v_mul_f64_e64 v[4:5], v[4:5], -v[18:19]
	s_delay_alu instid0(VALU_DEP_3) | instskip(NEXT) | instid1(VALU_DEP_3)
	v_fma_f64 v[24:25], -v[26:27], v[32:33], v[30:31]
	v_fmac_f64_e32 v[22:23], v[18:19], v[2:3]
	s_delay_alu instid0(VALU_DEP_3) | instskip(NEXT) | instid1(VALU_DEP_3)
	v_fmac_f64_e32 v[4:5], v[20:21], v[2:3]
	v_div_fmas_f64 v[24:25], v[24:25], v[28:29], v[32:33]
	s_delay_alu instid0(VALU_DEP_1) | instskip(NEXT) | instid1(VALU_DEP_1)
	v_div_fixup_f64 v[6:7], v[24:25], v[6:7], 1.0
	v_mul_f64_e32 v[2:3], v[6:7], v[22:23]
	s_delay_alu instid0(VALU_DEP_4)
	v_mul_f64_e32 v[4:5], v[6:7], v[4:5]
	ds_store_b128 v9, v[2:5] offset:16
	s_wait_storecnt_dscnt 0x0
	ds_load_b128 v[18:21], v10 offset:16
	ds_load_b128 v[22:25], v14
	s_wait_dscnt 0x0
	v_fmac_f64_e32 v[22:23], v[2:3], v[18:19]
	v_fmac_f64_e32 v[24:25], v[4:5], v[18:19]
	s_delay_alu instid0(VALU_DEP_2) | instskip(NEXT) | instid1(VALU_DEP_2)
	v_fmac_f64_e32 v[22:23], v[4:5], v[20:21]
	v_fma_f64 v[24:25], v[2:3], -v[20:21], v[24:25]
	ds_store_b128 v14, v[22:25]
.LBB62_86:
	s_or_b32 exec_lo, exec_lo, s1
	s_delay_alu instid0(SALU_CYCLE_1)
	s_mov_b32 s1, exec_lo
	s_wait_storecnt_dscnt 0x0
	v_cmpx_eq_u32_e32 2, v13
	s_cbranch_execz .LBB62_93
; %bb.87:
	v_mov_b32_e32 v6, 0
	ds_load_b128 v[2:5], v6 offset:1152
	ds_load_b128 v[18:21], v6 offset:832
	s_wait_dscnt 0x0
	v_add_f64_e64 v[2:3], v[18:19], -v[2:3]
	v_add_f64_e64 v[6:7], v[20:21], -v[4:5]
	s_delay_alu instid0(VALU_DEP_2) | instskip(SKIP_1) | instid1(VALU_DEP_3)
	v_cmp_gt_f64_e32 vcc_lo, 0, v[2:3]
	v_xor_b32_e32 v4, 0x80000000, v3
	v_xor_b32_e32 v5, 0x80000000, v7
	s_delay_alu instid0(VALU_DEP_2) | instskip(SKIP_1) | instid1(VALU_DEP_3)
	v_dual_cndmask_b32 v3, v3, v4 :: v_dual_mov_b32 v4, v6
	v_cmp_gt_f64_e32 vcc_lo, 0, v[6:7]
	v_cndmask_b32_e32 v5, v7, v5, vcc_lo
	s_delay_alu instid0(VALU_DEP_1)
	v_cmp_gt_f64_e32 vcc_lo, v[2:3], v[4:5]
	s_cbranch_vccnz .LBB62_90
; %bb.88:
	v_cmp_eq_f64_e32 vcc_lo, 0, v[6:7]
	s_cbranch_vccnz .LBB62_121
; %bb.89:
	v_div_scale_f64 v[6:7], null, v[4:5], v[4:5], v[2:3]
	v_div_scale_f64 v[22:23], vcc_lo, v[2:3], v[4:5], v[2:3]
	s_delay_alu instid0(VALU_DEP_2) | instskip(SKIP_1) | instid1(TRANS32_DEP_1)
	v_rcp_f64_e32 v[18:19], v[6:7]
	v_nop
	v_fma_f64 v[20:21], -v[6:7], v[18:19], 1.0
	s_delay_alu instid0(VALU_DEP_1) | instskip(NEXT) | instid1(VALU_DEP_1)
	v_fmac_f64_e32 v[18:19], v[18:19], v[20:21]
	v_fma_f64 v[20:21], -v[6:7], v[18:19], 1.0
	s_delay_alu instid0(VALU_DEP_1) | instskip(NEXT) | instid1(VALU_DEP_1)
	v_fmac_f64_e32 v[18:19], v[18:19], v[20:21]
	v_mul_f64_e32 v[20:21], v[22:23], v[18:19]
	s_delay_alu instid0(VALU_DEP_1) | instskip(NEXT) | instid1(VALU_DEP_1)
	v_fma_f64 v[6:7], -v[6:7], v[20:21], v[22:23]
	v_div_fmas_f64 v[6:7], v[6:7], v[18:19], v[20:21]
	s_delay_alu instid0(VALU_DEP_1) | instskip(NEXT) | instid1(VALU_DEP_1)
	v_div_fixup_f64 v[6:7], v[6:7], v[4:5], v[2:3]
	v_fma_f64 v[6:7], v[6:7], v[6:7], 1.0
	s_delay_alu instid0(VALU_DEP_1) | instskip(SKIP_2) | instid1(SALU_CYCLE_1)
	v_cmp_gt_f64_e32 vcc_lo, 0x10000000, v[6:7]
	s_and_b32 s3, vcc_lo, exec_lo
	s_cselect_b32 s3, 0x100, 0
	v_ldexp_f64 v[6:7], v[6:7], s3
	s_cselect_b32 s3, 0xffffff80, 0
	s_delay_alu instid0(VALU_DEP_1) | instskip(SKIP_1) | instid1(TRANS32_DEP_1)
	v_rsq_f64_e32 v[18:19], v[6:7]
	v_cmp_class_f64_e64 vcc_lo, v[6:7], 0x260
	v_mul_f64_e32 v[20:21], v[6:7], v[18:19]
	v_mul_f64_e32 v[18:19], 0.5, v[18:19]
	s_delay_alu instid0(VALU_DEP_1) | instskip(NEXT) | instid1(VALU_DEP_1)
	v_fma_f64 v[22:23], -v[18:19], v[20:21], 0.5
	v_fmac_f64_e32 v[20:21], v[20:21], v[22:23]
	v_fmac_f64_e32 v[18:19], v[18:19], v[22:23]
	s_delay_alu instid0(VALU_DEP_2) | instskip(NEXT) | instid1(VALU_DEP_1)
	v_fma_f64 v[22:23], -v[20:21], v[20:21], v[6:7]
	v_fmac_f64_e32 v[20:21], v[22:23], v[18:19]
	s_delay_alu instid0(VALU_DEP_1) | instskip(NEXT) | instid1(VALU_DEP_1)
	v_fma_f64 v[22:23], -v[20:21], v[20:21], v[6:7]
	v_fmac_f64_e32 v[20:21], v[22:23], v[18:19]
	s_delay_alu instid0(VALU_DEP_1) | instskip(NEXT) | instid1(VALU_DEP_1)
	v_ldexp_f64 v[18:19], v[20:21], s3
	v_dual_cndmask_b32 v7, v19, v7 :: v_dual_cndmask_b32 v6, v18, v6
	s_delay_alu instid0(VALU_DEP_1)
	v_mul_f64_e32 v[6:7], v[4:5], v[6:7]
	s_cbranch_execz .LBB62_91
	s_branch .LBB62_92
.LBB62_90:
                                        ; implicit-def: $vgpr6_vgpr7
.LBB62_91:
	v_div_scale_f64 v[6:7], null, v[2:3], v[2:3], v[4:5]
	v_div_scale_f64 v[22:23], vcc_lo, v[4:5], v[2:3], v[4:5]
	s_delay_alu instid0(VALU_DEP_2) | instskip(SKIP_1) | instid1(TRANS32_DEP_1)
	v_rcp_f64_e32 v[18:19], v[6:7]
	v_nop
	v_fma_f64 v[20:21], -v[6:7], v[18:19], 1.0
	s_delay_alu instid0(VALU_DEP_1) | instskip(NEXT) | instid1(VALU_DEP_1)
	v_fmac_f64_e32 v[18:19], v[18:19], v[20:21]
	v_fma_f64 v[20:21], -v[6:7], v[18:19], 1.0
	s_delay_alu instid0(VALU_DEP_1) | instskip(NEXT) | instid1(VALU_DEP_1)
	v_fmac_f64_e32 v[18:19], v[18:19], v[20:21]
	v_mul_f64_e32 v[20:21], v[22:23], v[18:19]
	s_delay_alu instid0(VALU_DEP_1) | instskip(NEXT) | instid1(VALU_DEP_1)
	v_fma_f64 v[6:7], -v[6:7], v[20:21], v[22:23]
	v_div_fmas_f64 v[6:7], v[6:7], v[18:19], v[20:21]
	s_delay_alu instid0(VALU_DEP_1) | instskip(NEXT) | instid1(VALU_DEP_1)
	v_div_fixup_f64 v[4:5], v[6:7], v[2:3], v[4:5]
	v_fma_f64 v[4:5], v[4:5], v[4:5], 1.0
	s_delay_alu instid0(VALU_DEP_1) | instskip(SKIP_2) | instid1(SALU_CYCLE_1)
	v_cmp_gt_f64_e32 vcc_lo, 0x10000000, v[4:5]
	s_and_b32 s3, vcc_lo, exec_lo
	s_cselect_b32 s3, 0x100, 0
	v_ldexp_f64 v[4:5], v[4:5], s3
	s_cselect_b32 s3, 0xffffff80, 0
	s_delay_alu instid0(VALU_DEP_1) | instskip(SKIP_1) | instid1(TRANS32_DEP_1)
	v_rsq_f64_e32 v[6:7], v[4:5]
	v_cmp_class_f64_e64 vcc_lo, v[4:5], 0x260
	v_mul_f64_e32 v[18:19], v[4:5], v[6:7]
	v_mul_f64_e32 v[6:7], 0.5, v[6:7]
	s_delay_alu instid0(VALU_DEP_1) | instskip(NEXT) | instid1(VALU_DEP_1)
	v_fma_f64 v[20:21], -v[6:7], v[18:19], 0.5
	v_fmac_f64_e32 v[18:19], v[18:19], v[20:21]
	v_fmac_f64_e32 v[6:7], v[6:7], v[20:21]
	s_delay_alu instid0(VALU_DEP_2) | instskip(NEXT) | instid1(VALU_DEP_1)
	v_fma_f64 v[20:21], -v[18:19], v[18:19], v[4:5]
	v_fmac_f64_e32 v[18:19], v[20:21], v[6:7]
	s_delay_alu instid0(VALU_DEP_1) | instskip(NEXT) | instid1(VALU_DEP_1)
	v_fma_f64 v[20:21], -v[18:19], v[18:19], v[4:5]
	v_fmac_f64_e32 v[18:19], v[20:21], v[6:7]
	s_delay_alu instid0(VALU_DEP_1) | instskip(NEXT) | instid1(VALU_DEP_1)
	v_ldexp_f64 v[6:7], v[18:19], s3
	v_dual_cndmask_b32 v5, v7, v5 :: v_dual_cndmask_b32 v4, v6, v4
	s_delay_alu instid0(VALU_DEP_1)
	v_mul_f64_e32 v[6:7], v[2:3], v[4:5]
.LBB62_92:
	s_delay_alu instid0(VALU_DEP_1) | instskip(SKIP_2) | instid1(SALU_CYCLE_1)
	v_cmp_gt_f64_e32 vcc_lo, 0x10000000, v[6:7]
	s_and_b32 s3, vcc_lo, exec_lo
	s_cselect_b32 s3, 0x100, 0
	v_ldexp_f64 v[2:3], v[6:7], s3
	s_cselect_b32 s3, 0xffffff80, 0
	s_delay_alu instid0(VALU_DEP_1) | instskip(SKIP_1) | instid1(TRANS32_DEP_1)
	v_rsq_f64_e32 v[4:5], v[2:3]
	v_cmp_class_f64_e64 vcc_lo, v[2:3], 0x260
	v_mul_f64_e32 v[6:7], v[2:3], v[4:5]
	v_mul_f64_e32 v[4:5], 0.5, v[4:5]
	s_delay_alu instid0(VALU_DEP_1) | instskip(NEXT) | instid1(VALU_DEP_1)
	v_fma_f64 v[18:19], -v[4:5], v[6:7], 0.5
	v_fmac_f64_e32 v[6:7], v[6:7], v[18:19]
	v_fmac_f64_e32 v[4:5], v[4:5], v[18:19]
	s_delay_alu instid0(VALU_DEP_2) | instskip(NEXT) | instid1(VALU_DEP_1)
	v_fma_f64 v[18:19], -v[6:7], v[6:7], v[2:3]
	v_fmac_f64_e32 v[6:7], v[18:19], v[4:5]
	s_delay_alu instid0(VALU_DEP_1) | instskip(NEXT) | instid1(VALU_DEP_1)
	v_fma_f64 v[18:19], -v[6:7], v[6:7], v[2:3]
	v_fmac_f64_e32 v[6:7], v[18:19], v[4:5]
	v_mov_b32_e32 v4, 0
	s_delay_alu instid0(VALU_DEP_1) | instskip(NEXT) | instid1(VALU_DEP_3)
	v_mov_b32_e32 v5, v4
	v_ldexp_f64 v[6:7], v[6:7], s3
	s_delay_alu instid0(VALU_DEP_1)
	v_dual_cndmask_b32 v3, v7, v3 :: v_dual_cndmask_b32 v2, v6, v2
	ds_store_b128 v4, v[2:5] offset:832
.LBB62_93:
	s_or_b32 exec_lo, exec_lo, s1
	v_mov_b32_e32 v2, 0
	s_wait_dscnt 0x0
	ds_load_b128 v[2:5], v2 offset:832
	s_wait_dscnt 0x0
	v_cmp_neq_f64_e32 vcc_lo, 0, v[2:3]
	v_cmp_neq_f64_e64 s1, 0, v[4:5]
	s_or_b32 vcc_lo, vcc_lo, s1
	v_cndmask_b32_e32 v3, 0x3ff00000, v3, vcc_lo
	v_dual_cndmask_b32 v2, 0, v2 :: v_dual_cndmask_b32 v5, 0, v5
	v_cndmask_b32_e32 v4, 0, v4, vcc_lo
	s_nor_b32 s3, vcc_lo, s0
	s_delay_alu instid0(SALU_CYCLE_1)
	s_and_saveexec_b32 s1, s3
	s_cbranch_execz .LBB62_97
; %bb.94:
	v_mbcnt_lo_u32_b32 v2, exec_lo, 0
	s_mov_b32 s3, exec_lo
	s_delay_alu instid0(VALU_DEP_1)
	v_cmpx_eq_u32_e32 0, v2
	s_cbranch_execz .LBB62_96
; %bb.95:
	v_dual_mov_b32 v2, 0 :: v_dual_mov_b32 v3, s2
	global_atomic_min_i32 v2, v3, s[10:11] scope:SCOPE_DEV
.LBB62_96:
	s_wait_xcnt 0x0
	s_or_b32 exec_lo, exec_lo, s3
	v_mov_b64_e32 v[4:5], 0
	v_mov_b64_e32 v[2:3], 1.0
.LBB62_97:
	s_or_b32 exec_lo, exec_lo, s1
	s_delay_alu instid0(SALU_CYCLE_1)
	s_mov_b32 s1, exec_lo
	v_cmpx_lt_u32_e32 2, v13
	s_cbranch_execz .LBB62_99
; %bb.98:
	s_delay_alu instid0(VALU_DEP_2) | instskip(NEXT) | instid1(VALU_DEP_1)
	v_mul_f64_e32 v[6:7], v[4:5], v[4:5]
	v_fmac_f64_e32 v[6:7], v[2:3], v[2:3]
	s_delay_alu instid0(VALU_DEP_1) | instskip(SKIP_1) | instid1(VALU_DEP_2)
	v_div_scale_f64 v[26:27], null, v[6:7], v[6:7], 1.0
	v_div_scale_f64 v[30:31], vcc_lo, 1.0, v[6:7], 1.0
	v_rcp_f64_e32 v[28:29], v[26:27]
	v_nop
	s_delay_alu instid0(TRANS32_DEP_1) | instskip(NEXT) | instid1(VALU_DEP_1)
	v_fma_f64 v[18:19], -v[26:27], v[28:29], 1.0
	v_fmac_f64_e32 v[28:29], v[28:29], v[18:19]
	s_delay_alu instid0(VALU_DEP_1) | instskip(NEXT) | instid1(VALU_DEP_1)
	v_fma_f64 v[18:19], -v[26:27], v[28:29], 1.0
	v_fmac_f64_e32 v[28:29], v[28:29], v[18:19]
	ds_load_b128 v[18:21], v9 offset:32
	ds_load_b128 v[22:25], v16 offset:32
	s_wait_dscnt 0x0
	v_add_f64_e64 v[20:21], v[20:21], -v[24:25]
	v_add_f64_e64 v[18:19], v[18:19], -v[22:23]
	v_mul_f64_e32 v[32:33], v[30:31], v[28:29]
	s_delay_alu instid0(VALU_DEP_3) | instskip(NEXT) | instid1(VALU_DEP_3)
	v_mul_f64_e32 v[22:23], v[4:5], v[20:21]
	v_mul_f64_e64 v[4:5], v[4:5], -v[18:19]
	s_delay_alu instid0(VALU_DEP_3) | instskip(NEXT) | instid1(VALU_DEP_3)
	v_fma_f64 v[24:25], -v[26:27], v[32:33], v[30:31]
	v_fmac_f64_e32 v[22:23], v[18:19], v[2:3]
	s_delay_alu instid0(VALU_DEP_3) | instskip(NEXT) | instid1(VALU_DEP_3)
	v_fmac_f64_e32 v[4:5], v[20:21], v[2:3]
	v_div_fmas_f64 v[24:25], v[24:25], v[28:29], v[32:33]
	s_delay_alu instid0(VALU_DEP_1) | instskip(NEXT) | instid1(VALU_DEP_1)
	v_div_fixup_f64 v[6:7], v[24:25], v[6:7], 1.0
	v_mul_f64_e32 v[2:3], v[6:7], v[22:23]
	s_delay_alu instid0(VALU_DEP_4)
	v_mul_f64_e32 v[4:5], v[6:7], v[4:5]
	ds_store_b128 v9, v[2:5] offset:32
	s_wait_storecnt_dscnt 0x0
	ds_load_b128 v[18:21], v10 offset:32
	ds_load_b128 v[22:25], v14
	s_wait_dscnt 0x0
	v_fmac_f64_e32 v[22:23], v[2:3], v[18:19]
	v_fmac_f64_e32 v[24:25], v[4:5], v[18:19]
	s_delay_alu instid0(VALU_DEP_2) | instskip(NEXT) | instid1(VALU_DEP_2)
	v_fmac_f64_e32 v[22:23], v[4:5], v[20:21]
	v_fma_f64 v[24:25], v[2:3], -v[20:21], v[24:25]
	ds_store_b128 v14, v[22:25]
.LBB62_99:
	s_or_b32 exec_lo, exec_lo, s1
	s_delay_alu instid0(SALU_CYCLE_1)
	s_mov_b32 s1, exec_lo
	s_wait_storecnt_dscnt 0x0
	v_cmpx_eq_u32_e32 3, v13
	s_cbranch_execz .LBB62_106
; %bb.100:
	v_mov_b32_e32 v6, 0
	ds_load_b128 v[2:5], v6 offset:1248
	ds_load_b128 v[18:21], v6 offset:928
	s_wait_dscnt 0x0
	v_add_f64_e64 v[2:3], v[18:19], -v[2:3]
	v_add_f64_e64 v[6:7], v[20:21], -v[4:5]
	s_delay_alu instid0(VALU_DEP_2) | instskip(SKIP_1) | instid1(VALU_DEP_3)
	v_cmp_gt_f64_e32 vcc_lo, 0, v[2:3]
	v_xor_b32_e32 v4, 0x80000000, v3
	v_xor_b32_e32 v5, 0x80000000, v7
	s_delay_alu instid0(VALU_DEP_2) | instskip(SKIP_1) | instid1(VALU_DEP_3)
	v_dual_cndmask_b32 v3, v3, v4 :: v_dual_mov_b32 v4, v6
	v_cmp_gt_f64_e32 vcc_lo, 0, v[6:7]
	v_cndmask_b32_e32 v5, v7, v5, vcc_lo
	s_delay_alu instid0(VALU_DEP_1)
	v_cmp_gt_f64_e32 vcc_lo, v[2:3], v[4:5]
	s_cbranch_vccnz .LBB62_103
; %bb.101:
	v_cmp_eq_f64_e32 vcc_lo, 0, v[6:7]
	s_cbranch_vccnz .LBB62_122
; %bb.102:
	v_div_scale_f64 v[6:7], null, v[4:5], v[4:5], v[2:3]
	v_div_scale_f64 v[22:23], vcc_lo, v[2:3], v[4:5], v[2:3]
	s_delay_alu instid0(VALU_DEP_2) | instskip(SKIP_1) | instid1(TRANS32_DEP_1)
	v_rcp_f64_e32 v[18:19], v[6:7]
	v_nop
	v_fma_f64 v[20:21], -v[6:7], v[18:19], 1.0
	s_delay_alu instid0(VALU_DEP_1) | instskip(NEXT) | instid1(VALU_DEP_1)
	v_fmac_f64_e32 v[18:19], v[18:19], v[20:21]
	v_fma_f64 v[20:21], -v[6:7], v[18:19], 1.0
	s_delay_alu instid0(VALU_DEP_1) | instskip(NEXT) | instid1(VALU_DEP_1)
	v_fmac_f64_e32 v[18:19], v[18:19], v[20:21]
	v_mul_f64_e32 v[20:21], v[22:23], v[18:19]
	s_delay_alu instid0(VALU_DEP_1) | instskip(NEXT) | instid1(VALU_DEP_1)
	v_fma_f64 v[6:7], -v[6:7], v[20:21], v[22:23]
	v_div_fmas_f64 v[6:7], v[6:7], v[18:19], v[20:21]
	s_delay_alu instid0(VALU_DEP_1) | instskip(NEXT) | instid1(VALU_DEP_1)
	v_div_fixup_f64 v[6:7], v[6:7], v[4:5], v[2:3]
	v_fma_f64 v[6:7], v[6:7], v[6:7], 1.0
	s_delay_alu instid0(VALU_DEP_1) | instskip(SKIP_2) | instid1(SALU_CYCLE_1)
	v_cmp_gt_f64_e32 vcc_lo, 0x10000000, v[6:7]
	s_and_b32 s3, vcc_lo, exec_lo
	s_cselect_b32 s3, 0x100, 0
	v_ldexp_f64 v[6:7], v[6:7], s3
	s_cselect_b32 s3, 0xffffff80, 0
	s_delay_alu instid0(VALU_DEP_1) | instskip(SKIP_1) | instid1(TRANS32_DEP_1)
	v_rsq_f64_e32 v[18:19], v[6:7]
	v_cmp_class_f64_e64 vcc_lo, v[6:7], 0x260
	v_mul_f64_e32 v[20:21], v[6:7], v[18:19]
	v_mul_f64_e32 v[18:19], 0.5, v[18:19]
	s_delay_alu instid0(VALU_DEP_1) | instskip(NEXT) | instid1(VALU_DEP_1)
	v_fma_f64 v[22:23], -v[18:19], v[20:21], 0.5
	v_fmac_f64_e32 v[20:21], v[20:21], v[22:23]
	v_fmac_f64_e32 v[18:19], v[18:19], v[22:23]
	s_delay_alu instid0(VALU_DEP_2) | instskip(NEXT) | instid1(VALU_DEP_1)
	v_fma_f64 v[22:23], -v[20:21], v[20:21], v[6:7]
	v_fmac_f64_e32 v[20:21], v[22:23], v[18:19]
	s_delay_alu instid0(VALU_DEP_1) | instskip(NEXT) | instid1(VALU_DEP_1)
	v_fma_f64 v[22:23], -v[20:21], v[20:21], v[6:7]
	v_fmac_f64_e32 v[20:21], v[22:23], v[18:19]
	s_delay_alu instid0(VALU_DEP_1) | instskip(NEXT) | instid1(VALU_DEP_1)
	v_ldexp_f64 v[18:19], v[20:21], s3
	v_dual_cndmask_b32 v7, v19, v7 :: v_dual_cndmask_b32 v6, v18, v6
	s_delay_alu instid0(VALU_DEP_1)
	v_mul_f64_e32 v[6:7], v[4:5], v[6:7]
	s_cbranch_execz .LBB62_104
	s_branch .LBB62_105
.LBB62_103:
                                        ; implicit-def: $vgpr6_vgpr7
.LBB62_104:
	v_div_scale_f64 v[6:7], null, v[2:3], v[2:3], v[4:5]
	v_div_scale_f64 v[22:23], vcc_lo, v[4:5], v[2:3], v[4:5]
	s_delay_alu instid0(VALU_DEP_2) | instskip(SKIP_1) | instid1(TRANS32_DEP_1)
	v_rcp_f64_e32 v[18:19], v[6:7]
	v_nop
	v_fma_f64 v[20:21], -v[6:7], v[18:19], 1.0
	s_delay_alu instid0(VALU_DEP_1) | instskip(NEXT) | instid1(VALU_DEP_1)
	v_fmac_f64_e32 v[18:19], v[18:19], v[20:21]
	v_fma_f64 v[20:21], -v[6:7], v[18:19], 1.0
	s_delay_alu instid0(VALU_DEP_1) | instskip(NEXT) | instid1(VALU_DEP_1)
	v_fmac_f64_e32 v[18:19], v[18:19], v[20:21]
	v_mul_f64_e32 v[20:21], v[22:23], v[18:19]
	s_delay_alu instid0(VALU_DEP_1) | instskip(NEXT) | instid1(VALU_DEP_1)
	v_fma_f64 v[6:7], -v[6:7], v[20:21], v[22:23]
	v_div_fmas_f64 v[6:7], v[6:7], v[18:19], v[20:21]
	s_delay_alu instid0(VALU_DEP_1) | instskip(NEXT) | instid1(VALU_DEP_1)
	v_div_fixup_f64 v[4:5], v[6:7], v[2:3], v[4:5]
	v_fma_f64 v[4:5], v[4:5], v[4:5], 1.0
	s_delay_alu instid0(VALU_DEP_1) | instskip(SKIP_2) | instid1(SALU_CYCLE_1)
	v_cmp_gt_f64_e32 vcc_lo, 0x10000000, v[4:5]
	s_and_b32 s3, vcc_lo, exec_lo
	s_cselect_b32 s3, 0x100, 0
	v_ldexp_f64 v[4:5], v[4:5], s3
	s_cselect_b32 s3, 0xffffff80, 0
	s_delay_alu instid0(VALU_DEP_1) | instskip(SKIP_1) | instid1(TRANS32_DEP_1)
	v_rsq_f64_e32 v[6:7], v[4:5]
	v_cmp_class_f64_e64 vcc_lo, v[4:5], 0x260
	v_mul_f64_e32 v[18:19], v[4:5], v[6:7]
	v_mul_f64_e32 v[6:7], 0.5, v[6:7]
	s_delay_alu instid0(VALU_DEP_1) | instskip(NEXT) | instid1(VALU_DEP_1)
	v_fma_f64 v[20:21], -v[6:7], v[18:19], 0.5
	v_fmac_f64_e32 v[18:19], v[18:19], v[20:21]
	v_fmac_f64_e32 v[6:7], v[6:7], v[20:21]
	s_delay_alu instid0(VALU_DEP_2) | instskip(NEXT) | instid1(VALU_DEP_1)
	v_fma_f64 v[20:21], -v[18:19], v[18:19], v[4:5]
	v_fmac_f64_e32 v[18:19], v[20:21], v[6:7]
	s_delay_alu instid0(VALU_DEP_1) | instskip(NEXT) | instid1(VALU_DEP_1)
	v_fma_f64 v[20:21], -v[18:19], v[18:19], v[4:5]
	v_fmac_f64_e32 v[18:19], v[20:21], v[6:7]
	s_delay_alu instid0(VALU_DEP_1) | instskip(NEXT) | instid1(VALU_DEP_1)
	v_ldexp_f64 v[6:7], v[18:19], s3
	v_dual_cndmask_b32 v5, v7, v5 :: v_dual_cndmask_b32 v4, v6, v4
	s_delay_alu instid0(VALU_DEP_1)
	v_mul_f64_e32 v[6:7], v[2:3], v[4:5]
.LBB62_105:
	s_delay_alu instid0(VALU_DEP_1) | instskip(SKIP_2) | instid1(SALU_CYCLE_1)
	v_cmp_gt_f64_e32 vcc_lo, 0x10000000, v[6:7]
	s_and_b32 s3, vcc_lo, exec_lo
	s_cselect_b32 s3, 0x100, 0
	v_ldexp_f64 v[2:3], v[6:7], s3
	s_cselect_b32 s3, 0xffffff80, 0
	s_delay_alu instid0(VALU_DEP_1) | instskip(SKIP_1) | instid1(TRANS32_DEP_1)
	v_rsq_f64_e32 v[4:5], v[2:3]
	v_cmp_class_f64_e64 vcc_lo, v[2:3], 0x260
	v_mul_f64_e32 v[6:7], v[2:3], v[4:5]
	v_mul_f64_e32 v[4:5], 0.5, v[4:5]
	s_delay_alu instid0(VALU_DEP_1) | instskip(NEXT) | instid1(VALU_DEP_1)
	v_fma_f64 v[18:19], -v[4:5], v[6:7], 0.5
	v_fmac_f64_e32 v[6:7], v[6:7], v[18:19]
	v_fmac_f64_e32 v[4:5], v[4:5], v[18:19]
	s_delay_alu instid0(VALU_DEP_2) | instskip(NEXT) | instid1(VALU_DEP_1)
	v_fma_f64 v[18:19], -v[6:7], v[6:7], v[2:3]
	v_fmac_f64_e32 v[6:7], v[18:19], v[4:5]
	s_delay_alu instid0(VALU_DEP_1) | instskip(NEXT) | instid1(VALU_DEP_1)
	v_fma_f64 v[18:19], -v[6:7], v[6:7], v[2:3]
	v_fmac_f64_e32 v[6:7], v[18:19], v[4:5]
	v_mov_b32_e32 v4, 0
	s_delay_alu instid0(VALU_DEP_1) | instskip(NEXT) | instid1(VALU_DEP_3)
	v_mov_b32_e32 v5, v4
	v_ldexp_f64 v[6:7], v[6:7], s3
	s_delay_alu instid0(VALU_DEP_1)
	v_dual_cndmask_b32 v3, v7, v3 :: v_dual_cndmask_b32 v2, v6, v2
	ds_store_b128 v4, v[2:5] offset:928
.LBB62_106:
	s_or_b32 exec_lo, exec_lo, s1
	v_mov_b32_e32 v2, 0
	s_wait_dscnt 0x0
	ds_load_b128 v[2:5], v2 offset:928
	s_wait_dscnt 0x0
	v_cmp_neq_f64_e32 vcc_lo, 0, v[2:3]
	v_cmp_neq_f64_e64 s1, 0, v[4:5]
	s_or_b32 vcc_lo, vcc_lo, s1
	v_cndmask_b32_e32 v3, 0x3ff00000, v3, vcc_lo
	v_dual_cndmask_b32 v2, 0, v2 :: v_dual_cndmask_b32 v5, 0, v5
	v_cndmask_b32_e32 v4, 0, v4, vcc_lo
	s_nor_b32 s1, vcc_lo, s0
	s_delay_alu instid0(SALU_CYCLE_1)
	s_and_saveexec_b32 s0, s1
	s_cbranch_execz .LBB62_110
; %bb.107:
	v_mbcnt_lo_u32_b32 v2, exec_lo, 0
	s_mov_b32 s1, exec_lo
	s_delay_alu instid0(VALU_DEP_1)
	v_cmpx_eq_u32_e32 0, v2
	s_cbranch_execz .LBB62_109
; %bb.108:
	v_dual_mov_b32 v2, 0 :: v_dual_mov_b32 v3, s2
	global_atomic_min_i32 v2, v3, s[10:11] scope:SCOPE_DEV
.LBB62_109:
	s_wait_xcnt 0x0
	s_or_b32 exec_lo, exec_lo, s1
	v_mov_b64_e32 v[4:5], 0
	v_mov_b64_e32 v[2:3], 1.0
.LBB62_110:
	s_or_b32 exec_lo, exec_lo, s0
	s_delay_alu instid0(SALU_CYCLE_1)
	s_mov_b32 s0, exec_lo
	v_cmpx_lt_u32_e32 3, v13
	s_cbranch_execz .LBB62_112
; %bb.111:
	s_delay_alu instid0(VALU_DEP_2) | instskip(NEXT) | instid1(VALU_DEP_1)
	v_mul_f64_e32 v[6:7], v[4:5], v[4:5]
	v_fmac_f64_e32 v[6:7], v[2:3], v[2:3]
	s_delay_alu instid0(VALU_DEP_1) | instskip(SKIP_1) | instid1(VALU_DEP_2)
	v_div_scale_f64 v[26:27], null, v[6:7], v[6:7], 1.0
	v_div_scale_f64 v[30:31], vcc_lo, 1.0, v[6:7], 1.0
	v_rcp_f64_e32 v[28:29], v[26:27]
	v_nop
	s_delay_alu instid0(TRANS32_DEP_1) | instskip(NEXT) | instid1(VALU_DEP_1)
	v_fma_f64 v[18:19], -v[26:27], v[28:29], 1.0
	v_fmac_f64_e32 v[28:29], v[28:29], v[18:19]
	s_delay_alu instid0(VALU_DEP_1) | instskip(NEXT) | instid1(VALU_DEP_1)
	v_fma_f64 v[18:19], -v[26:27], v[28:29], 1.0
	v_fmac_f64_e32 v[28:29], v[28:29], v[18:19]
	ds_load_b128 v[18:21], v9 offset:48
	ds_load_b128 v[22:25], v16 offset:48
	s_wait_dscnt 0x0
	v_add_f64_e64 v[16:17], v[20:21], -v[24:25]
	v_add_f64_e64 v[18:19], v[18:19], -v[22:23]
	v_mul_f64_e32 v[32:33], v[30:31], v[28:29]
	s_delay_alu instid0(VALU_DEP_3) | instskip(NEXT) | instid1(VALU_DEP_3)
	v_mul_f64_e32 v[22:23], v[4:5], v[16:17]
	v_mul_f64_e64 v[4:5], v[4:5], -v[18:19]
	s_delay_alu instid0(VALU_DEP_3) | instskip(NEXT) | instid1(VALU_DEP_3)
	v_fma_f64 v[20:21], -v[26:27], v[32:33], v[30:31]
	v_fmac_f64_e32 v[22:23], v[18:19], v[2:3]
	s_delay_alu instid0(VALU_DEP_3) | instskip(NEXT) | instid1(VALU_DEP_3)
	v_fmac_f64_e32 v[4:5], v[16:17], v[2:3]
	v_div_fmas_f64 v[20:21], v[20:21], v[28:29], v[32:33]
	s_delay_alu instid0(VALU_DEP_1) | instskip(NEXT) | instid1(VALU_DEP_1)
	v_div_fixup_f64 v[6:7], v[20:21], v[6:7], 1.0
	v_mul_f64_e32 v[2:3], v[6:7], v[22:23]
	s_delay_alu instid0(VALU_DEP_4)
	v_mul_f64_e32 v[4:5], v[6:7], v[4:5]
	ds_store_b128 v9, v[2:5] offset:48
	s_wait_storecnt_dscnt 0x0
	ds_load_b128 v[16:19], v10 offset:48
	ds_load_b128 v[20:23], v14
	s_wait_dscnt 0x0
	v_fmac_f64_e32 v[20:21], v[2:3], v[16:17]
	v_fmac_f64_e32 v[22:23], v[4:5], v[16:17]
	s_delay_alu instid0(VALU_DEP_2) | instskip(NEXT) | instid1(VALU_DEP_2)
	v_fmac_f64_e32 v[20:21], v[4:5], v[18:19]
	v_fma_f64 v[22:23], v[2:3], -v[18:19], v[22:23]
	ds_store_b128 v14, v[20:23]
.LBB62_112:
	s_or_b32 exec_lo, exec_lo, s0
	s_wait_storecnt_dscnt 0x0
	ds_load_2addr_b64 v[2:5], v8 offset1:1
	s_mov_b32 s0, 0
	s_mov_b32 s1, exec_lo
	s_wait_dscnt 0x0
	global_store_b128 v[0:1], v[2:5], off
	s_wait_xcnt 0x0
	v_cmpx_eq_u32_e32 0, v15
	s_cbranch_execz .LBB62_114
; %bb.113:
	v_dual_mov_b32 v0, 0 :: v_dual_mov_b32 v1, 1
	s_add_nc_u64 s[2:3], s[6:7], s[8:9]
	global_wb scope:SCOPE_DEV
	s_wait_storecnt 0x0
	global_store_b32 v0, v1, s[2:3] scope:SCOPE_DEV
.LBB62_114:
	s_wait_xcnt 0x0
	s_or_b32 exec_lo, exec_lo, s1
	s_delay_alu instid0(SALU_CYCLE_1)
	s_and_b32 vcc_lo, exec_lo, s0
	s_cbranch_vccz .LBB62_16
.LBB62_115:
	v_or_b32_e32 v0, v12, v13
	s_mov_b32 s0, exec_lo
	s_delay_alu instid0(VALU_DEP_1)
	v_cmpx_eq_u32_e32 0, v0
	s_cbranch_execz .LBB62_16
; %bb.116:
	v_mbcnt_lo_u32_b32 v0, exec_lo, 0
	s_mov_b32 s0, exec_lo
	s_delay_alu instid0(VALU_DEP_1)
	v_cmpx_eq_u32_e32 0, v0
	s_cbranch_execz .LBB62_118
; %bb.117:
	s_add_co_i32 s1, s16, s17
	s_delay_alu instid0(SALU_CYCLE_1)
	v_dual_mov_b32 v0, 0 :: v_dual_mov_b32 v1, s1
	global_atomic_min_i32 v0, v1, s[10:11] scope:SCOPE_DEV
.LBB62_118:
	s_wait_xcnt 0x0
	s_or_b32 exec_lo, exec_lo, s0
	v_dual_mov_b32 v0, 0 :: v_dual_mov_b32 v1, 1
	s_add_nc_u64 s[0:1], s[6:7], s[8:9]
	global_wb scope:SCOPE_DEV
	s_wait_storecnt 0x0
	global_store_b32 v0, v1, s[0:1] scope:SCOPE_DEV
	s_endpgm
.LBB62_119:
	v_mov_b64_e32 v[6:7], 0
	s_cbranch_execz .LBB62_65
	s_branch .LBB62_66
.LBB62_120:
	v_mov_b64_e32 v[6:7], 0
	s_cbranch_execz .LBB62_78
	s_branch .LBB62_79
.LBB62_121:
	v_mov_b64_e32 v[6:7], 0
	s_cbranch_execz .LBB62_91
	s_branch .LBB62_92
.LBB62_122:
	v_mov_b64_e32 v[6:7], 0
	s_cbranch_execz .LBB62_104
	s_branch .LBB62_105
	.section	.rodata,"a",@progbits
	.p2align	6, 0x0
	.amdhsa_kernel _ZN9rocsparseL26bsric0_2_8_unrolled_kernelILi16ELi32ELi4E21rocsparse_complex_numIdEEEv20rocsparse_direction_iiPKiS5_PT2_S5_PiS5_S8_21rocsparse_index_base_
		.amdhsa_group_segment_fixed_size 1664
		.amdhsa_private_segment_fixed_size 0
		.amdhsa_kernarg_size 76
		.amdhsa_user_sgpr_count 2
		.amdhsa_user_sgpr_dispatch_ptr 0
		.amdhsa_user_sgpr_queue_ptr 0
		.amdhsa_user_sgpr_kernarg_segment_ptr 1
		.amdhsa_user_sgpr_dispatch_id 0
		.amdhsa_user_sgpr_kernarg_preload_length 0
		.amdhsa_user_sgpr_kernarg_preload_offset 0
		.amdhsa_user_sgpr_private_segment_size 0
		.amdhsa_wavefront_size32 1
		.amdhsa_uses_dynamic_stack 0
		.amdhsa_enable_private_segment 0
		.amdhsa_system_sgpr_workgroup_id_x 1
		.amdhsa_system_sgpr_workgroup_id_y 0
		.amdhsa_system_sgpr_workgroup_id_z 0
		.amdhsa_system_sgpr_workgroup_info 0
		.amdhsa_system_vgpr_workitem_id 1
		.amdhsa_next_free_vgpr 62
		.amdhsa_next_free_sgpr 37
		.amdhsa_named_barrier_count 0
		.amdhsa_reserve_vcc 1
		.amdhsa_float_round_mode_32 0
		.amdhsa_float_round_mode_16_64 0
		.amdhsa_float_denorm_mode_32 3
		.amdhsa_float_denorm_mode_16_64 3
		.amdhsa_fp16_overflow 0
		.amdhsa_memory_ordered 1
		.amdhsa_forward_progress 1
		.amdhsa_inst_pref_size 78
		.amdhsa_round_robin_scheduling 0
		.amdhsa_exception_fp_ieee_invalid_op 0
		.amdhsa_exception_fp_denorm_src 0
		.amdhsa_exception_fp_ieee_div_zero 0
		.amdhsa_exception_fp_ieee_overflow 0
		.amdhsa_exception_fp_ieee_underflow 0
		.amdhsa_exception_fp_ieee_inexact 0
		.amdhsa_exception_int_div_zero 0
	.end_amdhsa_kernel
	.section	.text._ZN9rocsparseL26bsric0_2_8_unrolled_kernelILi16ELi32ELi4E21rocsparse_complex_numIdEEEv20rocsparse_direction_iiPKiS5_PT2_S5_PiS5_S8_21rocsparse_index_base_,"axG",@progbits,_ZN9rocsparseL26bsric0_2_8_unrolled_kernelILi16ELi32ELi4E21rocsparse_complex_numIdEEEv20rocsparse_direction_iiPKiS5_PT2_S5_PiS5_S8_21rocsparse_index_base_,comdat
.Lfunc_end62:
	.size	_ZN9rocsparseL26bsric0_2_8_unrolled_kernelILi16ELi32ELi4E21rocsparse_complex_numIdEEEv20rocsparse_direction_iiPKiS5_PT2_S5_PiS5_S8_21rocsparse_index_base_, .Lfunc_end62-_ZN9rocsparseL26bsric0_2_8_unrolled_kernelILi16ELi32ELi4E21rocsparse_complex_numIdEEEv20rocsparse_direction_iiPKiS5_PT2_S5_PiS5_S8_21rocsparse_index_base_
                                        ; -- End function
	.set _ZN9rocsparseL26bsric0_2_8_unrolled_kernelILi16ELi32ELi4E21rocsparse_complex_numIdEEEv20rocsparse_direction_iiPKiS5_PT2_S5_PiS5_S8_21rocsparse_index_base_.num_vgpr, 62
	.set _ZN9rocsparseL26bsric0_2_8_unrolled_kernelILi16ELi32ELi4E21rocsparse_complex_numIdEEEv20rocsparse_direction_iiPKiS5_PT2_S5_PiS5_S8_21rocsparse_index_base_.num_agpr, 0
	.set _ZN9rocsparseL26bsric0_2_8_unrolled_kernelILi16ELi32ELi4E21rocsparse_complex_numIdEEEv20rocsparse_direction_iiPKiS5_PT2_S5_PiS5_S8_21rocsparse_index_base_.numbered_sgpr, 37
	.set _ZN9rocsparseL26bsric0_2_8_unrolled_kernelILi16ELi32ELi4E21rocsparse_complex_numIdEEEv20rocsparse_direction_iiPKiS5_PT2_S5_PiS5_S8_21rocsparse_index_base_.num_named_barrier, 0
	.set _ZN9rocsparseL26bsric0_2_8_unrolled_kernelILi16ELi32ELi4E21rocsparse_complex_numIdEEEv20rocsparse_direction_iiPKiS5_PT2_S5_PiS5_S8_21rocsparse_index_base_.private_seg_size, 0
	.set _ZN9rocsparseL26bsric0_2_8_unrolled_kernelILi16ELi32ELi4E21rocsparse_complex_numIdEEEv20rocsparse_direction_iiPKiS5_PT2_S5_PiS5_S8_21rocsparse_index_base_.uses_vcc, 1
	.set _ZN9rocsparseL26bsric0_2_8_unrolled_kernelILi16ELi32ELi4E21rocsparse_complex_numIdEEEv20rocsparse_direction_iiPKiS5_PT2_S5_PiS5_S8_21rocsparse_index_base_.uses_flat_scratch, 0
	.set _ZN9rocsparseL26bsric0_2_8_unrolled_kernelILi16ELi32ELi4E21rocsparse_complex_numIdEEEv20rocsparse_direction_iiPKiS5_PT2_S5_PiS5_S8_21rocsparse_index_base_.has_dyn_sized_stack, 0
	.set _ZN9rocsparseL26bsric0_2_8_unrolled_kernelILi16ELi32ELi4E21rocsparse_complex_numIdEEEv20rocsparse_direction_iiPKiS5_PT2_S5_PiS5_S8_21rocsparse_index_base_.has_recursion, 0
	.set _ZN9rocsparseL26bsric0_2_8_unrolled_kernelILi16ELi32ELi4E21rocsparse_complex_numIdEEEv20rocsparse_direction_iiPKiS5_PT2_S5_PiS5_S8_21rocsparse_index_base_.has_indirect_call, 0
	.section	.AMDGPU.csdata,"",@progbits
; Kernel info:
; codeLenInByte = 9928
; TotalNumSgprs: 39
; NumVgprs: 62
; ScratchSize: 0
; MemoryBound: 1
; FloatMode: 240
; IeeeMode: 1
; LDSByteSize: 1664 bytes/workgroup (compile time only)
; SGPRBlocks: 0
; VGPRBlocks: 3
; NumSGPRsForWavesPerEU: 39
; NumVGPRsForWavesPerEU: 62
; NamedBarCnt: 0
; Occupancy: 16
; WaveLimiterHint : 1
; COMPUTE_PGM_RSRC2:SCRATCH_EN: 0
; COMPUTE_PGM_RSRC2:USER_SGPR: 2
; COMPUTE_PGM_RSRC2:TRAP_HANDLER: 0
; COMPUTE_PGM_RSRC2:TGID_X_EN: 1
; COMPUTE_PGM_RSRC2:TGID_Y_EN: 0
; COMPUTE_PGM_RSRC2:TGID_Z_EN: 0
; COMPUTE_PGM_RSRC2:TIDIG_COMP_CNT: 1
	.section	.text._ZN9rocsparseL26bsric0_2_8_unrolled_kernelILi25ELi32ELi5E21rocsparse_complex_numIdEEEv20rocsparse_direction_iiPKiS5_PT2_S5_PiS5_S8_21rocsparse_index_base_,"axG",@progbits,_ZN9rocsparseL26bsric0_2_8_unrolled_kernelILi25ELi32ELi5E21rocsparse_complex_numIdEEEv20rocsparse_direction_iiPKiS5_PT2_S5_PiS5_S8_21rocsparse_index_base_,comdat
	.globl	_ZN9rocsparseL26bsric0_2_8_unrolled_kernelILi25ELi32ELi5E21rocsparse_complex_numIdEEEv20rocsparse_direction_iiPKiS5_PT2_S5_PiS5_S8_21rocsparse_index_base_ ; -- Begin function _ZN9rocsparseL26bsric0_2_8_unrolled_kernelILi25ELi32ELi5E21rocsparse_complex_numIdEEEv20rocsparse_direction_iiPKiS5_PT2_S5_PiS5_S8_21rocsparse_index_base_
	.p2align	8
	.type	_ZN9rocsparseL26bsric0_2_8_unrolled_kernelILi25ELi32ELi5E21rocsparse_complex_numIdEEEv20rocsparse_direction_iiPKiS5_PT2_S5_PiS5_S8_21rocsparse_index_base_,@function
_ZN9rocsparseL26bsric0_2_8_unrolled_kernelILi25ELi32ELi5E21rocsparse_complex_numIdEEEv20rocsparse_direction_iiPKiS5_PT2_S5_PiS5_S8_21rocsparse_index_base_: ; @_ZN9rocsparseL26bsric0_2_8_unrolled_kernelILi25ELi32ELi5E21rocsparse_complex_numIdEEEv20rocsparse_direction_iiPKiS5_PT2_S5_PiS5_S8_21rocsparse_index_base_
; %bb.0:
	s_load_b256 s[4:11], s[0:1], 0x28
	s_bfe_u32 s2, ttmp6, 0x4000c
	s_and_b32 s3, ttmp6, 15
	s_add_co_i32 s2, s2, 1
	s_getreg_b32 s12, hwreg(HW_REG_IB_STS2, 6, 4)
	s_mul_i32 s2, ttmp9, s2
	v_and_b32_e32 v14, 0x3ff, v0
	s_add_co_i32 s3, s3, s2
	s_cmp_eq_u32 s12, 0
	v_bfe_u32 v15, v0, 10, 10
	s_cselect_b32 s2, ttmp9, s3
	s_wait_kmcnt 0x0
	s_load_b32 s16, s[8:9], s2 offset:0x0 scale_offset
	s_wait_kmcnt 0x0
	s_ashr_i32 s17, s16, 31
	s_delay_alu instid0(SALU_CYCLE_1) | instskip(NEXT) | instid1(SALU_CYCLE_1)
	s_lshl_b64 s[8:9], s[16:17], 2
	s_add_nc_u64 s[2:3], s[4:5], s[8:9]
	s_load_b32 s26, s[2:3], 0x0
	s_load_b32 s17, s[0:1], 0x48
	s_wait_kmcnt 0x0
	s_cmp_lg_u32 s26, -1
	s_cbranch_scc0 .LBB63_67
; %bb.1:
	s_clause 0x1
	s_load_b128 s[12:15], s[0:1], 0x10
	s_load_b64 s[18:19], s[0:1], 0x20
	v_mad_u32_u24 v16, v15, 5, v14
	v_mul_u32_u24_e32 v20, 5, v15
	s_wait_kmcnt 0x0
	s_add_nc_u64 s[2:3], s[12:13], s[8:9]
	s_load_b32 s3, s[2:3], 0x0
	s_wait_xcnt 0x0
	s_mov_b32 s2, exec_lo
	s_wait_kmcnt 0x0
	s_sub_co_i32 s27, s3, s17
	s_delay_alu instid0(SALU_CYCLE_1) | instskip(NEXT) | instid1(VALU_DEP_1)
	v_add_nc_u32_e32 v0, s27, v16
	v_cmpx_ge_i32_e64 s26, v0
	s_cbranch_execz .LBB63_14
; %bb.2:
	v_add_nc_u32_e32 v1, s3, v14
	s_add_co_i32 s20, s26, 1
	s_mov_b32 s21, -1
	s_delay_alu instid0(VALU_DEP_1) | instskip(NEXT) | instid1(VALU_DEP_1)
	v_add_nc_u32_e32 v2, v1, v20
	v_subrev_nc_u32_e32 v2, s17, v2
	s_delay_alu instid0(VALU_DEP_1) | instskip(SKIP_1) | instid1(VALU_DEP_1)
	v_add_max_i32_e64 v2, v2, 25, s20
	s_mov_b32 s20, exec_lo
	v_add_nc_u32_e32 v2, s17, v2
	s_delay_alu instid0(VALU_DEP_1) | instskip(NEXT) | instid1(VALU_DEP_1)
	v_sub_nc_u32_e32 v1, v2, v1
	v_subrev_nc_u32_e32 v1, 25, v1
	s_delay_alu instid0(VALU_DEP_1) | instskip(SKIP_1) | instid1(VALU_DEP_1)
	v_cmp_ne_u32_e32 vcc_lo, v1, v20
	v_add_co_ci_u32_e64 v2, null, 0, v20, vcc_lo
	v_sub_nc_u32_e32 v1, v1, v2
	s_delay_alu instid0(VALU_DEP_1) | instskip(NEXT) | instid1(VALU_DEP_1)
	v_mul_hi_u32 v1, 0x51eb851f, v1
	v_lshrrev_b32_e32 v1, 3, v1
	s_delay_alu instid0(VALU_DEP_1) | instskip(NEXT) | instid1(VALU_DEP_1)
	v_add_co_ci_u32_e64 v4, null, 0, v1, vcc_lo
	v_cmpx_ne_u32_e32 0, v4
	s_cbranch_execz .LBB63_11
; %bb.3:
	v_add_nc_u32_e32 v1, -1, v4
	s_mov_b32 s21, exec_lo
	s_delay_alu instid0(VALU_DEP_1) | instskip(NEXT) | instid1(VALU_DEP_1)
	v_dual_lshrrev_b32 v2, 1, v1 :: v_dual_add_nc_u32 v1, 25, v0
	v_add_nc_u32_e32 v5, 1, v2
	s_delay_alu instid0(VALU_DEP_2)
	v_mov_b64_e32 v[2:3], v[0:1]
	v_cmpx_lt_u32_e32 14, v4
	s_cbranch_execz .LBB63_7
; %bb.4:
	v_mov_b64_e32 v[2:3], v[0:1]
	v_and_b32_e32 v6, -8, v5
	s_mov_b32 s22, 0
.LBB63_5:                               ; =>This Inner Loop Header: Depth=1
	s_clause 0x1
	global_load_b32 v1, v2, s[14:15] scale_offset
	global_load_b32 v7, v3, s[14:15] scale_offset
	v_add_nc_u32_e32 v17, 0xc8, v3
	v_add_nc_u32_e32 v12, 0x96, v3
	;; [unrolled: 1-line block ×3, first 2 shown]
	v_dual_add_nc_u32 v8, 50, v3 :: v_dual_add_nc_u32 v9, 50, v2
	v_add_nc_u32_e32 v11, 0x64, v2
	v_add_nc_u32_e32 v13, 0x96, v2
	;; [unrolled: 1-line block ×9, first 2 shown]
	s_clause 0xd
	global_load_b32 v26, v17, s[14:15] scale_offset
	global_load_b32 v27, v12, s[14:15] scale_offset
	;; [unrolled: 1-line block ×14, first 2 shown]
	v_subrev_nc_u32_e32 v40, s27, v2
	v_subrev_nc_u32_e32 v41, s27, v3
	v_add_nc_u32_e32 v6, -8, v6
	s_wait_xcnt 0xa
	v_subrev_nc_u32_e32 v8, s27, v8
	s_wait_xcnt 0x9
	v_subrev_nc_u32_e32 v9, s27, v9
	v_dual_lshlrev_b32 v40, 2, v40 :: v_dual_lshlrev_b32 v41, 2, v41
	s_wait_xcnt 0x8
	v_subrev_nc_u32_e32 v11, s27, v11
	v_subrev_nc_u32_e32 v10, s27, v10
	v_cmp_eq_u32_e32 vcc_lo, 0, v6
	s_wait_xcnt 0x7
	v_subrev_nc_u32_e32 v13, s27, v13
	v_add_nc_u32_e32 v3, 0x190, v3
	v_subrev_nc_u32_e32 v12, s27, v12
	v_subrev_nc_u32_e32 v17, s27, v17
	s_wait_xcnt 0x6
	v_subrev_nc_u32_e32 v18, s27, v18
	s_wait_xcnt 0x3
	;; [unrolled: 2-line block ×3, first 2 shown]
	v_subrev_nc_u32_e32 v21, s27, v21
	v_subrev_nc_u32_e32 v22, s27, v22
	s_wait_xcnt 0x1
	v_subrev_nc_u32_e32 v23, s27, v23
	v_subrev_nc_u32_e32 v24, s27, v24
	s_wait_xcnt 0x0
	v_subrev_nc_u32_e32 v25, s27, v25
	v_add_nc_u32_e32 v2, 0x190, v2
	v_dual_lshlrev_b32 v9, 2, v9 :: v_dual_lshlrev_b32 v11, 2, v11
	v_dual_lshlrev_b32 v8, 2, v8 :: v_dual_lshlrev_b32 v10, 2, v10
	v_lshlrev_b32_e32 v13, 2, v13
	s_or_b32 s22, vcc_lo, s22
	v_dual_lshlrev_b32 v12, 2, v12 :: v_dual_lshlrev_b32 v18, 2, v18
	v_dual_lshlrev_b32 v17, 2, v17 :: v_dual_lshlrev_b32 v19, 2, v19
	;; [unrolled: 1-line block ×4, first 2 shown]
	v_lshlrev_b32_e32 v24, 2, v24
	s_wait_loadcnt 0xf
	v_subrev_nc_u32_e32 v1, s17, v1
	s_wait_loadcnt 0xe
	v_subrev_nc_u32_e32 v7, s17, v7
	ds_store_b32 v40, v1 offset:2176
	ds_store_b32 v41, v7 offset:2176
	s_wait_loadcnt 0xa
	v_subrev_nc_u32_e32 v1, s17, v29
	s_wait_loadcnt 0x9
	v_subrev_nc_u32_e32 v7, s17, v30
	s_wait_loadcnt 0x8
	v_subrev_nc_u32_e32 v29, s17, v31
	v_subrev_nc_u32_e32 v28, s17, v28
	s_wait_loadcnt 0x7
	v_subrev_nc_u32_e32 v30, s17, v32
	v_subrev_nc_u32_e32 v27, s17, v27
	;; [unrolled: 1-line block ×3, first 2 shown]
	s_wait_loadcnt 0x6
	v_subrev_nc_u32_e32 v31, s17, v33
	s_wait_loadcnt 0x3
	v_subrev_nc_u32_e32 v32, s17, v36
	;; [unrolled: 2-line block ×3, first 2 shown]
	v_subrev_nc_u32_e32 v35, s17, v35
	s_wait_loadcnt 0x1
	v_subrev_nc_u32_e32 v36, s17, v38
	v_subrev_nc_u32_e32 v34, s17, v34
	s_wait_loadcnt 0x0
	v_subrev_nc_u32_e32 v37, s17, v39
	ds_store_b32 v9, v7 offset:2176
	ds_store_b32 v8, v1 offset:2176
	;; [unrolled: 1-line block ×14, first 2 shown]
	s_and_not1_b32 exec_lo, exec_lo, s22
	s_cbranch_execnz .LBB63_5
; %bb.6:
	s_or_b32 exec_lo, exec_lo, s22
.LBB63_7:
	s_delay_alu instid0(SALU_CYCLE_1) | instskip(SKIP_3) | instid1(VALU_DEP_1)
	s_or_b32 exec_lo, exec_lo, s21
	v_and_b32_e32 v1, 7, v5
	s_mov_b32 s22, 0
	s_mov_b32 s21, exec_lo
	v_cmpx_ne_u32_e32 0, v1
	s_cbranch_execz .LBB63_10
; %bb.8:
	v_sub_nc_u32_e32 v1, 0, v1
.LBB63_9:                               ; =>This Inner Loop Header: Depth=1
	s_clause 0x1
	global_load_b32 v5, v3, s[14:15] scale_offset
	global_load_b32 v6, v2, s[14:15] scale_offset
	v_subrev_nc_u32_e32 v7, s27, v2
	v_subrev_nc_u32_e32 v8, s27, v3
	s_wait_xcnt 0x0
	v_dual_add_nc_u32 v3, 50, v3 :: v_dual_add_nc_u32 v2, 50, v2
	v_add_co_u32 v1, s23, v1, 1
	s_delay_alu instid0(VALU_DEP_3)
	v_dual_lshlrev_b32 v7, 2, v7 :: v_dual_lshlrev_b32 v8, 2, v8
	s_or_b32 s22, s23, s22
	s_wait_loadcnt 0x1
	v_subrev_nc_u32_e32 v5, s17, v5
	s_wait_loadcnt 0x0
	v_subrev_nc_u32_e32 v6, s17, v6
	ds_store_b32 v7, v6 offset:2176
	ds_store_b32 v8, v5 offset:2176
	s_and_not1_b32 exec_lo, exec_lo, s22
	s_cbranch_execnz .LBB63_9
.LBB63_10:
	s_or_b32 exec_lo, exec_lo, s21
	v_add_nc_u32_e32 v1, 1, v4
	s_delay_alu instid0(VALU_DEP_1) | instskip(NEXT) | instid1(VALU_DEP_1)
	v_and_b32_e32 v2, 0x3ffffffe, v1
	v_mad_u32 v0, v2, 25, v0
	v_cmp_ne_u32_e32 vcc_lo, v1, v2
	s_or_not1_b32 s21, vcc_lo, exec_lo
.LBB63_11:
	s_or_b32 exec_lo, exec_lo, s20
	s_delay_alu instid0(SALU_CYCLE_1)
	s_and_b32 exec_lo, exec_lo, s21
	s_cbranch_execz .LBB63_14
; %bb.12:
	s_delay_alu instid0(VALU_DEP_2) | instskip(NEXT) | instid1(VALU_DEP_1)
	v_add_nc_u32_e32 v1, s17, v0
	v_subrev_nc_u32_e32 v2, s3, v1
	v_ashrrev_i32_e32 v1, 31, v0
	s_mov_b32 s3, 0
	s_delay_alu instid0(VALU_DEP_2) | instskip(NEXT) | instid1(VALU_DEP_2)
	v_lshl_add_u32 v4, v2, 2, 0x880
	v_lshl_add_u64 v[2:3], v[0:1], 2, s[14:15]
.LBB63_13:                              ; =>This Inner Loop Header: Depth=1
	global_load_b32 v1, v[2:3], off
	v_add_nc_u32_e32 v0, 25, v0
	s_wait_xcnt 0x0
	v_add_nc_u64_e32 v[2:3], 0x64, v[2:3]
	s_delay_alu instid0(VALU_DEP_2)
	v_cmp_lt_i32_e32 vcc_lo, s26, v0
	s_or_b32 s3, vcc_lo, s3
	s_wait_loadcnt 0x0
	v_subrev_nc_u32_e32 v1, s17, v1
	ds_store_b32 v4, v1
	v_add_nc_u32_e32 v4, 0x64, v4
	s_and_not1_b32 exec_lo, exec_lo, s3
	s_cbranch_execnz .LBB63_13
.LBB63_14:
	s_or_b32 exec_lo, exec_lo, s2
	s_load_b32 s28, s[0:1], 0x0
	s_wait_xcnt 0x0
	s_movk_i32 s0, 0x60
	v_mov_b32_e32 v0, 0
	v_mad_u32_u24 v19, v15, s0, 0x5a0
	v_mad_u32_u24 v17, v14, 5, v15
	s_cmp_ge_i32 s27, s26
	s_delay_alu instid0(VALU_DEP_3) | instskip(NEXT) | instid1(VALU_DEP_3)
	v_dual_mov_b32 v1, v0 :: v_dual_mov_b32 v2, v0
	v_lshl_add_u32 v18, v14, 4, v19
	v_mov_b32_e32 v3, v0
	ds_store_b128 v18, v[0:3]
	s_wait_dscnt 0x0
	s_cbranch_scc1 .LBB63_61
; %bb.15:
	s_movk_i32 s0, 0x3c0
	s_movk_i32 s1, 0x1e0
	s_wait_kmcnt 0x0
	s_cmp_lg_u32 s28, 0
	v_mad_u32_u24 v1, 0x60, v15, s0
	v_dual_lshlrev_b32 v2, 4, v14 :: v_dual_bitop2_b32 v4, v14, v15 bitop3:0x54
	v_mad_u32_u24 v22, 0x60, v15, s1
	v_mad_u32_u24 v3, v14, 5, v15
	s_cselect_b32 s29, -1, 0
	s_cmp_eq_u32 s28, 0
	v_mul_u32_u24_e32 v21, 5, v14
	s_cselect_b32 vcc_lo, -1, 0
	v_dual_add_nc_u32 v23, v1, v2 :: v_dual_add_nc_u32 v25, v22, v2
	v_mad_u32_u24 v24, 0x60, v15, v2
	v_mad_u32_u24 v26, 0x60, v14, s0
	v_cmp_ne_u32_e64 s0, 0, v4
	v_cndmask_b32_e32 v27, v3, v16, vcc_lo
	s_mov_b32 s2, s27
	s_branch .LBB63_19
.LBB63_16:                              ;   in Loop: Header=BB63_19 Depth=1
	s_wait_xcnt 0x0
	s_or_b32 exec_lo, exec_lo, s20
	v_mov_b64_e32 v[10:11], 0
	v_mov_b64_e32 v[8:9], 1.0
.LBB63_17:                              ;   in Loop: Header=BB63_19 Depth=1
	s_or_b32 exec_lo, exec_lo, s1
	s_delay_alu instid0(VALU_DEP_1)
	v_mul_f64_e32 v[12:13], v[10:11], v[10:11]
	ds_load_b128 v[28:31], v1
	ds_load_b128 v[32:35], v0 offset:384
	ds_load_b128 v[36:39], v22 offset:64
	;; [unrolled: 1-line block ×3, first 2 shown]
	s_add_co_i32 s2, s2, 1
	s_delay_alu instid0(SALU_CYCLE_1)
	s_cmp_ge_i32 s2, s26
	s_cselect_b32 s23, -1, 0
	s_wait_dscnt 0x1
	v_fmac_f64_e32 v[38:39], v[34:35], v[28:29]
	v_fmac_f64_e32 v[36:37], v[32:33], v[28:29]
	v_fmac_f64_e32 v[12:13], v[8:9], v[8:9]
	s_delay_alu instid0(VALU_DEP_3) | instskip(NEXT) | instid1(VALU_DEP_3)
	v_fma_f64 v[38:39], v[32:33], -v[30:31], v[38:39]
	v_fmac_f64_e32 v[36:37], v[34:35], v[30:31]
	ds_load_b128 v[28:31], v0 offset:400
	ds_load_b128 v[32:35], v0 offset:416
	v_div_scale_f64 v[44:45], null, v[12:13], v[12:13], 1.0
	s_wait_dscnt 0x1
	v_fmac_f64_e32 v[38:39], v[30:31], v[40:41]
	v_fmac_f64_e32 v[36:37], v[28:29], v[40:41]
	s_delay_alu instid0(VALU_DEP_3) | instskip(NEXT) | instid1(VALU_DEP_2)
	v_rcp_f64_e32 v[46:47], v[44:45]
	v_fma_f64 v[48:49], v[28:29], -v[42:43], v[38:39]
	s_delay_alu instid0(VALU_DEP_2)
	v_fmac_f64_e32 v[36:37], v[30:31], v[42:43]
	ds_load_b128 v[28:31], v1 offset:32
	ds_load_b128 v[38:41], v1 offset:48
	v_fma_f64 v[50:51], -v[44:45], v[46:47], 1.0
	s_wait_dscnt 0x1
	v_fmac_f64_e32 v[48:49], v[34:35], v[28:29]
	v_fmac_f64_e32 v[36:37], v[32:33], v[28:29]
	s_delay_alu instid0(VALU_DEP_3) | instskip(NEXT) | instid1(VALU_DEP_3)
	v_fmac_f64_e32 v[46:47], v[46:47], v[50:51]
	v_fma_f64 v[32:33], v[32:33], -v[30:31], v[48:49]
	s_delay_alu instid0(VALU_DEP_3)
	v_fmac_f64_e32 v[36:37], v[34:35], v[30:31]
	ds_load_b128 v[28:31], v0 offset:432
	v_div_scale_f64 v[34:35], vcc_lo, 1.0, v[12:13], 1.0
	v_fma_f64 v[42:43], -v[44:45], v[46:47], 1.0
	s_wait_dscnt 0x0
	v_fmac_f64_e32 v[32:33], v[30:31], v[38:39]
	v_fmac_f64_e32 v[36:37], v[28:29], v[38:39]
	s_delay_alu instid0(VALU_DEP_3) | instskip(NEXT) | instid1(VALU_DEP_3)
	v_fmac_f64_e32 v[46:47], v[46:47], v[42:43]
	v_fma_f64 v[28:29], v[28:29], -v[40:41], v[32:33]
	s_delay_alu instid0(VALU_DEP_3) | instskip(NEXT) | instid1(VALU_DEP_3)
	v_fmac_f64_e32 v[36:37], v[30:31], v[40:41]
	v_mul_f64_e32 v[32:33], v[34:35], v[46:47]
	s_delay_alu instid0(VALU_DEP_3) | instskip(NEXT) | instid1(VALU_DEP_3)
	v_add_f64_e64 v[4:5], v[4:5], -v[28:29]
	v_add_f64_e64 v[2:3], v[2:3], -v[36:37]
	s_delay_alu instid0(VALU_DEP_3) | instskip(NEXT) | instid1(VALU_DEP_3)
	v_fma_f64 v[28:29], -v[44:45], v[32:33], v[34:35]
	v_mul_f64_e32 v[30:31], v[10:11], v[4:5]
	s_delay_alu instid0(VALU_DEP_3) | instskip(NEXT) | instid1(VALU_DEP_3)
	v_mul_f64_e64 v[10:11], v[10:11], -v[2:3]
	v_div_fmas_f64 v[28:29], v[28:29], v[46:47], v[32:33]
	s_delay_alu instid0(VALU_DEP_3) | instskip(NEXT) | instid1(VALU_DEP_3)
	v_fmac_f64_e32 v[30:31], v[2:3], v[8:9]
	v_fmac_f64_e32 v[10:11], v[4:5], v[8:9]
	s_delay_alu instid0(VALU_DEP_3) | instskip(NEXT) | instid1(VALU_DEP_1)
	v_div_fixup_f64 v[12:13], v[28:29], v[12:13], 1.0
	v_mul_f64_e32 v[2:3], v[12:13], v[30:31]
	s_delay_alu instid0(VALU_DEP_3)
	v_mul_f64_e32 v[4:5], v[12:13], v[10:11]
	ds_store_b128 v1, v[2:5] offset:64
	s_wait_storecnt_dscnt 0x0
	ds_load_b128 v[8:11], v26 offset:64
	ds_load_b128 v[28:31], v18
	s_wait_dscnt 0x0
	v_fmac_f64_e32 v[28:29], v[2:3], v[8:9]
	v_fmac_f64_e32 v[30:31], v[4:5], v[8:9]
	s_delay_alu instid0(VALU_DEP_2) | instskip(NEXT) | instid1(VALU_DEP_2)
	v_fmac_f64_e32 v[28:29], v[4:5], v[10:11]
	v_fma_f64 v[30:31], v[2:3], -v[10:11], v[30:31]
	ds_store_b128 v18, v[28:31]
	s_wait_dscnt 0x0
	ds_load_2addr_b64 v[2:5], v23 offset1:1
	s_wait_dscnt 0x0
	global_store_b128 v[6:7], v[2:5], off
	global_wb scope:SCOPE_DEV
	s_wait_storecnt 0x0
	global_inv scope:SCOPE_DEV
.LBB63_18:                              ;   in Loop: Header=BB63_19 Depth=1
	s_and_b32 vcc_lo, exec_lo, s23
	s_cbranch_vccnz .LBB63_61
.LBB63_19:                              ; =>This Loop Header: Depth=1
                                        ;     Child Loop BB63_22 Depth 2
                                        ;     Child Loop BB63_33 Depth 2
	;; [unrolled: 1-line block ×3, first 2 shown]
	s_ashr_i32 s3, s2, 31
	s_delay_alu instid0(SALU_CYCLE_1) | instskip(NEXT) | instid1(SALU_CYCLE_1)
	s_lshl_b64 s[20:21], s[2:3], 2
	s_add_nc_u64 s[20:21], s[14:15], s[20:21]
	s_load_b32 s3, s[20:21], 0x0
	s_wait_kmcnt 0x0
	s_sub_co_i32 s22, s3, s17
	s_delay_alu instid0(SALU_CYCLE_1)
	s_ashr_i32 s23, s22, 31
	s_wait_xcnt 0x0
	s_lshl_b64 s[20:21], s[22:23], 2
	s_mov_b32 s23, -1
	s_add_nc_u64 s[24:25], s[4:5], s[20:21]
	s_load_b32 s1, s[24:25], 0x0
	s_wait_kmcnt 0x0
	s_cmp_eq_u32 s1, -1
	s_cbranch_scc1 .LBB63_18
; %bb.20:                               ;   in Loop: Header=BB63_19 Depth=1
	v_mad_u32 v2, s2, 25, v27
	s_wait_xcnt 0x0
	s_add_nc_u64 s[24:25], s[12:13], s[20:21]
	ds_load_b32 v3, v0 offset:2176
	s_load_b32 s23, s[24:25], 0x0
	global_load_b128 v[4:7], v2, s[18:19] scale_offset
	s_wait_dscnt 0x0
	v_cmp_ge_i32_e32 vcc_lo, s22, v3
	s_wait_kmcnt 0x0
	s_sub_co_i32 s24, s23, s17
	s_delay_alu instid0(SALU_CYCLE_1) | instskip(SKIP_1) | instid1(SALU_CYCLE_1)
	s_cmp_le_i32 s24, s1
	s_cselect_b32 s23, -1, 0
	s_and_b32 s23, s23, vcc_lo
	s_delay_alu instid0(SALU_CYCLE_1)
	s_and_not1_b32 vcc_lo, exec_lo, s23
	s_mov_b32 s23, 0
	s_wait_loadcnt 0x0
	ds_store_2addr_b64 v23, v[4:5], v[6:7] offset1:1
	s_cbranch_vccnz .LBB63_32
; %bb.21:                               ;   in Loop: Header=BB63_19 Depth=1
	s_mov_b32 s30, 0
	s_mov_b32 s31, 0
.LBB63_22:                              ;   Parent Loop BB63_19 Depth=1
                                        ; =>  This Inner Loop Header: Depth=2
	s_ashr_i32 s25, s24, 31
	s_lshl_b32 s23, s31, 2
	s_lshl_b64 s[34:35], s[24:25], 2
	v_mov_b32_e32 v3, s23
	s_add_nc_u64 s[34:35], s[14:15], s[34:35]
                                        ; implicit-def: $sgpr33
	s_load_b32 s23, s[34:35], 0x0
	s_wait_xcnt 0x0
	s_mov_b32 s35, -1
	ds_load_b32 v3, v3 offset:2176
                                        ; implicit-def: $sgpr34
	s_wait_kmcnt 0x0
	s_sub_co_i32 s36, s23, s17
                                        ; implicit-def: $sgpr23
	s_wait_dscnt 0x0
	v_readfirstlane_b32 s25, v3
	v_cmp_ge_i32_e32 vcc_lo, s36, v3
	s_cbranch_vccz .LBB63_28
; %bb.23:                               ;   in Loop: Header=BB63_22 Depth=2
	s_cmp_le_i32 s36, s25
                                        ; implicit-def: $sgpr23
                                        ; implicit-def: $sgpr34
                                        ; implicit-def: $sgpr33
	s_cbranch_scc0 .LBB63_25
; %bb.24:                               ;   in Loop: Header=BB63_22 Depth=2
	s_add_co_i32 s23, s31, s27
	s_lshl_b32 s33, s30, 2
	s_mul_i32 s23, s23, 25
	s_mul_i32 s34, s24, 25
	s_delay_alu instid0(SALU_CYCLE_1)
	v_dual_mov_b32 v3, s23 :: v_dual_mov_b32 v4, s34
	v_add_nc_u32_e64 v5, 0x600, s33
	s_add_co_i32 s33, s31, 1
	s_add_co_i32 s34, s24, 1
	;; [unrolled: 1-line block ×3, first 2 shown]
	s_mov_b32 s35, 0
	ds_store_2addr_b32 v5, v4, v3 offset0:96 offset1:128
.LBB63_25:                              ;   in Loop: Header=BB63_22 Depth=2
	s_and_not1_b32 vcc_lo, exec_lo, s35
	s_cbranch_vccnz .LBB63_27
; %bb.26:                               ;   in Loop: Header=BB63_22 Depth=2
	s_add_co_i32 s33, s31, 1
	s_mov_b32 s23, s30
	s_mov_b32 s34, s24
.LBB63_27:                              ;   in Loop: Header=BB63_22 Depth=2
	s_mov_b32 s35, 0
.LBB63_28:                              ;   in Loop: Header=BB63_22 Depth=2
	s_delay_alu instid0(SALU_CYCLE_1)
	s_and_not1_b32 vcc_lo, exec_lo, s35
	s_cbranch_vccnz .LBB63_30
; %bb.29:                               ;   in Loop: Header=BB63_22 Depth=2
	s_add_co_i32 s34, s24, 1
	s_mov_b32 s33, s31
	s_mov_b32 s23, s30
.LBB63_30:                              ;   in Loop: Header=BB63_22 Depth=2
	s_cmp_le_i32 s34, s1
	s_cselect_b32 s24, -1, 0
	s_cmp_le_i32 s25, s22
	s_cselect_b32 s25, -1, 0
	s_delay_alu instid0(SALU_CYCLE_1) | instskip(NEXT) | instid1(SALU_CYCLE_1)
	s_and_b32 s24, s24, s25
	s_and_b32 vcc_lo, exec_lo, s24
	s_cbranch_vccz .LBB63_32
; %bb.31:                               ;   in Loop: Header=BB63_22 Depth=2
	s_mov_b32 s30, s23
	s_mov_b32 s24, s34
	;; [unrolled: 1-line block ×3, first 2 shown]
	s_branch .LBB63_22
.LBB63_32:                              ;   in Loop: Header=BB63_19 Depth=1
	v_ashrrev_i32_e32 v3, 31, v2
	s_add_nc_u64 s[20:21], s[6:7], s[20:21]
	s_wait_dscnt 0x0
	s_delay_alu instid0(VALU_DEP_1)
	v_lshl_add_u64 v[6:7], v[2:3], 4, s[18:19]
.LBB63_33:                              ;   Parent Loop BB63_19 Depth=1
                                        ; =>  This Inner Loop Header: Depth=2
	global_load_b32 v2, v0, s[20:21] scope:SCOPE_DEV
	s_wait_loadcnt 0x0
	v_cmp_eq_u32_e32 vcc_lo, 0, v2
	s_cbranch_vccnz .LBB63_33
; %bb.34:                               ;   in Loop: Header=BB63_19 Depth=1
	v_mad_u32 v2, s1, 25, v27
	global_inv scope:SCOPE_DEV
	v_mov_b64_e32 v[4:5], 0
	s_cmp_lt_i32 s23, 2
	global_load_b128 v[8:11], v2, s[18:19] scale_offset
	s_wait_xcnt 0x0
	v_mov_b64_e32 v[2:3], 0
	s_wait_loadcnt 0x0
	ds_store_2addr_b64 v24, v[8:9], v[10:11] offset1:1
	s_wait_dscnt 0x0
	s_cbranch_scc1 .LBB63_42
; %bb.35:                               ;   in Loop: Header=BB63_19 Depth=1
	v_mov_b64_e32 v[10:11], 0
	v_mov_b64_e32 v[8:9], 0
	s_add_co_i32 s1, s23, -1
	s_movk_i32 s20, 0x780
.LBB63_36:                              ;   Parent Loop BB63_19 Depth=1
                                        ; =>  This Inner Loop Header: Depth=2
	s_delay_alu instid0(SALU_CYCLE_1)
	v_mov_b32_e32 v2, s20
	s_and_b32 vcc_lo, exec_lo, s29
	s_mov_b32 s21, -1
	s_wait_dscnt 0x0
	ds_load_2addr_b32 v[12:13], v2 offset1:32
                                        ; implicit-def: $vgpr4_vgpr5
	s_cbranch_vccz .LBB63_39
; %bb.37:                               ;   in Loop: Header=BB63_36 Depth=2
	s_wait_dscnt 0x0
	v_dual_add_nc_u32 v2, v12, v14 :: v_dual_add_nc_u32 v3, v13, v15
	s_clause 0x1
	global_load_b128 v[28:31], v2, s[18:19] scale_offset
	global_load_b128 v[32:35], v3, s[18:19] scale_offset
	v_dual_add_nc_u32 v4, 5, v2 :: v_dual_add_nc_u32 v5, 5, v3
	s_clause 0x1
	global_load_b128 v[36:39], v4, s[18:19] scale_offset
	global_load_b128 v[40:43], v5, s[18:19] scale_offset
	s_wait_xcnt 0x0
	v_dual_add_nc_u32 v4, 10, v2 :: v_dual_add_nc_u32 v5, 10, v3
	s_clause 0x1
	global_load_b128 v[44:47], v4, s[18:19] scale_offset
	global_load_b128 v[48:51], v5, s[18:19] scale_offset
	s_wait_xcnt 0x0
	v_dual_add_nc_u32 v4, 15, v2 :: v_dual_add_nc_u32 v5, 15, v3
	s_clause 0x1
	global_load_b128 v[52:55], v4, s[18:19] scale_offset
	global_load_b128 v[56:59], v5, s[18:19] scale_offset
	v_dual_add_nc_u32 v2, 20, v2 :: v_dual_add_nc_u32 v3, 20, v3
	s_clause 0x1
	global_load_b128 v[60:63], v2, s[18:19] scale_offset
	global_load_b128 v[64:67], v3, s[18:19] scale_offset
	s_wait_loadcnt 0x8
	s_wait_xcnt 0x0
	v_fma_f64 v[2:3], v[28:29], v[32:33], v[8:9]
	v_fma_f64 v[4:5], v[30:31], v[32:33], v[10:11]
	s_delay_alu instid0(VALU_DEP_2) | instskip(NEXT) | instid1(VALU_DEP_2)
	v_fmac_f64_e32 v[2:3], v[30:31], v[34:35]
	v_fma_f64 v[4:5], v[28:29], -v[34:35], v[4:5]
	s_wait_loadcnt 0x6
	s_delay_alu instid0(VALU_DEP_2) | instskip(NEXT) | instid1(VALU_DEP_2)
	v_fmac_f64_e32 v[2:3], v[36:37], v[40:41]
	v_fmac_f64_e32 v[4:5], v[38:39], v[40:41]
	s_delay_alu instid0(VALU_DEP_2) | instskip(NEXT) | instid1(VALU_DEP_2)
	v_fmac_f64_e32 v[2:3], v[38:39], v[42:43]
	v_fma_f64 v[4:5], v[36:37], -v[42:43], v[4:5]
	s_wait_loadcnt 0x4
	s_delay_alu instid0(VALU_DEP_2) | instskip(NEXT) | instid1(VALU_DEP_2)
	v_fmac_f64_e32 v[2:3], v[44:45], v[48:49]
	v_fmac_f64_e32 v[4:5], v[46:47], v[48:49]
	;; [unrolled: 7-line block ×4, first 2 shown]
	s_delay_alu instid0(VALU_DEP_2) | instskip(NEXT) | instid1(VALU_DEP_2)
	v_fmac_f64_e32 v[2:3], v[62:63], v[66:67]
	v_fma_f64 v[4:5], v[60:61], -v[66:67], v[4:5]
	s_cbranch_execz .LBB63_40
.LBB63_38:                              ;   in Loop: Header=BB63_36 Depth=2
	s_add_co_i32 s1, s1, -1
	s_add_co_i32 s20, s20, 4
	s_cmp_eq_u32 s1, 0
	s_cbranch_scc0 .LBB63_41
	s_branch .LBB63_42
.LBB63_39:                              ;   in Loop: Header=BB63_36 Depth=2
	s_and_not1_b32 vcc_lo, exec_lo, s21
	s_cbranch_vccnz .LBB63_38
.LBB63_40:                              ;   in Loop: Header=BB63_36 Depth=2
	s_wait_dscnt 0x0
	v_dual_add_nc_u32 v13, v13, v20 :: v_dual_add_nc_u32 v12, v12, v21
	s_clause 0x9
	global_load_b128 v[2:5], v13, s[18:19] scale_offset
	global_load_b128 v[28:31], v12, s[18:19] scale_offset
	global_load_b128 v[32:35], v12, s[18:19] offset:16 scale_offset
	global_load_b128 v[36:39], v13, s[18:19] offset:16 scale_offset
	;; [unrolled: 1-line block ×8, first 2 shown]
	s_wait_loadcnt 0x8
	v_fmac_f64_e32 v[8:9], v[28:29], v[2:3]
	v_fmac_f64_e32 v[10:11], v[30:31], v[2:3]
	s_delay_alu instid0(VALU_DEP_2) | instskip(NEXT) | instid1(VALU_DEP_2)
	v_fmac_f64_e32 v[8:9], v[30:31], v[4:5]
	v_fma_f64 v[2:3], v[28:29], -v[4:5], v[10:11]
	s_wait_loadcnt 0x6
	s_delay_alu instid0(VALU_DEP_2) | instskip(NEXT) | instid1(VALU_DEP_2)
	v_fmac_f64_e32 v[8:9], v[32:33], v[36:37]
	v_fmac_f64_e32 v[2:3], v[34:35], v[36:37]
	s_delay_alu instid0(VALU_DEP_2) | instskip(NEXT) | instid1(VALU_DEP_2)
	v_fmac_f64_e32 v[8:9], v[34:35], v[38:39]
	v_fma_f64 v[2:3], v[32:33], -v[38:39], v[2:3]
	s_wait_loadcnt 0x4
	s_delay_alu instid0(VALU_DEP_2) | instskip(NEXT) | instid1(VALU_DEP_2)
	v_fmac_f64_e32 v[8:9], v[44:45], v[40:41]
	v_fmac_f64_e32 v[2:3], v[46:47], v[40:41]
	s_delay_alu instid0(VALU_DEP_2) | instskip(NEXT) | instid1(VALU_DEP_2)
	v_fmac_f64_e32 v[8:9], v[46:47], v[42:43]
	v_fma_f64 v[2:3], v[44:45], -v[42:43], v[2:3]
	s_wait_loadcnt 0x2
	s_delay_alu instid0(VALU_DEP_2) | instskip(NEXT) | instid1(VALU_DEP_2)
	v_fmac_f64_e32 v[8:9], v[48:49], v[52:53]
	v_fmac_f64_e32 v[2:3], v[50:51], v[52:53]
	s_delay_alu instid0(VALU_DEP_2) | instskip(NEXT) | instid1(VALU_DEP_2)
	v_fmac_f64_e32 v[8:9], v[50:51], v[54:55]
	v_fma_f64 v[2:3], v[48:49], -v[54:55], v[2:3]
	s_wait_loadcnt 0x0
	s_delay_alu instid0(VALU_DEP_2) | instskip(NEXT) | instid1(VALU_DEP_2)
	v_fmac_f64_e32 v[8:9], v[56:57], v[60:61]
	v_fmac_f64_e32 v[2:3], v[58:59], v[60:61]
	s_delay_alu instid0(VALU_DEP_2) | instskip(NEXT) | instid1(VALU_DEP_2)
	v_fmac_f64_e32 v[8:9], v[58:59], v[62:63]
	v_fma_f64 v[4:5], v[56:57], -v[62:63], v[2:3]
	s_delay_alu instid0(VALU_DEP_2)
	v_mov_b64_e32 v[2:3], v[8:9]
	s_add_co_i32 s1, s1, -1
	s_add_co_i32 s20, s20, 4
	s_cmp_eq_u32 s1, 0
	s_cbranch_scc1 .LBB63_42
.LBB63_41:                              ;   in Loop: Header=BB63_36 Depth=2
	s_delay_alu instid0(VALU_DEP_1) | instskip(NEXT) | instid1(VALU_DEP_2)
	v_mov_b64_e32 v[10:11], v[4:5]
	v_mov_b64_e32 v[8:9], v[2:3]
	s_branch .LBB63_36
.LBB63_42:                              ;   in Loop: Header=BB63_19 Depth=1
	ds_store_b128 v25, v[2:5]
	s_wait_dscnt 0x0
	ds_load_b128 v[8:11], v0
	ds_load_b128 v[2:5], v1
	s_wait_dscnt 0x1
	v_cmp_neq_f64_e32 vcc_lo, 0, v[8:9]
	v_cmp_neq_f64_e64 s1, 0, v[10:11]
	s_or_b32 vcc_lo, vcc_lo, s1
	v_cndmask_b32_e32 v9, 0x3ff00000, v9, vcc_lo
	v_dual_cndmask_b32 v8, 0, v8 :: v_dual_cndmask_b32 v11, 0, v11
	v_cndmask_b32_e32 v10, 0, v10, vcc_lo
	s_nor_b32 s20, vcc_lo, s0
	s_delay_alu instid0(SALU_CYCLE_1)
	s_and_saveexec_b32 s1, s20
	s_cbranch_execz .LBB63_46
; %bb.43:                               ;   in Loop: Header=BB63_19 Depth=1
	v_mbcnt_lo_u32_b32 v8, exec_lo, 0
	s_mov_b32 s20, exec_lo
	s_delay_alu instid0(VALU_DEP_1)
	v_cmpx_eq_u32_e32 0, v8
	s_cbranch_execz .LBB63_45
; %bb.44:                               ;   in Loop: Header=BB63_19 Depth=1
	v_mov_b32_e32 v8, s3
	global_atomic_min_i32 v0, v8, s[10:11] scope:SCOPE_DEV
.LBB63_45:                              ;   in Loop: Header=BB63_19 Depth=1
	s_wait_xcnt 0x0
	s_or_b32 exec_lo, exec_lo, s20
	v_mov_b64_e32 v[10:11], 0
	v_mov_b64_e32 v[8:9], 1.0
.LBB63_46:                              ;   in Loop: Header=BB63_19 Depth=1
	s_or_b32 exec_lo, exec_lo, s1
	s_delay_alu instid0(VALU_DEP_1) | instskip(NEXT) | instid1(VALU_DEP_1)
	v_mul_f64_e32 v[12:13], v[10:11], v[10:11]
	v_fmac_f64_e32 v[12:13], v[8:9], v[8:9]
	s_delay_alu instid0(VALU_DEP_1) | instskip(SKIP_1) | instid1(VALU_DEP_2)
	v_div_scale_f64 v[32:33], null, v[12:13], v[12:13], 1.0
	v_div_scale_f64 v[36:37], vcc_lo, 1.0, v[12:13], 1.0
	v_rcp_f64_e32 v[34:35], v[32:33]
	v_nop
	s_delay_alu instid0(TRANS32_DEP_1) | instskip(NEXT) | instid1(VALU_DEP_1)
	v_fma_f64 v[28:29], -v[32:33], v[34:35], 1.0
	v_fmac_f64_e32 v[34:35], v[34:35], v[28:29]
	s_delay_alu instid0(VALU_DEP_1) | instskip(NEXT) | instid1(VALU_DEP_1)
	v_fma_f64 v[28:29], -v[32:33], v[34:35], 1.0
	v_fmac_f64_e32 v[34:35], v[34:35], v[28:29]
	ds_load_b128 v[28:31], v22
	s_wait_dscnt 0x0
	v_add_f64_e64 v[4:5], v[4:5], -v[30:31]
	v_add_f64_e64 v[2:3], v[2:3], -v[28:29]
	v_mul_f64_e32 v[38:39], v[36:37], v[34:35]
	s_delay_alu instid0(VALU_DEP_3) | instskip(NEXT) | instid1(VALU_DEP_3)
	v_mul_f64_e32 v[28:29], v[10:11], v[4:5]
	v_mul_f64_e64 v[10:11], v[10:11], -v[2:3]
	s_delay_alu instid0(VALU_DEP_3) | instskip(NEXT) | instid1(VALU_DEP_3)
	v_fma_f64 v[30:31], -v[32:33], v[38:39], v[36:37]
	v_fmac_f64_e32 v[28:29], v[2:3], v[8:9]
	s_delay_alu instid0(VALU_DEP_3) | instskip(NEXT) | instid1(VALU_DEP_3)
	v_fmac_f64_e32 v[10:11], v[4:5], v[8:9]
	v_div_fmas_f64 v[30:31], v[30:31], v[34:35], v[38:39]
	s_delay_alu instid0(VALU_DEP_1) | instskip(NEXT) | instid1(VALU_DEP_1)
	v_div_fixup_f64 v[12:13], v[30:31], v[12:13], 1.0
	v_mul_f64_e32 v[2:3], v[12:13], v[28:29]
	s_delay_alu instid0(VALU_DEP_4)
	v_mul_f64_e32 v[4:5], v[12:13], v[10:11]
	ds_store_b128 v1, v[2:5]
	s_wait_storecnt_dscnt 0x0
	ds_load_b128 v[8:11], v26
	ds_load_b128 v[28:31], v18
	s_wait_dscnt 0x0
	v_fmac_f64_e32 v[28:29], v[2:3], v[8:9]
	v_fmac_f64_e32 v[30:31], v[4:5], v[8:9]
	s_delay_alu instid0(VALU_DEP_2) | instskip(NEXT) | instid1(VALU_DEP_2)
	v_fmac_f64_e32 v[28:29], v[4:5], v[10:11]
	v_fma_f64 v[30:31], v[2:3], -v[10:11], v[30:31]
	ds_store_b128 v18, v[28:31]
	s_wait_dscnt 0x0
	ds_load_b128 v[8:11], v0 offset:112
	ds_load_b128 v[2:5], v1 offset:16
	s_wait_dscnt 0x1
	v_cmp_neq_f64_e32 vcc_lo, 0, v[8:9]
	v_cmp_neq_f64_e64 s1, 0, v[10:11]
	s_or_b32 vcc_lo, vcc_lo, s1
	v_cndmask_b32_e32 v9, 0x3ff00000, v9, vcc_lo
	v_dual_cndmask_b32 v8, 0, v8 :: v_dual_cndmask_b32 v11, 0, v11
	v_cndmask_b32_e32 v10, 0, v10, vcc_lo
	s_nor_b32 s20, vcc_lo, s0
	s_delay_alu instid0(SALU_CYCLE_1)
	s_and_saveexec_b32 s1, s20
	s_cbranch_execz .LBB63_50
; %bb.47:                               ;   in Loop: Header=BB63_19 Depth=1
	v_mbcnt_lo_u32_b32 v8, exec_lo, 0
	s_mov_b32 s20, exec_lo
	s_delay_alu instid0(VALU_DEP_1)
	v_cmpx_eq_u32_e32 0, v8
	s_cbranch_execz .LBB63_49
; %bb.48:                               ;   in Loop: Header=BB63_19 Depth=1
	v_mov_b32_e32 v8, s3
	global_atomic_min_i32 v0, v8, s[10:11] scope:SCOPE_DEV
.LBB63_49:                              ;   in Loop: Header=BB63_19 Depth=1
	s_wait_xcnt 0x0
	s_or_b32 exec_lo, exec_lo, s20
	v_mov_b64_e32 v[10:11], 0
	v_mov_b64_e32 v[8:9], 1.0
.LBB63_50:                              ;   in Loop: Header=BB63_19 Depth=1
	s_or_b32 exec_lo, exec_lo, s1
	s_delay_alu instid0(VALU_DEP_1) | instskip(NEXT) | instid1(VALU_DEP_1)
	v_mul_f64_e32 v[12:13], v[10:11], v[10:11]
	v_fmac_f64_e32 v[12:13], v[8:9], v[8:9]
	s_delay_alu instid0(VALU_DEP_1) | instskip(SKIP_1) | instid1(VALU_DEP_2)
	v_div_scale_f64 v[40:41], null, v[12:13], v[12:13], 1.0
	v_div_scale_f64 v[46:47], vcc_lo, 1.0, v[12:13], 1.0
	v_rcp_f64_e32 v[42:43], v[40:41]
	v_nop
	s_delay_alu instid0(TRANS32_DEP_1) | instskip(NEXT) | instid1(VALU_DEP_1)
	v_fma_f64 v[28:29], -v[40:41], v[42:43], 1.0
	v_fmac_f64_e32 v[42:43], v[42:43], v[28:29]
	ds_load_b128 v[28:31], v0 offset:96
	ds_load_b128 v[32:35], v1
	ds_load_b128 v[36:39], v22 offset:16
	s_wait_dscnt 0x0
	v_fmac_f64_e32 v[38:39], v[30:31], v[32:33]
	v_fmac_f64_e32 v[36:37], v[28:29], v[32:33]
	v_fma_f64 v[44:45], -v[40:41], v[42:43], 1.0
	s_delay_alu instid0(VALU_DEP_3) | instskip(NEXT) | instid1(VALU_DEP_3)
	v_fma_f64 v[28:29], v[28:29], -v[34:35], v[38:39]
	v_fmac_f64_e32 v[36:37], v[30:31], v[34:35]
	s_delay_alu instid0(VALU_DEP_3) | instskip(NEXT) | instid1(VALU_DEP_3)
	v_fmac_f64_e32 v[42:43], v[42:43], v[44:45]
	v_add_f64_e64 v[4:5], v[4:5], -v[28:29]
	s_delay_alu instid0(VALU_DEP_3) | instskip(NEXT) | instid1(VALU_DEP_3)
	v_add_f64_e64 v[2:3], v[2:3], -v[36:37]
	v_mul_f64_e32 v[32:33], v[46:47], v[42:43]
	s_delay_alu instid0(VALU_DEP_3) | instskip(NEXT) | instid1(VALU_DEP_3)
	v_mul_f64_e32 v[30:31], v[10:11], v[4:5]
	v_mul_f64_e64 v[10:11], v[10:11], -v[2:3]
	s_delay_alu instid0(VALU_DEP_3) | instskip(NEXT) | instid1(VALU_DEP_3)
	v_fma_f64 v[28:29], -v[40:41], v[32:33], v[46:47]
	v_fmac_f64_e32 v[30:31], v[2:3], v[8:9]
	s_delay_alu instid0(VALU_DEP_3) | instskip(NEXT) | instid1(VALU_DEP_3)
	v_fmac_f64_e32 v[10:11], v[4:5], v[8:9]
	v_div_fmas_f64 v[28:29], v[28:29], v[42:43], v[32:33]
	s_delay_alu instid0(VALU_DEP_1) | instskip(NEXT) | instid1(VALU_DEP_1)
	v_div_fixup_f64 v[12:13], v[28:29], v[12:13], 1.0
	v_mul_f64_e32 v[2:3], v[12:13], v[30:31]
	s_delay_alu instid0(VALU_DEP_4)
	v_mul_f64_e32 v[4:5], v[12:13], v[10:11]
	ds_store_b128 v1, v[2:5] offset:16
	s_wait_storecnt_dscnt 0x0
	ds_load_b128 v[8:11], v26 offset:16
	ds_load_b128 v[28:31], v18
	s_wait_dscnt 0x0
	v_fmac_f64_e32 v[28:29], v[2:3], v[8:9]
	v_fmac_f64_e32 v[30:31], v[4:5], v[8:9]
	s_delay_alu instid0(VALU_DEP_2) | instskip(NEXT) | instid1(VALU_DEP_2)
	v_fmac_f64_e32 v[28:29], v[4:5], v[10:11]
	v_fma_f64 v[30:31], v[2:3], -v[10:11], v[30:31]
	ds_store_b128 v18, v[28:31]
	s_wait_dscnt 0x0
	ds_load_b128 v[8:11], v0 offset:224
	ds_load_b128 v[2:5], v1 offset:32
	s_wait_dscnt 0x1
	v_cmp_neq_f64_e32 vcc_lo, 0, v[8:9]
	v_cmp_neq_f64_e64 s1, 0, v[10:11]
	s_or_b32 vcc_lo, vcc_lo, s1
	v_cndmask_b32_e32 v9, 0x3ff00000, v9, vcc_lo
	v_dual_cndmask_b32 v8, 0, v8 :: v_dual_cndmask_b32 v11, 0, v11
	v_cndmask_b32_e32 v10, 0, v10, vcc_lo
	s_nor_b32 s20, vcc_lo, s0
	s_delay_alu instid0(SALU_CYCLE_1)
	s_and_saveexec_b32 s1, s20
	s_cbranch_execz .LBB63_54
; %bb.51:                               ;   in Loop: Header=BB63_19 Depth=1
	v_mbcnt_lo_u32_b32 v8, exec_lo, 0
	s_mov_b32 s20, exec_lo
	s_delay_alu instid0(VALU_DEP_1)
	v_cmpx_eq_u32_e32 0, v8
	s_cbranch_execz .LBB63_53
; %bb.52:                               ;   in Loop: Header=BB63_19 Depth=1
	v_mov_b32_e32 v8, s3
	global_atomic_min_i32 v0, v8, s[10:11] scope:SCOPE_DEV
.LBB63_53:                              ;   in Loop: Header=BB63_19 Depth=1
	s_wait_xcnt 0x0
	s_or_b32 exec_lo, exec_lo, s20
	v_mov_b64_e32 v[10:11], 0
	v_mov_b64_e32 v[8:9], 1.0
.LBB63_54:                              ;   in Loop: Header=BB63_19 Depth=1
	s_or_b32 exec_lo, exec_lo, s1
	s_delay_alu instid0(VALU_DEP_1)
	v_mul_f64_e32 v[12:13], v[10:11], v[10:11]
	ds_load_b128 v[28:31], v0 offset:192
	ds_load_b128 v[32:35], v22 offset:32
	ds_load_b128 v[36:39], v1
	ds_load_b128 v[40:43], v1 offset:16
	s_wait_dscnt 0x1
	v_fmac_f64_e32 v[34:35], v[30:31], v[36:37]
	v_fmac_f64_e32 v[32:33], v[28:29], v[36:37]
	;; [unrolled: 1-line block ×3, first 2 shown]
	s_delay_alu instid0(VALU_DEP_3) | instskip(NEXT) | instid1(VALU_DEP_3)
	v_fma_f64 v[34:35], v[28:29], -v[38:39], v[34:35]
	v_fmac_f64_e32 v[32:33], v[30:31], v[38:39]
	ds_load_b128 v[28:31], v0 offset:208
	v_div_scale_f64 v[44:45], null, v[12:13], v[12:13], 1.0
	v_div_scale_f64 v[38:39], vcc_lo, 1.0, v[12:13], 1.0
	s_wait_dscnt 0x0
	v_fmac_f64_e32 v[34:35], v[30:31], v[40:41]
	v_fmac_f64_e32 v[32:33], v[28:29], v[40:41]
	s_delay_alu instid0(VALU_DEP_4) | instskip(NEXT) | instid1(VALU_DEP_2)
	v_rcp_f64_e32 v[46:47], v[44:45]
	v_fma_f64 v[28:29], v[28:29], -v[42:43], v[34:35]
	s_delay_alu instid0(VALU_DEP_2) | instskip(NEXT) | instid1(TRANS32_DEP_1)
	v_fmac_f64_e32 v[32:33], v[30:31], v[42:43]
	v_fma_f64 v[48:49], -v[44:45], v[46:47], 1.0
	s_delay_alu instid0(VALU_DEP_3) | instskip(NEXT) | instid1(VALU_DEP_3)
	v_add_f64_e64 v[4:5], v[4:5], -v[28:29]
	v_add_f64_e64 v[2:3], v[2:3], -v[32:33]
	s_delay_alu instid0(VALU_DEP_3) | instskip(NEXT) | instid1(VALU_DEP_3)
	v_fmac_f64_e32 v[46:47], v[46:47], v[48:49]
	v_mul_f64_e32 v[30:31], v[10:11], v[4:5]
	s_delay_alu instid0(VALU_DEP_3) | instskip(NEXT) | instid1(VALU_DEP_3)
	v_mul_f64_e64 v[10:11], v[10:11], -v[2:3]
	v_fma_f64 v[36:37], -v[44:45], v[46:47], 1.0
	s_delay_alu instid0(VALU_DEP_3) | instskip(NEXT) | instid1(VALU_DEP_3)
	v_fmac_f64_e32 v[30:31], v[2:3], v[8:9]
	v_fmac_f64_e32 v[10:11], v[4:5], v[8:9]
	s_delay_alu instid0(VALU_DEP_3) | instskip(NEXT) | instid1(VALU_DEP_1)
	v_fmac_f64_e32 v[46:47], v[46:47], v[36:37]
	v_mul_f64_e32 v[34:35], v[38:39], v[46:47]
	s_delay_alu instid0(VALU_DEP_1) | instskip(NEXT) | instid1(VALU_DEP_1)
	v_fma_f64 v[28:29], -v[44:45], v[34:35], v[38:39]
	v_div_fmas_f64 v[28:29], v[28:29], v[46:47], v[34:35]
	s_delay_alu instid0(VALU_DEP_1) | instskip(NEXT) | instid1(VALU_DEP_1)
	v_div_fixup_f64 v[12:13], v[28:29], v[12:13], 1.0
	v_mul_f64_e32 v[2:3], v[12:13], v[30:31]
	v_mul_f64_e32 v[4:5], v[12:13], v[10:11]
	ds_store_b128 v1, v[2:5] offset:32
	s_wait_storecnt_dscnt 0x0
	ds_load_b128 v[8:11], v26 offset:32
	ds_load_b128 v[28:31], v18
	s_wait_dscnt 0x0
	v_fmac_f64_e32 v[28:29], v[2:3], v[8:9]
	v_fmac_f64_e32 v[30:31], v[4:5], v[8:9]
	s_delay_alu instid0(VALU_DEP_2) | instskip(NEXT) | instid1(VALU_DEP_2)
	v_fmac_f64_e32 v[28:29], v[4:5], v[10:11]
	v_fma_f64 v[30:31], v[2:3], -v[10:11], v[30:31]
	ds_store_b128 v18, v[28:31]
	s_wait_dscnt 0x0
	ds_load_b128 v[8:11], v0 offset:336
	ds_load_b128 v[2:5], v1 offset:48
	s_wait_dscnt 0x1
	v_cmp_neq_f64_e32 vcc_lo, 0, v[8:9]
	v_cmp_neq_f64_e64 s1, 0, v[10:11]
	s_or_b32 vcc_lo, vcc_lo, s1
	v_cndmask_b32_e32 v9, 0x3ff00000, v9, vcc_lo
	v_dual_cndmask_b32 v8, 0, v8 :: v_dual_cndmask_b32 v11, 0, v11
	v_cndmask_b32_e32 v10, 0, v10, vcc_lo
	s_nor_b32 s20, vcc_lo, s0
	s_delay_alu instid0(SALU_CYCLE_1)
	s_and_saveexec_b32 s1, s20
	s_cbranch_execz .LBB63_58
; %bb.55:                               ;   in Loop: Header=BB63_19 Depth=1
	v_mbcnt_lo_u32_b32 v8, exec_lo, 0
	s_mov_b32 s20, exec_lo
	s_delay_alu instid0(VALU_DEP_1)
	v_cmpx_eq_u32_e32 0, v8
	s_cbranch_execz .LBB63_57
; %bb.56:                               ;   in Loop: Header=BB63_19 Depth=1
	v_mov_b32_e32 v8, s3
	global_atomic_min_i32 v0, v8, s[10:11] scope:SCOPE_DEV
.LBB63_57:                              ;   in Loop: Header=BB63_19 Depth=1
	s_wait_xcnt 0x0
	s_or_b32 exec_lo, exec_lo, s20
	v_mov_b64_e32 v[10:11], 0
	v_mov_b64_e32 v[8:9], 1.0
.LBB63_58:                              ;   in Loop: Header=BB63_19 Depth=1
	s_or_b32 exec_lo, exec_lo, s1
	s_delay_alu instid0(VALU_DEP_1)
	v_mul_f64_e32 v[12:13], v[10:11], v[10:11]
	ds_load_b128 v[28:31], v0 offset:288
	ds_load_b128 v[32:35], v1
	ds_load_b128 v[36:39], v22 offset:48
	ds_load_b128 v[40:43], v0 offset:304
	;; [unrolled: 1-line block ×3, first 2 shown]
	s_wait_dscnt 0x2
	v_fmac_f64_e32 v[38:39], v[30:31], v[32:33]
	v_fmac_f64_e32 v[36:37], v[28:29], v[32:33]
	;; [unrolled: 1-line block ×3, first 2 shown]
	s_delay_alu instid0(VALU_DEP_3) | instskip(NEXT) | instid1(VALU_DEP_3)
	v_fma_f64 v[28:29], v[28:29], -v[34:35], v[38:39]
	v_fmac_f64_e32 v[36:37], v[30:31], v[34:35]
	s_delay_alu instid0(VALU_DEP_3) | instskip(SKIP_1) | instid1(VALU_DEP_3)
	v_div_scale_f64 v[48:49], null, v[12:13], v[12:13], 1.0
	s_wait_dscnt 0x0
	v_fmac_f64_e32 v[28:29], v[42:43], v[44:45]
	s_delay_alu instid0(VALU_DEP_3) | instskip(NEXT) | instid1(VALU_DEP_3)
	v_fmac_f64_e32 v[36:37], v[40:41], v[44:45]
	v_rcp_f64_e32 v[50:51], v[48:49]
	s_delay_alu instid0(VALU_DEP_2) | instskip(NEXT) | instid1(VALU_DEP_2)
	v_fma_f64 v[38:39], v[40:41], -v[46:47], v[28:29]
	v_fmac_f64_e32 v[36:37], v[42:43], v[46:47]
	v_div_scale_f64 v[42:43], vcc_lo, 1.0, v[12:13], 1.0
	s_delay_alu instid0(TRANS32_DEP_1) | instskip(NEXT) | instid1(VALU_DEP_1)
	v_fma_f64 v[32:33], -v[48:49], v[50:51], 1.0
	v_fmac_f64_e32 v[50:51], v[50:51], v[32:33]
	ds_load_b128 v[28:31], v1 offset:32
	ds_load_b128 v[32:35], v0 offset:320
	s_wait_dscnt 0x0
	v_fmac_f64_e32 v[38:39], v[34:35], v[28:29]
	v_fmac_f64_e32 v[36:37], v[32:33], v[28:29]
	v_fma_f64 v[40:41], -v[48:49], v[50:51], 1.0
	s_delay_alu instid0(VALU_DEP_3) | instskip(NEXT) | instid1(VALU_DEP_3)
	v_fma_f64 v[28:29], v[32:33], -v[30:31], v[38:39]
	v_fmac_f64_e32 v[36:37], v[34:35], v[30:31]
	s_delay_alu instid0(VALU_DEP_3) | instskip(NEXT) | instid1(VALU_DEP_3)
	v_fmac_f64_e32 v[50:51], v[50:51], v[40:41]
	v_add_f64_e64 v[4:5], v[4:5], -v[28:29]
	s_delay_alu instid0(VALU_DEP_3) | instskip(NEXT) | instid1(VALU_DEP_3)
	v_add_f64_e64 v[2:3], v[2:3], -v[36:37]
	v_mul_f64_e32 v[32:33], v[42:43], v[50:51]
	s_delay_alu instid0(VALU_DEP_3) | instskip(NEXT) | instid1(VALU_DEP_3)
	v_mul_f64_e32 v[30:31], v[10:11], v[4:5]
	v_mul_f64_e64 v[10:11], v[10:11], -v[2:3]
	s_delay_alu instid0(VALU_DEP_3) | instskip(NEXT) | instid1(VALU_DEP_3)
	v_fma_f64 v[28:29], -v[48:49], v[32:33], v[42:43]
	v_fmac_f64_e32 v[30:31], v[2:3], v[8:9]
	s_delay_alu instid0(VALU_DEP_3) | instskip(NEXT) | instid1(VALU_DEP_3)
	v_fmac_f64_e32 v[10:11], v[4:5], v[8:9]
	v_div_fmas_f64 v[28:29], v[28:29], v[50:51], v[32:33]
	s_delay_alu instid0(VALU_DEP_1) | instskip(NEXT) | instid1(VALU_DEP_1)
	v_div_fixup_f64 v[12:13], v[28:29], v[12:13], 1.0
	v_mul_f64_e32 v[2:3], v[12:13], v[30:31]
	s_delay_alu instid0(VALU_DEP_4)
	v_mul_f64_e32 v[4:5], v[12:13], v[10:11]
	ds_store_b128 v1, v[2:5] offset:48
	s_wait_storecnt_dscnt 0x0
	ds_load_b128 v[8:11], v26 offset:48
	ds_load_b128 v[28:31], v18
	s_wait_dscnt 0x0
	v_fmac_f64_e32 v[28:29], v[2:3], v[8:9]
	v_fmac_f64_e32 v[30:31], v[4:5], v[8:9]
	s_delay_alu instid0(VALU_DEP_2) | instskip(NEXT) | instid1(VALU_DEP_2)
	v_fmac_f64_e32 v[28:29], v[4:5], v[10:11]
	v_fma_f64 v[30:31], v[2:3], -v[10:11], v[30:31]
	ds_store_b128 v18, v[28:31]
	s_wait_dscnt 0x0
	ds_load_b128 v[8:11], v0 offset:448
	ds_load_b128 v[2:5], v1 offset:64
	s_wait_dscnt 0x1
	v_cmp_neq_f64_e32 vcc_lo, 0, v[8:9]
	v_cmp_neq_f64_e64 s1, 0, v[10:11]
	s_or_b32 vcc_lo, vcc_lo, s1
	v_cndmask_b32_e32 v9, 0x3ff00000, v9, vcc_lo
	v_dual_cndmask_b32 v8, 0, v8 :: v_dual_cndmask_b32 v11, 0, v11
	v_cndmask_b32_e32 v10, 0, v10, vcc_lo
	s_nor_b32 s20, vcc_lo, s0
	s_delay_alu instid0(SALU_CYCLE_1)
	s_and_saveexec_b32 s1, s20
	s_cbranch_execz .LBB63_17
; %bb.59:                               ;   in Loop: Header=BB63_19 Depth=1
	v_mbcnt_lo_u32_b32 v8, exec_lo, 0
	s_mov_b32 s20, exec_lo
	s_delay_alu instid0(VALU_DEP_1)
	v_cmpx_eq_u32_e32 0, v8
	s_cbranch_execz .LBB63_16
; %bb.60:                               ;   in Loop: Header=BB63_19 Depth=1
	v_mov_b32_e32 v8, s3
	global_atomic_min_i32 v0, v8, s[10:11] scope:SCOPE_DEV
	s_branch .LBB63_16
.LBB63_61:
	v_mov_b32_e32 v0, v16
	s_wait_kmcnt 0x0
	s_cmp_lg_u32 s28, 0
	s_cselect_b32 s3, -1, 0
	s_cmp_eq_u32 s28, 0
	s_cbranch_scc1 .LBB63_63
; %bb.62:
	v_mad_u32_u24 v0, v14, 5, v15
.LBB63_63:
	s_mul_i32 s26, s26, 25
	s_movk_i32 s0, 0x60
	s_delay_alu instid0(VALU_DEP_1)
	v_add_nc_u32_e32 v0, s26, v0
	s_wait_xcnt 0x0
	v_mad_u32_u24 v7, v15, s0, 0x3c0
	v_cmp_ne_u32_e64 s1, 0, v15
	s_mov_b32 s0, exec_lo
	global_load_b128 v[0:3], v0, s[18:19] scale_offset
	v_lshl_add_u32 v6, v14, 4, v7
	s_wait_loadcnt 0x0
	ds_store_2addr_b64 v6, v[0:1], v[2:3] offset1:1
	s_wait_dscnt 0x0
	s_wait_xcnt 0x0
	v_cmpx_eq_u32_e32 0, v15
	s_cbranch_execz .LBB63_72
; %bb.64:
	v_mov_b32_e32 v4, 0
	ds_load_b128 v[0:3], v4 offset:1440
	ds_load_b128 v[8:11], v4 offset:960
	s_wait_dscnt 0x0
	v_add_f64_e64 v[0:1], v[8:9], -v[0:1]
	v_add_f64_e64 v[4:5], v[10:11], -v[2:3]
	s_delay_alu instid0(VALU_DEP_2) | instskip(SKIP_1) | instid1(VALU_DEP_3)
	v_cmp_gt_f64_e32 vcc_lo, 0, v[0:1]
	v_xor_b32_e32 v2, 0x80000000, v1
	v_xor_b32_e32 v3, 0x80000000, v5
	s_delay_alu instid0(VALU_DEP_2) | instskip(SKIP_1) | instid1(VALU_DEP_3)
	v_dual_cndmask_b32 v1, v1, v2 :: v_dual_mov_b32 v2, v4
	v_cmp_gt_f64_e32 vcc_lo, 0, v[4:5]
	v_cndmask_b32_e32 v3, v5, v3, vcc_lo
	s_delay_alu instid0(VALU_DEP_1)
	v_cmp_ngt_f64_e32 vcc_lo, v[0:1], v[2:3]
	s_cbranch_vccz .LBB63_69
; %bb.65:
	v_cmp_eq_f64_e32 vcc_lo, 0, v[4:5]
	s_cbranch_vccnz .LBB63_139
; %bb.66:
	v_div_scale_f64 v[4:5], null, v[2:3], v[2:3], v[0:1]
	v_div_scale_f64 v[12:13], vcc_lo, v[0:1], v[2:3], v[0:1]
	s_delay_alu instid0(VALU_DEP_2) | instskip(SKIP_1) | instid1(TRANS32_DEP_1)
	v_rcp_f64_e32 v[8:9], v[4:5]
	v_nop
	v_fma_f64 v[10:11], -v[4:5], v[8:9], 1.0
	s_delay_alu instid0(VALU_DEP_1) | instskip(NEXT) | instid1(VALU_DEP_1)
	v_fmac_f64_e32 v[8:9], v[8:9], v[10:11]
	v_fma_f64 v[10:11], -v[4:5], v[8:9], 1.0
	s_delay_alu instid0(VALU_DEP_1) | instskip(NEXT) | instid1(VALU_DEP_1)
	v_fmac_f64_e32 v[8:9], v[8:9], v[10:11]
	v_mul_f64_e32 v[10:11], v[12:13], v[8:9]
	s_delay_alu instid0(VALU_DEP_1) | instskip(NEXT) | instid1(VALU_DEP_1)
	v_fma_f64 v[4:5], -v[4:5], v[10:11], v[12:13]
	v_div_fmas_f64 v[4:5], v[4:5], v[8:9], v[10:11]
	s_delay_alu instid0(VALU_DEP_1) | instskip(NEXT) | instid1(VALU_DEP_1)
	v_div_fixup_f64 v[4:5], v[4:5], v[2:3], v[0:1]
	v_fma_f64 v[4:5], v[4:5], v[4:5], 1.0
	s_delay_alu instid0(VALU_DEP_1) | instskip(SKIP_2) | instid1(SALU_CYCLE_1)
	v_cmp_gt_f64_e32 vcc_lo, 0x10000000, v[4:5]
	s_and_b32 s2, vcc_lo, exec_lo
	s_cselect_b32 s2, 0x100, 0
	v_ldexp_f64 v[4:5], v[4:5], s2
	s_cselect_b32 s2, 0xffffff80, 0
	s_delay_alu instid0(VALU_DEP_1) | instskip(SKIP_1) | instid1(TRANS32_DEP_1)
	v_rsq_f64_e32 v[8:9], v[4:5]
	v_cmp_class_f64_e64 vcc_lo, v[4:5], 0x260
	v_mul_f64_e32 v[10:11], v[4:5], v[8:9]
	v_mul_f64_e32 v[8:9], 0.5, v[8:9]
	s_delay_alu instid0(VALU_DEP_1) | instskip(NEXT) | instid1(VALU_DEP_1)
	v_fma_f64 v[12:13], -v[8:9], v[10:11], 0.5
	v_fmac_f64_e32 v[10:11], v[10:11], v[12:13]
	v_fmac_f64_e32 v[8:9], v[8:9], v[12:13]
	s_delay_alu instid0(VALU_DEP_2) | instskip(NEXT) | instid1(VALU_DEP_1)
	v_fma_f64 v[12:13], -v[10:11], v[10:11], v[4:5]
	v_fmac_f64_e32 v[10:11], v[12:13], v[8:9]
	s_delay_alu instid0(VALU_DEP_1) | instskip(NEXT) | instid1(VALU_DEP_1)
	v_fma_f64 v[12:13], -v[10:11], v[10:11], v[4:5]
	v_fmac_f64_e32 v[10:11], v[12:13], v[8:9]
	s_delay_alu instid0(VALU_DEP_1) | instskip(NEXT) | instid1(VALU_DEP_1)
	v_ldexp_f64 v[8:9], v[10:11], s2
	v_dual_cndmask_b32 v5, v9, v5 :: v_dual_cndmask_b32 v4, v8, v4
	s_delay_alu instid0(VALU_DEP_1)
	v_mul_f64_e32 v[4:5], v[2:3], v[4:5]
	s_cbranch_execz .LBB63_70
	s_branch .LBB63_71
.LBB63_67:
	s_cbranch_execnz .LBB63_135
.LBB63_68:
	s_sendmsg sendmsg(MSG_DEALLOC_VGPRS)
	s_endpgm
.LBB63_69:
                                        ; implicit-def: $vgpr4_vgpr5
.LBB63_70:
	v_div_scale_f64 v[4:5], null, v[0:1], v[0:1], v[2:3]
	v_div_scale_f64 v[12:13], vcc_lo, v[2:3], v[0:1], v[2:3]
	s_delay_alu instid0(VALU_DEP_2) | instskip(SKIP_1) | instid1(TRANS32_DEP_1)
	v_rcp_f64_e32 v[8:9], v[4:5]
	v_nop
	v_fma_f64 v[10:11], -v[4:5], v[8:9], 1.0
	s_delay_alu instid0(VALU_DEP_1) | instskip(NEXT) | instid1(VALU_DEP_1)
	v_fmac_f64_e32 v[8:9], v[8:9], v[10:11]
	v_fma_f64 v[10:11], -v[4:5], v[8:9], 1.0
	s_delay_alu instid0(VALU_DEP_1) | instskip(NEXT) | instid1(VALU_DEP_1)
	v_fmac_f64_e32 v[8:9], v[8:9], v[10:11]
	v_mul_f64_e32 v[10:11], v[12:13], v[8:9]
	s_delay_alu instid0(VALU_DEP_1) | instskip(NEXT) | instid1(VALU_DEP_1)
	v_fma_f64 v[4:5], -v[4:5], v[10:11], v[12:13]
	v_div_fmas_f64 v[4:5], v[4:5], v[8:9], v[10:11]
	s_delay_alu instid0(VALU_DEP_1) | instskip(NEXT) | instid1(VALU_DEP_1)
	v_div_fixup_f64 v[2:3], v[4:5], v[0:1], v[2:3]
	v_fma_f64 v[2:3], v[2:3], v[2:3], 1.0
	s_delay_alu instid0(VALU_DEP_1) | instskip(SKIP_2) | instid1(SALU_CYCLE_1)
	v_cmp_gt_f64_e32 vcc_lo, 0x10000000, v[2:3]
	s_and_b32 s2, vcc_lo, exec_lo
	s_cselect_b32 s2, 0x100, 0
	v_ldexp_f64 v[2:3], v[2:3], s2
	s_cselect_b32 s2, 0xffffff80, 0
	s_delay_alu instid0(VALU_DEP_1) | instskip(SKIP_1) | instid1(TRANS32_DEP_1)
	v_rsq_f64_e32 v[4:5], v[2:3]
	v_cmp_class_f64_e64 vcc_lo, v[2:3], 0x260
	v_mul_f64_e32 v[8:9], v[2:3], v[4:5]
	v_mul_f64_e32 v[4:5], 0.5, v[4:5]
	s_delay_alu instid0(VALU_DEP_1) | instskip(NEXT) | instid1(VALU_DEP_1)
	v_fma_f64 v[10:11], -v[4:5], v[8:9], 0.5
	v_fmac_f64_e32 v[8:9], v[8:9], v[10:11]
	v_fmac_f64_e32 v[4:5], v[4:5], v[10:11]
	s_delay_alu instid0(VALU_DEP_2) | instskip(NEXT) | instid1(VALU_DEP_1)
	v_fma_f64 v[10:11], -v[8:9], v[8:9], v[2:3]
	v_fmac_f64_e32 v[8:9], v[10:11], v[4:5]
	s_delay_alu instid0(VALU_DEP_1) | instskip(NEXT) | instid1(VALU_DEP_1)
	v_fma_f64 v[10:11], -v[8:9], v[8:9], v[2:3]
	v_fmac_f64_e32 v[8:9], v[10:11], v[4:5]
	s_delay_alu instid0(VALU_DEP_1) | instskip(NEXT) | instid1(VALU_DEP_1)
	v_ldexp_f64 v[4:5], v[8:9], s2
	v_dual_cndmask_b32 v3, v5, v3 :: v_dual_cndmask_b32 v2, v4, v2
	s_delay_alu instid0(VALU_DEP_1)
	v_mul_f64_e32 v[4:5], v[0:1], v[2:3]
.LBB63_71:
	s_delay_alu instid0(VALU_DEP_1) | instskip(SKIP_2) | instid1(SALU_CYCLE_1)
	v_cmp_gt_f64_e32 vcc_lo, 0x10000000, v[4:5]
	s_and_b32 s2, vcc_lo, exec_lo
	s_cselect_b32 s2, 0x100, 0
	v_ldexp_f64 v[0:1], v[4:5], s2
	s_cselect_b32 s2, 0xffffff80, 0
	s_delay_alu instid0(VALU_DEP_1) | instskip(SKIP_1) | instid1(TRANS32_DEP_1)
	v_rsq_f64_e32 v[2:3], v[0:1]
	v_cmp_class_f64_e64 vcc_lo, v[0:1], 0x260
	v_mul_f64_e32 v[4:5], v[0:1], v[2:3]
	v_mul_f64_e32 v[2:3], 0.5, v[2:3]
	s_delay_alu instid0(VALU_DEP_1) | instskip(NEXT) | instid1(VALU_DEP_1)
	v_fma_f64 v[8:9], -v[2:3], v[4:5], 0.5
	v_fmac_f64_e32 v[4:5], v[4:5], v[8:9]
	v_fmac_f64_e32 v[2:3], v[2:3], v[8:9]
	s_delay_alu instid0(VALU_DEP_2) | instskip(NEXT) | instid1(VALU_DEP_1)
	v_fma_f64 v[8:9], -v[4:5], v[4:5], v[0:1]
	v_fmac_f64_e32 v[4:5], v[8:9], v[2:3]
	s_delay_alu instid0(VALU_DEP_1) | instskip(NEXT) | instid1(VALU_DEP_1)
	v_fma_f64 v[8:9], -v[4:5], v[4:5], v[0:1]
	v_fmac_f64_e32 v[4:5], v[8:9], v[2:3]
	v_mov_b32_e32 v2, 0
	s_delay_alu instid0(VALU_DEP_1) | instskip(NEXT) | instid1(VALU_DEP_3)
	v_mov_b32_e32 v3, v2
	v_ldexp_f64 v[4:5], v[4:5], s2
	s_delay_alu instid0(VALU_DEP_1)
	v_dual_cndmask_b32 v1, v5, v1 :: v_dual_cndmask_b32 v0, v4, v0
	ds_store_b128 v2, v[0:3] offset:960
.LBB63_72:
	s_or_b32 exec_lo, exec_lo, s0
	v_dual_mov_b32 v0, 0 :: v_dual_bitop2_b32 v8, v14, v15 bitop3:0x54
	s_wait_dscnt 0x0
	ds_load_b128 v[0:3], v0 offset:960
	v_cmp_ne_u32_e64 s0, 0, v8
	s_wait_dscnt 0x0
	v_cmp_neq_f64_e32 vcc_lo, 0, v[0:1]
	v_cmp_neq_f64_e64 s2, 0, v[2:3]
	s_or_b32 vcc_lo, vcc_lo, s2
	s_add_co_i32 s2, s16, s17
	v_cndmask_b32_e32 v1, 0x3ff00000, v1, vcc_lo
	v_dual_cndmask_b32 v0, 0, v0 :: v_dual_cndmask_b32 v3, 0, v3
	v_cndmask_b32_e32 v2, 0, v2, vcc_lo
	s_nor_b32 s5, vcc_lo, s0
	s_delay_alu instid0(SALU_CYCLE_1)
	s_and_saveexec_b32 s4, s5
	s_cbranch_execz .LBB63_76
; %bb.73:
	v_mbcnt_lo_u32_b32 v0, exec_lo, 0
	s_mov_b32 s5, exec_lo
	s_delay_alu instid0(VALU_DEP_1)
	v_cmpx_eq_u32_e32 0, v0
	s_cbranch_execz .LBB63_75
; %bb.74:
	v_dual_mov_b32 v0, 0 :: v_dual_mov_b32 v1, s2
	global_atomic_min_i32 v0, v1, s[10:11] scope:SCOPE_DEV
.LBB63_75:
	s_wait_xcnt 0x0
	s_or_b32 exec_lo, exec_lo, s5
	v_mov_b64_e32 v[2:3], 0
	v_mov_b64_e32 v[0:1], 1.0
.LBB63_76:
	s_or_b32 exec_lo, exec_lo, s4
	s_movk_i32 s4, 0x60
	s_delay_alu instid0(SALU_CYCLE_1)
	v_mad_u32_u24 v9, v14, s4, 0x3c0
	s_and_saveexec_b32 s4, s1
	s_cbranch_execz .LBB63_78
; %bb.77:
	v_mul_f64_e32 v[4:5], v[2:3], v[2:3]
	s_delay_alu instid0(VALU_DEP_1) | instskip(NEXT) | instid1(VALU_DEP_1)
	v_fmac_f64_e32 v[4:5], v[0:1], v[0:1]
	v_div_scale_f64 v[24:25], null, v[4:5], v[4:5], 1.0
	v_div_scale_f64 v[28:29], vcc_lo, 1.0, v[4:5], 1.0
	s_delay_alu instid0(VALU_DEP_2) | instskip(SKIP_1) | instid1(TRANS32_DEP_1)
	v_rcp_f64_e32 v[26:27], v[24:25]
	v_nop
	v_fma_f64 v[10:11], -v[24:25], v[26:27], 1.0
	s_delay_alu instid0(VALU_DEP_1) | instskip(NEXT) | instid1(VALU_DEP_1)
	v_fmac_f64_e32 v[26:27], v[26:27], v[10:11]
	v_fma_f64 v[10:11], -v[24:25], v[26:27], 1.0
	s_delay_alu instid0(VALU_DEP_1)
	v_fmac_f64_e32 v[26:27], v[26:27], v[10:11]
	ds_load_b128 v[10:13], v7
	ds_load_b128 v[20:23], v19
	s_wait_dscnt 0x0
	v_add_f64_e64 v[12:13], v[12:13], -v[22:23]
	v_add_f64_e64 v[10:11], v[10:11], -v[20:21]
	v_mul_f64_e32 v[30:31], v[28:29], v[26:27]
	s_delay_alu instid0(VALU_DEP_3) | instskip(NEXT) | instid1(VALU_DEP_3)
	v_mul_f64_e32 v[20:21], v[2:3], v[12:13]
	v_mul_f64_e64 v[2:3], v[2:3], -v[10:11]
	s_delay_alu instid0(VALU_DEP_3) | instskip(NEXT) | instid1(VALU_DEP_3)
	v_fma_f64 v[22:23], -v[24:25], v[30:31], v[28:29]
	v_fmac_f64_e32 v[20:21], v[10:11], v[0:1]
	s_delay_alu instid0(VALU_DEP_3) | instskip(NEXT) | instid1(VALU_DEP_3)
	v_fmac_f64_e32 v[2:3], v[12:13], v[0:1]
	v_div_fmas_f64 v[22:23], v[22:23], v[26:27], v[30:31]
	s_delay_alu instid0(VALU_DEP_1) | instskip(NEXT) | instid1(VALU_DEP_1)
	v_div_fixup_f64 v[4:5], v[22:23], v[4:5], 1.0
	v_mul_f64_e32 v[0:1], v[4:5], v[20:21]
	s_delay_alu instid0(VALU_DEP_4)
	v_mul_f64_e32 v[2:3], v[4:5], v[2:3]
	ds_store_b128 v7, v[0:3]
	s_wait_storecnt_dscnt 0x0
	ds_load_b128 v[10:13], v9
	ds_load_b128 v[20:23], v18
	s_wait_dscnt 0x0
	v_fmac_f64_e32 v[20:21], v[0:1], v[10:11]
	v_fmac_f64_e32 v[22:23], v[2:3], v[10:11]
	s_delay_alu instid0(VALU_DEP_2) | instskip(NEXT) | instid1(VALU_DEP_2)
	v_fmac_f64_e32 v[20:21], v[2:3], v[12:13]
	v_fma_f64 v[22:23], v[0:1], -v[12:13], v[22:23]
	ds_store_b128 v18, v[20:23]
.LBB63_78:
	s_or_b32 exec_lo, exec_lo, s4
	s_delay_alu instid0(SALU_CYCLE_1)
	s_mov_b32 s1, exec_lo
	s_wait_storecnt_dscnt 0x0
	v_cmpx_eq_u32_e32 1, v15
	s_cbranch_execz .LBB63_85
; %bb.79:
	v_mov_b32_e32 v4, 0
	ds_load_b128 v[0:3], v4 offset:1552
	ds_load_b128 v[10:13], v4 offset:1072
	s_wait_dscnt 0x0
	v_add_f64_e64 v[0:1], v[10:11], -v[0:1]
	v_add_f64_e64 v[4:5], v[12:13], -v[2:3]
	s_delay_alu instid0(VALU_DEP_2) | instskip(SKIP_1) | instid1(VALU_DEP_3)
	v_cmp_gt_f64_e32 vcc_lo, 0, v[0:1]
	v_xor_b32_e32 v2, 0x80000000, v1
	v_xor_b32_e32 v3, 0x80000000, v5
	s_delay_alu instid0(VALU_DEP_2) | instskip(SKIP_1) | instid1(VALU_DEP_3)
	v_dual_cndmask_b32 v1, v1, v2 :: v_dual_mov_b32 v2, v4
	v_cmp_gt_f64_e32 vcc_lo, 0, v[4:5]
	v_cndmask_b32_e32 v3, v5, v3, vcc_lo
	s_delay_alu instid0(VALU_DEP_1)
	v_cmp_gt_f64_e32 vcc_lo, v[0:1], v[2:3]
	s_cbranch_vccnz .LBB63_82
; %bb.80:
	v_cmp_eq_f64_e32 vcc_lo, 0, v[4:5]
	s_cbranch_vccnz .LBB63_140
; %bb.81:
	v_div_scale_f64 v[4:5], null, v[2:3], v[2:3], v[0:1]
	v_div_scale_f64 v[20:21], vcc_lo, v[0:1], v[2:3], v[0:1]
	s_delay_alu instid0(VALU_DEP_2) | instskip(SKIP_1) | instid1(TRANS32_DEP_1)
	v_rcp_f64_e32 v[10:11], v[4:5]
	v_nop
	v_fma_f64 v[12:13], -v[4:5], v[10:11], 1.0
	s_delay_alu instid0(VALU_DEP_1) | instskip(NEXT) | instid1(VALU_DEP_1)
	v_fmac_f64_e32 v[10:11], v[10:11], v[12:13]
	v_fma_f64 v[12:13], -v[4:5], v[10:11], 1.0
	s_delay_alu instid0(VALU_DEP_1) | instskip(NEXT) | instid1(VALU_DEP_1)
	v_fmac_f64_e32 v[10:11], v[10:11], v[12:13]
	v_mul_f64_e32 v[12:13], v[20:21], v[10:11]
	s_delay_alu instid0(VALU_DEP_1) | instskip(NEXT) | instid1(VALU_DEP_1)
	v_fma_f64 v[4:5], -v[4:5], v[12:13], v[20:21]
	v_div_fmas_f64 v[4:5], v[4:5], v[10:11], v[12:13]
	s_delay_alu instid0(VALU_DEP_1) | instskip(NEXT) | instid1(VALU_DEP_1)
	v_div_fixup_f64 v[4:5], v[4:5], v[2:3], v[0:1]
	v_fma_f64 v[4:5], v[4:5], v[4:5], 1.0
	s_delay_alu instid0(VALU_DEP_1) | instskip(SKIP_2) | instid1(SALU_CYCLE_1)
	v_cmp_gt_f64_e32 vcc_lo, 0x10000000, v[4:5]
	s_and_b32 s4, vcc_lo, exec_lo
	s_cselect_b32 s4, 0x100, 0
	v_ldexp_f64 v[4:5], v[4:5], s4
	s_cselect_b32 s4, 0xffffff80, 0
	s_delay_alu instid0(VALU_DEP_1) | instskip(SKIP_1) | instid1(TRANS32_DEP_1)
	v_rsq_f64_e32 v[10:11], v[4:5]
	v_cmp_class_f64_e64 vcc_lo, v[4:5], 0x260
	v_mul_f64_e32 v[12:13], v[4:5], v[10:11]
	v_mul_f64_e32 v[10:11], 0.5, v[10:11]
	s_delay_alu instid0(VALU_DEP_1) | instskip(NEXT) | instid1(VALU_DEP_1)
	v_fma_f64 v[20:21], -v[10:11], v[12:13], 0.5
	v_fmac_f64_e32 v[12:13], v[12:13], v[20:21]
	v_fmac_f64_e32 v[10:11], v[10:11], v[20:21]
	s_delay_alu instid0(VALU_DEP_2) | instskip(NEXT) | instid1(VALU_DEP_1)
	v_fma_f64 v[20:21], -v[12:13], v[12:13], v[4:5]
	v_fmac_f64_e32 v[12:13], v[20:21], v[10:11]
	s_delay_alu instid0(VALU_DEP_1) | instskip(NEXT) | instid1(VALU_DEP_1)
	v_fma_f64 v[20:21], -v[12:13], v[12:13], v[4:5]
	v_fmac_f64_e32 v[12:13], v[20:21], v[10:11]
	s_delay_alu instid0(VALU_DEP_1) | instskip(NEXT) | instid1(VALU_DEP_1)
	v_ldexp_f64 v[10:11], v[12:13], s4
	v_dual_cndmask_b32 v5, v11, v5 :: v_dual_cndmask_b32 v4, v10, v4
	s_delay_alu instid0(VALU_DEP_1)
	v_mul_f64_e32 v[4:5], v[2:3], v[4:5]
	s_cbranch_execz .LBB63_83
	s_branch .LBB63_84
.LBB63_82:
                                        ; implicit-def: $vgpr4_vgpr5
.LBB63_83:
	v_div_scale_f64 v[4:5], null, v[0:1], v[0:1], v[2:3]
	v_div_scale_f64 v[20:21], vcc_lo, v[2:3], v[0:1], v[2:3]
	s_delay_alu instid0(VALU_DEP_2) | instskip(SKIP_1) | instid1(TRANS32_DEP_1)
	v_rcp_f64_e32 v[10:11], v[4:5]
	v_nop
	v_fma_f64 v[12:13], -v[4:5], v[10:11], 1.0
	s_delay_alu instid0(VALU_DEP_1) | instskip(NEXT) | instid1(VALU_DEP_1)
	v_fmac_f64_e32 v[10:11], v[10:11], v[12:13]
	v_fma_f64 v[12:13], -v[4:5], v[10:11], 1.0
	s_delay_alu instid0(VALU_DEP_1) | instskip(NEXT) | instid1(VALU_DEP_1)
	v_fmac_f64_e32 v[10:11], v[10:11], v[12:13]
	v_mul_f64_e32 v[12:13], v[20:21], v[10:11]
	s_delay_alu instid0(VALU_DEP_1) | instskip(NEXT) | instid1(VALU_DEP_1)
	v_fma_f64 v[4:5], -v[4:5], v[12:13], v[20:21]
	v_div_fmas_f64 v[4:5], v[4:5], v[10:11], v[12:13]
	s_delay_alu instid0(VALU_DEP_1) | instskip(NEXT) | instid1(VALU_DEP_1)
	v_div_fixup_f64 v[2:3], v[4:5], v[0:1], v[2:3]
	v_fma_f64 v[2:3], v[2:3], v[2:3], 1.0
	s_delay_alu instid0(VALU_DEP_1) | instskip(SKIP_2) | instid1(SALU_CYCLE_1)
	v_cmp_gt_f64_e32 vcc_lo, 0x10000000, v[2:3]
	s_and_b32 s4, vcc_lo, exec_lo
	s_cselect_b32 s4, 0x100, 0
	v_ldexp_f64 v[2:3], v[2:3], s4
	s_cselect_b32 s4, 0xffffff80, 0
	s_delay_alu instid0(VALU_DEP_1) | instskip(SKIP_1) | instid1(TRANS32_DEP_1)
	v_rsq_f64_e32 v[4:5], v[2:3]
	v_cmp_class_f64_e64 vcc_lo, v[2:3], 0x260
	v_mul_f64_e32 v[10:11], v[2:3], v[4:5]
	v_mul_f64_e32 v[4:5], 0.5, v[4:5]
	s_delay_alu instid0(VALU_DEP_1) | instskip(NEXT) | instid1(VALU_DEP_1)
	v_fma_f64 v[12:13], -v[4:5], v[10:11], 0.5
	v_fmac_f64_e32 v[10:11], v[10:11], v[12:13]
	v_fmac_f64_e32 v[4:5], v[4:5], v[12:13]
	s_delay_alu instid0(VALU_DEP_2) | instskip(NEXT) | instid1(VALU_DEP_1)
	v_fma_f64 v[12:13], -v[10:11], v[10:11], v[2:3]
	v_fmac_f64_e32 v[10:11], v[12:13], v[4:5]
	s_delay_alu instid0(VALU_DEP_1) | instskip(NEXT) | instid1(VALU_DEP_1)
	v_fma_f64 v[12:13], -v[10:11], v[10:11], v[2:3]
	v_fmac_f64_e32 v[10:11], v[12:13], v[4:5]
	s_delay_alu instid0(VALU_DEP_1) | instskip(NEXT) | instid1(VALU_DEP_1)
	v_ldexp_f64 v[4:5], v[10:11], s4
	v_dual_cndmask_b32 v3, v5, v3 :: v_dual_cndmask_b32 v2, v4, v2
	s_delay_alu instid0(VALU_DEP_1)
	v_mul_f64_e32 v[4:5], v[0:1], v[2:3]
.LBB63_84:
	s_delay_alu instid0(VALU_DEP_1) | instskip(SKIP_2) | instid1(SALU_CYCLE_1)
	v_cmp_gt_f64_e32 vcc_lo, 0x10000000, v[4:5]
	s_and_b32 s4, vcc_lo, exec_lo
	s_cselect_b32 s4, 0x100, 0
	v_ldexp_f64 v[0:1], v[4:5], s4
	s_cselect_b32 s4, 0xffffff80, 0
	s_delay_alu instid0(VALU_DEP_1) | instskip(SKIP_1) | instid1(TRANS32_DEP_1)
	v_rsq_f64_e32 v[2:3], v[0:1]
	v_cmp_class_f64_e64 vcc_lo, v[0:1], 0x260
	v_mul_f64_e32 v[4:5], v[0:1], v[2:3]
	v_mul_f64_e32 v[2:3], 0.5, v[2:3]
	s_delay_alu instid0(VALU_DEP_1) | instskip(NEXT) | instid1(VALU_DEP_1)
	v_fma_f64 v[10:11], -v[2:3], v[4:5], 0.5
	v_fmac_f64_e32 v[4:5], v[4:5], v[10:11]
	v_fmac_f64_e32 v[2:3], v[2:3], v[10:11]
	s_delay_alu instid0(VALU_DEP_2) | instskip(NEXT) | instid1(VALU_DEP_1)
	v_fma_f64 v[10:11], -v[4:5], v[4:5], v[0:1]
	v_fmac_f64_e32 v[4:5], v[10:11], v[2:3]
	s_delay_alu instid0(VALU_DEP_1) | instskip(NEXT) | instid1(VALU_DEP_1)
	v_fma_f64 v[10:11], -v[4:5], v[4:5], v[0:1]
	v_fmac_f64_e32 v[4:5], v[10:11], v[2:3]
	v_mov_b32_e32 v2, 0
	s_delay_alu instid0(VALU_DEP_1) | instskip(NEXT) | instid1(VALU_DEP_3)
	v_mov_b32_e32 v3, v2
	v_ldexp_f64 v[4:5], v[4:5], s4
	s_delay_alu instid0(VALU_DEP_1)
	v_dual_cndmask_b32 v1, v5, v1 :: v_dual_cndmask_b32 v0, v4, v0
	ds_store_b128 v2, v[0:3] offset:1072
.LBB63_85:
	s_or_b32 exec_lo, exec_lo, s1
	v_mov_b32_e32 v0, 0
	s_wait_dscnt 0x0
	ds_load_b128 v[0:3], v0 offset:1072
	s_wait_dscnt 0x0
	v_cmp_neq_f64_e32 vcc_lo, 0, v[0:1]
	v_cmp_neq_f64_e64 s1, 0, v[2:3]
	s_or_b32 vcc_lo, vcc_lo, s1
	v_cndmask_b32_e32 v1, 0x3ff00000, v1, vcc_lo
	v_dual_cndmask_b32 v0, 0, v0 :: v_dual_cndmask_b32 v3, 0, v3
	v_cndmask_b32_e32 v2, 0, v2, vcc_lo
	s_nor_b32 s4, vcc_lo, s0
	s_delay_alu instid0(SALU_CYCLE_1)
	s_and_saveexec_b32 s1, s4
	s_cbranch_execz .LBB63_89
; %bb.86:
	v_mbcnt_lo_u32_b32 v0, exec_lo, 0
	s_mov_b32 s4, exec_lo
	s_delay_alu instid0(VALU_DEP_1)
	v_cmpx_eq_u32_e32 0, v0
	s_cbranch_execz .LBB63_88
; %bb.87:
	v_dual_mov_b32 v0, 0 :: v_dual_mov_b32 v1, s2
	global_atomic_min_i32 v0, v1, s[10:11] scope:SCOPE_DEV
.LBB63_88:
	s_wait_xcnt 0x0
	s_or_b32 exec_lo, exec_lo, s4
	v_mov_b64_e32 v[2:3], 0
	v_mov_b64_e32 v[0:1], 1.0
.LBB63_89:
	s_or_b32 exec_lo, exec_lo, s1
	s_delay_alu instid0(SALU_CYCLE_1)
	s_mov_b32 s1, exec_lo
	v_cmpx_lt_u32_e32 1, v15
	s_cbranch_execz .LBB63_91
; %bb.90:
	s_delay_alu instid0(VALU_DEP_2) | instskip(NEXT) | instid1(VALU_DEP_1)
	v_mul_f64_e32 v[4:5], v[2:3], v[2:3]
	v_fmac_f64_e32 v[4:5], v[0:1], v[0:1]
	s_delay_alu instid0(VALU_DEP_1) | instskip(SKIP_1) | instid1(VALU_DEP_2)
	v_div_scale_f64 v[24:25], null, v[4:5], v[4:5], 1.0
	v_div_scale_f64 v[28:29], vcc_lo, 1.0, v[4:5], 1.0
	v_rcp_f64_e32 v[26:27], v[24:25]
	v_nop
	s_delay_alu instid0(TRANS32_DEP_1) | instskip(NEXT) | instid1(VALU_DEP_1)
	v_fma_f64 v[10:11], -v[24:25], v[26:27], 1.0
	v_fmac_f64_e32 v[26:27], v[26:27], v[10:11]
	s_delay_alu instid0(VALU_DEP_1) | instskip(NEXT) | instid1(VALU_DEP_1)
	v_fma_f64 v[10:11], -v[24:25], v[26:27], 1.0
	v_fmac_f64_e32 v[26:27], v[26:27], v[10:11]
	ds_load_b128 v[10:13], v7 offset:16
	ds_load_b128 v[20:23], v19 offset:16
	s_wait_dscnt 0x0
	v_add_f64_e64 v[12:13], v[12:13], -v[22:23]
	v_add_f64_e64 v[10:11], v[10:11], -v[20:21]
	v_mul_f64_e32 v[30:31], v[28:29], v[26:27]
	s_delay_alu instid0(VALU_DEP_3) | instskip(NEXT) | instid1(VALU_DEP_3)
	v_mul_f64_e32 v[20:21], v[2:3], v[12:13]
	v_mul_f64_e64 v[2:3], v[2:3], -v[10:11]
	s_delay_alu instid0(VALU_DEP_3) | instskip(NEXT) | instid1(VALU_DEP_3)
	v_fma_f64 v[22:23], -v[24:25], v[30:31], v[28:29]
	v_fmac_f64_e32 v[20:21], v[10:11], v[0:1]
	s_delay_alu instid0(VALU_DEP_3) | instskip(NEXT) | instid1(VALU_DEP_3)
	v_fmac_f64_e32 v[2:3], v[12:13], v[0:1]
	v_div_fmas_f64 v[22:23], v[22:23], v[26:27], v[30:31]
	s_delay_alu instid0(VALU_DEP_1) | instskip(NEXT) | instid1(VALU_DEP_1)
	v_div_fixup_f64 v[4:5], v[22:23], v[4:5], 1.0
	v_mul_f64_e32 v[0:1], v[4:5], v[20:21]
	s_delay_alu instid0(VALU_DEP_4)
	v_mul_f64_e32 v[2:3], v[4:5], v[2:3]
	ds_store_b128 v7, v[0:3] offset:16
	s_wait_storecnt_dscnt 0x0
	ds_load_b128 v[10:13], v9 offset:16
	ds_load_b128 v[20:23], v18
	s_wait_dscnt 0x0
	v_fmac_f64_e32 v[20:21], v[0:1], v[10:11]
	v_fmac_f64_e32 v[22:23], v[2:3], v[10:11]
	s_delay_alu instid0(VALU_DEP_2) | instskip(NEXT) | instid1(VALU_DEP_2)
	v_fmac_f64_e32 v[20:21], v[2:3], v[12:13]
	v_fma_f64 v[22:23], v[0:1], -v[12:13], v[22:23]
	ds_store_b128 v18, v[20:23]
.LBB63_91:
	s_or_b32 exec_lo, exec_lo, s1
	s_delay_alu instid0(SALU_CYCLE_1)
	s_mov_b32 s1, exec_lo
	s_wait_storecnt_dscnt 0x0
	v_cmpx_eq_u32_e32 2, v15
	s_cbranch_execz .LBB63_98
; %bb.92:
	v_mov_b32_e32 v4, 0
	ds_load_b128 v[0:3], v4 offset:1664
	ds_load_b128 v[10:13], v4 offset:1184
	s_wait_dscnt 0x0
	v_add_f64_e64 v[0:1], v[10:11], -v[0:1]
	v_add_f64_e64 v[4:5], v[12:13], -v[2:3]
	s_delay_alu instid0(VALU_DEP_2) | instskip(SKIP_1) | instid1(VALU_DEP_3)
	v_cmp_gt_f64_e32 vcc_lo, 0, v[0:1]
	v_xor_b32_e32 v2, 0x80000000, v1
	v_xor_b32_e32 v3, 0x80000000, v5
	s_delay_alu instid0(VALU_DEP_2) | instskip(SKIP_1) | instid1(VALU_DEP_3)
	v_dual_cndmask_b32 v1, v1, v2 :: v_dual_mov_b32 v2, v4
	v_cmp_gt_f64_e32 vcc_lo, 0, v[4:5]
	v_cndmask_b32_e32 v3, v5, v3, vcc_lo
	s_delay_alu instid0(VALU_DEP_1)
	v_cmp_gt_f64_e32 vcc_lo, v[0:1], v[2:3]
	s_cbranch_vccnz .LBB63_95
; %bb.93:
	v_cmp_eq_f64_e32 vcc_lo, 0, v[4:5]
	s_cbranch_vccnz .LBB63_141
; %bb.94:
	v_div_scale_f64 v[4:5], null, v[2:3], v[2:3], v[0:1]
	v_div_scale_f64 v[20:21], vcc_lo, v[0:1], v[2:3], v[0:1]
	s_delay_alu instid0(VALU_DEP_2) | instskip(SKIP_1) | instid1(TRANS32_DEP_1)
	v_rcp_f64_e32 v[10:11], v[4:5]
	v_nop
	v_fma_f64 v[12:13], -v[4:5], v[10:11], 1.0
	s_delay_alu instid0(VALU_DEP_1) | instskip(NEXT) | instid1(VALU_DEP_1)
	v_fmac_f64_e32 v[10:11], v[10:11], v[12:13]
	v_fma_f64 v[12:13], -v[4:5], v[10:11], 1.0
	s_delay_alu instid0(VALU_DEP_1) | instskip(NEXT) | instid1(VALU_DEP_1)
	v_fmac_f64_e32 v[10:11], v[10:11], v[12:13]
	v_mul_f64_e32 v[12:13], v[20:21], v[10:11]
	s_delay_alu instid0(VALU_DEP_1) | instskip(NEXT) | instid1(VALU_DEP_1)
	v_fma_f64 v[4:5], -v[4:5], v[12:13], v[20:21]
	v_div_fmas_f64 v[4:5], v[4:5], v[10:11], v[12:13]
	s_delay_alu instid0(VALU_DEP_1) | instskip(NEXT) | instid1(VALU_DEP_1)
	v_div_fixup_f64 v[4:5], v[4:5], v[2:3], v[0:1]
	v_fma_f64 v[4:5], v[4:5], v[4:5], 1.0
	s_delay_alu instid0(VALU_DEP_1) | instskip(SKIP_2) | instid1(SALU_CYCLE_1)
	v_cmp_gt_f64_e32 vcc_lo, 0x10000000, v[4:5]
	s_and_b32 s4, vcc_lo, exec_lo
	s_cselect_b32 s4, 0x100, 0
	v_ldexp_f64 v[4:5], v[4:5], s4
	s_cselect_b32 s4, 0xffffff80, 0
	s_delay_alu instid0(VALU_DEP_1) | instskip(SKIP_1) | instid1(TRANS32_DEP_1)
	v_rsq_f64_e32 v[10:11], v[4:5]
	v_cmp_class_f64_e64 vcc_lo, v[4:5], 0x260
	v_mul_f64_e32 v[12:13], v[4:5], v[10:11]
	v_mul_f64_e32 v[10:11], 0.5, v[10:11]
	s_delay_alu instid0(VALU_DEP_1) | instskip(NEXT) | instid1(VALU_DEP_1)
	v_fma_f64 v[20:21], -v[10:11], v[12:13], 0.5
	v_fmac_f64_e32 v[12:13], v[12:13], v[20:21]
	v_fmac_f64_e32 v[10:11], v[10:11], v[20:21]
	s_delay_alu instid0(VALU_DEP_2) | instskip(NEXT) | instid1(VALU_DEP_1)
	v_fma_f64 v[20:21], -v[12:13], v[12:13], v[4:5]
	v_fmac_f64_e32 v[12:13], v[20:21], v[10:11]
	s_delay_alu instid0(VALU_DEP_1) | instskip(NEXT) | instid1(VALU_DEP_1)
	v_fma_f64 v[20:21], -v[12:13], v[12:13], v[4:5]
	v_fmac_f64_e32 v[12:13], v[20:21], v[10:11]
	s_delay_alu instid0(VALU_DEP_1) | instskip(NEXT) | instid1(VALU_DEP_1)
	v_ldexp_f64 v[10:11], v[12:13], s4
	v_dual_cndmask_b32 v5, v11, v5 :: v_dual_cndmask_b32 v4, v10, v4
	s_delay_alu instid0(VALU_DEP_1)
	v_mul_f64_e32 v[4:5], v[2:3], v[4:5]
	s_cbranch_execz .LBB63_96
	s_branch .LBB63_97
.LBB63_95:
                                        ; implicit-def: $vgpr4_vgpr5
.LBB63_96:
	v_div_scale_f64 v[4:5], null, v[0:1], v[0:1], v[2:3]
	v_div_scale_f64 v[20:21], vcc_lo, v[2:3], v[0:1], v[2:3]
	s_delay_alu instid0(VALU_DEP_2) | instskip(SKIP_1) | instid1(TRANS32_DEP_1)
	v_rcp_f64_e32 v[10:11], v[4:5]
	v_nop
	v_fma_f64 v[12:13], -v[4:5], v[10:11], 1.0
	s_delay_alu instid0(VALU_DEP_1) | instskip(NEXT) | instid1(VALU_DEP_1)
	v_fmac_f64_e32 v[10:11], v[10:11], v[12:13]
	v_fma_f64 v[12:13], -v[4:5], v[10:11], 1.0
	s_delay_alu instid0(VALU_DEP_1) | instskip(NEXT) | instid1(VALU_DEP_1)
	v_fmac_f64_e32 v[10:11], v[10:11], v[12:13]
	v_mul_f64_e32 v[12:13], v[20:21], v[10:11]
	s_delay_alu instid0(VALU_DEP_1) | instskip(NEXT) | instid1(VALU_DEP_1)
	v_fma_f64 v[4:5], -v[4:5], v[12:13], v[20:21]
	v_div_fmas_f64 v[4:5], v[4:5], v[10:11], v[12:13]
	s_delay_alu instid0(VALU_DEP_1) | instskip(NEXT) | instid1(VALU_DEP_1)
	v_div_fixup_f64 v[2:3], v[4:5], v[0:1], v[2:3]
	v_fma_f64 v[2:3], v[2:3], v[2:3], 1.0
	s_delay_alu instid0(VALU_DEP_1) | instskip(SKIP_2) | instid1(SALU_CYCLE_1)
	v_cmp_gt_f64_e32 vcc_lo, 0x10000000, v[2:3]
	s_and_b32 s4, vcc_lo, exec_lo
	s_cselect_b32 s4, 0x100, 0
	v_ldexp_f64 v[2:3], v[2:3], s4
	s_cselect_b32 s4, 0xffffff80, 0
	s_delay_alu instid0(VALU_DEP_1) | instskip(SKIP_1) | instid1(TRANS32_DEP_1)
	v_rsq_f64_e32 v[4:5], v[2:3]
	v_cmp_class_f64_e64 vcc_lo, v[2:3], 0x260
	v_mul_f64_e32 v[10:11], v[2:3], v[4:5]
	v_mul_f64_e32 v[4:5], 0.5, v[4:5]
	s_delay_alu instid0(VALU_DEP_1) | instskip(NEXT) | instid1(VALU_DEP_1)
	v_fma_f64 v[12:13], -v[4:5], v[10:11], 0.5
	v_fmac_f64_e32 v[10:11], v[10:11], v[12:13]
	v_fmac_f64_e32 v[4:5], v[4:5], v[12:13]
	s_delay_alu instid0(VALU_DEP_2) | instskip(NEXT) | instid1(VALU_DEP_1)
	v_fma_f64 v[12:13], -v[10:11], v[10:11], v[2:3]
	v_fmac_f64_e32 v[10:11], v[12:13], v[4:5]
	s_delay_alu instid0(VALU_DEP_1) | instskip(NEXT) | instid1(VALU_DEP_1)
	v_fma_f64 v[12:13], -v[10:11], v[10:11], v[2:3]
	v_fmac_f64_e32 v[10:11], v[12:13], v[4:5]
	s_delay_alu instid0(VALU_DEP_1) | instskip(NEXT) | instid1(VALU_DEP_1)
	v_ldexp_f64 v[4:5], v[10:11], s4
	v_dual_cndmask_b32 v3, v5, v3 :: v_dual_cndmask_b32 v2, v4, v2
	s_delay_alu instid0(VALU_DEP_1)
	v_mul_f64_e32 v[4:5], v[0:1], v[2:3]
.LBB63_97:
	s_delay_alu instid0(VALU_DEP_1) | instskip(SKIP_2) | instid1(SALU_CYCLE_1)
	v_cmp_gt_f64_e32 vcc_lo, 0x10000000, v[4:5]
	s_and_b32 s4, vcc_lo, exec_lo
	s_cselect_b32 s4, 0x100, 0
	v_ldexp_f64 v[0:1], v[4:5], s4
	s_cselect_b32 s4, 0xffffff80, 0
	s_delay_alu instid0(VALU_DEP_1) | instskip(SKIP_1) | instid1(TRANS32_DEP_1)
	v_rsq_f64_e32 v[2:3], v[0:1]
	v_cmp_class_f64_e64 vcc_lo, v[0:1], 0x260
	v_mul_f64_e32 v[4:5], v[0:1], v[2:3]
	v_mul_f64_e32 v[2:3], 0.5, v[2:3]
	s_delay_alu instid0(VALU_DEP_1) | instskip(NEXT) | instid1(VALU_DEP_1)
	v_fma_f64 v[10:11], -v[2:3], v[4:5], 0.5
	v_fmac_f64_e32 v[4:5], v[4:5], v[10:11]
	v_fmac_f64_e32 v[2:3], v[2:3], v[10:11]
	s_delay_alu instid0(VALU_DEP_2) | instskip(NEXT) | instid1(VALU_DEP_1)
	v_fma_f64 v[10:11], -v[4:5], v[4:5], v[0:1]
	v_fmac_f64_e32 v[4:5], v[10:11], v[2:3]
	s_delay_alu instid0(VALU_DEP_1) | instskip(NEXT) | instid1(VALU_DEP_1)
	v_fma_f64 v[10:11], -v[4:5], v[4:5], v[0:1]
	v_fmac_f64_e32 v[4:5], v[10:11], v[2:3]
	v_mov_b32_e32 v2, 0
	s_delay_alu instid0(VALU_DEP_1) | instskip(NEXT) | instid1(VALU_DEP_3)
	v_mov_b32_e32 v3, v2
	v_ldexp_f64 v[4:5], v[4:5], s4
	s_delay_alu instid0(VALU_DEP_1)
	v_dual_cndmask_b32 v1, v5, v1 :: v_dual_cndmask_b32 v0, v4, v0
	ds_store_b128 v2, v[0:3] offset:1184
.LBB63_98:
	s_or_b32 exec_lo, exec_lo, s1
	v_mov_b32_e32 v0, 0
	s_wait_dscnt 0x0
	ds_load_b128 v[0:3], v0 offset:1184
	s_wait_dscnt 0x0
	v_cmp_neq_f64_e32 vcc_lo, 0, v[0:1]
	v_cmp_neq_f64_e64 s1, 0, v[2:3]
	s_or_b32 vcc_lo, vcc_lo, s1
	v_cndmask_b32_e32 v1, 0x3ff00000, v1, vcc_lo
	v_dual_cndmask_b32 v0, 0, v0 :: v_dual_cndmask_b32 v3, 0, v3
	v_cndmask_b32_e32 v2, 0, v2, vcc_lo
	s_nor_b32 s4, vcc_lo, s0
	s_delay_alu instid0(SALU_CYCLE_1)
	s_and_saveexec_b32 s1, s4
	s_cbranch_execz .LBB63_102
; %bb.99:
	v_mbcnt_lo_u32_b32 v0, exec_lo, 0
	s_mov_b32 s4, exec_lo
	s_delay_alu instid0(VALU_DEP_1)
	v_cmpx_eq_u32_e32 0, v0
	s_cbranch_execz .LBB63_101
; %bb.100:
	v_dual_mov_b32 v0, 0 :: v_dual_mov_b32 v1, s2
	global_atomic_min_i32 v0, v1, s[10:11] scope:SCOPE_DEV
.LBB63_101:
	s_wait_xcnt 0x0
	s_or_b32 exec_lo, exec_lo, s4
	v_mov_b64_e32 v[2:3], 0
	v_mov_b64_e32 v[0:1], 1.0
.LBB63_102:
	s_or_b32 exec_lo, exec_lo, s1
	s_delay_alu instid0(SALU_CYCLE_1)
	s_mov_b32 s1, exec_lo
	v_cmpx_lt_u32_e32 2, v15
	s_cbranch_execz .LBB63_104
; %bb.103:
	s_delay_alu instid0(VALU_DEP_2) | instskip(NEXT) | instid1(VALU_DEP_1)
	v_mul_f64_e32 v[4:5], v[2:3], v[2:3]
	v_fmac_f64_e32 v[4:5], v[0:1], v[0:1]
	s_delay_alu instid0(VALU_DEP_1) | instskip(SKIP_1) | instid1(VALU_DEP_2)
	v_div_scale_f64 v[24:25], null, v[4:5], v[4:5], 1.0
	v_div_scale_f64 v[28:29], vcc_lo, 1.0, v[4:5], 1.0
	v_rcp_f64_e32 v[26:27], v[24:25]
	v_nop
	s_delay_alu instid0(TRANS32_DEP_1) | instskip(NEXT) | instid1(VALU_DEP_1)
	v_fma_f64 v[10:11], -v[24:25], v[26:27], 1.0
	v_fmac_f64_e32 v[26:27], v[26:27], v[10:11]
	s_delay_alu instid0(VALU_DEP_1) | instskip(NEXT) | instid1(VALU_DEP_1)
	v_fma_f64 v[10:11], -v[24:25], v[26:27], 1.0
	v_fmac_f64_e32 v[26:27], v[26:27], v[10:11]
	ds_load_b128 v[10:13], v7 offset:32
	ds_load_b128 v[20:23], v19 offset:32
	s_wait_dscnt 0x0
	v_add_f64_e64 v[12:13], v[12:13], -v[22:23]
	v_add_f64_e64 v[10:11], v[10:11], -v[20:21]
	v_mul_f64_e32 v[30:31], v[28:29], v[26:27]
	s_delay_alu instid0(VALU_DEP_3) | instskip(NEXT) | instid1(VALU_DEP_3)
	v_mul_f64_e32 v[20:21], v[2:3], v[12:13]
	v_mul_f64_e64 v[2:3], v[2:3], -v[10:11]
	s_delay_alu instid0(VALU_DEP_3) | instskip(NEXT) | instid1(VALU_DEP_3)
	v_fma_f64 v[22:23], -v[24:25], v[30:31], v[28:29]
	v_fmac_f64_e32 v[20:21], v[10:11], v[0:1]
	s_delay_alu instid0(VALU_DEP_3) | instskip(NEXT) | instid1(VALU_DEP_3)
	v_fmac_f64_e32 v[2:3], v[12:13], v[0:1]
	v_div_fmas_f64 v[22:23], v[22:23], v[26:27], v[30:31]
	s_delay_alu instid0(VALU_DEP_1) | instskip(NEXT) | instid1(VALU_DEP_1)
	v_div_fixup_f64 v[4:5], v[22:23], v[4:5], 1.0
	v_mul_f64_e32 v[0:1], v[4:5], v[20:21]
	s_delay_alu instid0(VALU_DEP_4)
	v_mul_f64_e32 v[2:3], v[4:5], v[2:3]
	ds_store_b128 v7, v[0:3] offset:32
	s_wait_storecnt_dscnt 0x0
	ds_load_b128 v[10:13], v9 offset:32
	ds_load_b128 v[20:23], v18
	s_wait_dscnt 0x0
	v_fmac_f64_e32 v[20:21], v[0:1], v[10:11]
	v_fmac_f64_e32 v[22:23], v[2:3], v[10:11]
	s_delay_alu instid0(VALU_DEP_2) | instskip(NEXT) | instid1(VALU_DEP_2)
	v_fmac_f64_e32 v[20:21], v[2:3], v[12:13]
	v_fma_f64 v[22:23], v[0:1], -v[12:13], v[22:23]
	ds_store_b128 v18, v[20:23]
.LBB63_104:
	s_or_b32 exec_lo, exec_lo, s1
	s_delay_alu instid0(SALU_CYCLE_1)
	s_mov_b32 s1, exec_lo
	s_wait_storecnt_dscnt 0x0
	v_cmpx_eq_u32_e32 3, v15
	s_cbranch_execz .LBB63_111
; %bb.105:
	v_mov_b32_e32 v4, 0
	ds_load_b128 v[0:3], v4 offset:1776
	ds_load_b128 v[10:13], v4 offset:1296
	s_wait_dscnt 0x0
	v_add_f64_e64 v[0:1], v[10:11], -v[0:1]
	v_add_f64_e64 v[4:5], v[12:13], -v[2:3]
	s_delay_alu instid0(VALU_DEP_2) | instskip(SKIP_1) | instid1(VALU_DEP_3)
	v_cmp_gt_f64_e32 vcc_lo, 0, v[0:1]
	v_xor_b32_e32 v2, 0x80000000, v1
	v_xor_b32_e32 v3, 0x80000000, v5
	s_delay_alu instid0(VALU_DEP_2) | instskip(SKIP_1) | instid1(VALU_DEP_3)
	v_dual_cndmask_b32 v1, v1, v2 :: v_dual_mov_b32 v2, v4
	v_cmp_gt_f64_e32 vcc_lo, 0, v[4:5]
	v_cndmask_b32_e32 v3, v5, v3, vcc_lo
	s_delay_alu instid0(VALU_DEP_1)
	v_cmp_gt_f64_e32 vcc_lo, v[0:1], v[2:3]
	s_cbranch_vccnz .LBB63_108
; %bb.106:
	v_cmp_eq_f64_e32 vcc_lo, 0, v[4:5]
	s_cbranch_vccnz .LBB63_142
; %bb.107:
	v_div_scale_f64 v[4:5], null, v[2:3], v[2:3], v[0:1]
	v_div_scale_f64 v[20:21], vcc_lo, v[0:1], v[2:3], v[0:1]
	s_delay_alu instid0(VALU_DEP_2) | instskip(SKIP_1) | instid1(TRANS32_DEP_1)
	v_rcp_f64_e32 v[10:11], v[4:5]
	v_nop
	v_fma_f64 v[12:13], -v[4:5], v[10:11], 1.0
	s_delay_alu instid0(VALU_DEP_1) | instskip(NEXT) | instid1(VALU_DEP_1)
	v_fmac_f64_e32 v[10:11], v[10:11], v[12:13]
	v_fma_f64 v[12:13], -v[4:5], v[10:11], 1.0
	s_delay_alu instid0(VALU_DEP_1) | instskip(NEXT) | instid1(VALU_DEP_1)
	v_fmac_f64_e32 v[10:11], v[10:11], v[12:13]
	v_mul_f64_e32 v[12:13], v[20:21], v[10:11]
	s_delay_alu instid0(VALU_DEP_1) | instskip(NEXT) | instid1(VALU_DEP_1)
	v_fma_f64 v[4:5], -v[4:5], v[12:13], v[20:21]
	v_div_fmas_f64 v[4:5], v[4:5], v[10:11], v[12:13]
	s_delay_alu instid0(VALU_DEP_1) | instskip(NEXT) | instid1(VALU_DEP_1)
	v_div_fixup_f64 v[4:5], v[4:5], v[2:3], v[0:1]
	v_fma_f64 v[4:5], v[4:5], v[4:5], 1.0
	s_delay_alu instid0(VALU_DEP_1) | instskip(SKIP_2) | instid1(SALU_CYCLE_1)
	v_cmp_gt_f64_e32 vcc_lo, 0x10000000, v[4:5]
	s_and_b32 s4, vcc_lo, exec_lo
	s_cselect_b32 s4, 0x100, 0
	v_ldexp_f64 v[4:5], v[4:5], s4
	s_cselect_b32 s4, 0xffffff80, 0
	s_delay_alu instid0(VALU_DEP_1) | instskip(SKIP_1) | instid1(TRANS32_DEP_1)
	v_rsq_f64_e32 v[10:11], v[4:5]
	v_cmp_class_f64_e64 vcc_lo, v[4:5], 0x260
	v_mul_f64_e32 v[12:13], v[4:5], v[10:11]
	v_mul_f64_e32 v[10:11], 0.5, v[10:11]
	s_delay_alu instid0(VALU_DEP_1) | instskip(NEXT) | instid1(VALU_DEP_1)
	v_fma_f64 v[20:21], -v[10:11], v[12:13], 0.5
	v_fmac_f64_e32 v[12:13], v[12:13], v[20:21]
	v_fmac_f64_e32 v[10:11], v[10:11], v[20:21]
	s_delay_alu instid0(VALU_DEP_2) | instskip(NEXT) | instid1(VALU_DEP_1)
	v_fma_f64 v[20:21], -v[12:13], v[12:13], v[4:5]
	v_fmac_f64_e32 v[12:13], v[20:21], v[10:11]
	s_delay_alu instid0(VALU_DEP_1) | instskip(NEXT) | instid1(VALU_DEP_1)
	v_fma_f64 v[20:21], -v[12:13], v[12:13], v[4:5]
	v_fmac_f64_e32 v[12:13], v[20:21], v[10:11]
	s_delay_alu instid0(VALU_DEP_1) | instskip(NEXT) | instid1(VALU_DEP_1)
	v_ldexp_f64 v[10:11], v[12:13], s4
	v_dual_cndmask_b32 v5, v11, v5 :: v_dual_cndmask_b32 v4, v10, v4
	s_delay_alu instid0(VALU_DEP_1)
	v_mul_f64_e32 v[4:5], v[2:3], v[4:5]
	s_cbranch_execz .LBB63_109
	s_branch .LBB63_110
.LBB63_108:
                                        ; implicit-def: $vgpr4_vgpr5
.LBB63_109:
	v_div_scale_f64 v[4:5], null, v[0:1], v[0:1], v[2:3]
	v_div_scale_f64 v[20:21], vcc_lo, v[2:3], v[0:1], v[2:3]
	s_delay_alu instid0(VALU_DEP_2) | instskip(SKIP_1) | instid1(TRANS32_DEP_1)
	v_rcp_f64_e32 v[10:11], v[4:5]
	v_nop
	v_fma_f64 v[12:13], -v[4:5], v[10:11], 1.0
	s_delay_alu instid0(VALU_DEP_1) | instskip(NEXT) | instid1(VALU_DEP_1)
	v_fmac_f64_e32 v[10:11], v[10:11], v[12:13]
	v_fma_f64 v[12:13], -v[4:5], v[10:11], 1.0
	s_delay_alu instid0(VALU_DEP_1) | instskip(NEXT) | instid1(VALU_DEP_1)
	v_fmac_f64_e32 v[10:11], v[10:11], v[12:13]
	v_mul_f64_e32 v[12:13], v[20:21], v[10:11]
	s_delay_alu instid0(VALU_DEP_1) | instskip(NEXT) | instid1(VALU_DEP_1)
	v_fma_f64 v[4:5], -v[4:5], v[12:13], v[20:21]
	v_div_fmas_f64 v[4:5], v[4:5], v[10:11], v[12:13]
	s_delay_alu instid0(VALU_DEP_1) | instskip(NEXT) | instid1(VALU_DEP_1)
	v_div_fixup_f64 v[2:3], v[4:5], v[0:1], v[2:3]
	v_fma_f64 v[2:3], v[2:3], v[2:3], 1.0
	s_delay_alu instid0(VALU_DEP_1) | instskip(SKIP_2) | instid1(SALU_CYCLE_1)
	v_cmp_gt_f64_e32 vcc_lo, 0x10000000, v[2:3]
	s_and_b32 s4, vcc_lo, exec_lo
	s_cselect_b32 s4, 0x100, 0
	v_ldexp_f64 v[2:3], v[2:3], s4
	s_cselect_b32 s4, 0xffffff80, 0
	s_delay_alu instid0(VALU_DEP_1) | instskip(SKIP_1) | instid1(TRANS32_DEP_1)
	v_rsq_f64_e32 v[4:5], v[2:3]
	v_cmp_class_f64_e64 vcc_lo, v[2:3], 0x260
	v_mul_f64_e32 v[10:11], v[2:3], v[4:5]
	v_mul_f64_e32 v[4:5], 0.5, v[4:5]
	s_delay_alu instid0(VALU_DEP_1) | instskip(NEXT) | instid1(VALU_DEP_1)
	v_fma_f64 v[12:13], -v[4:5], v[10:11], 0.5
	v_fmac_f64_e32 v[10:11], v[10:11], v[12:13]
	v_fmac_f64_e32 v[4:5], v[4:5], v[12:13]
	s_delay_alu instid0(VALU_DEP_2) | instskip(NEXT) | instid1(VALU_DEP_1)
	v_fma_f64 v[12:13], -v[10:11], v[10:11], v[2:3]
	v_fmac_f64_e32 v[10:11], v[12:13], v[4:5]
	s_delay_alu instid0(VALU_DEP_1) | instskip(NEXT) | instid1(VALU_DEP_1)
	v_fma_f64 v[12:13], -v[10:11], v[10:11], v[2:3]
	v_fmac_f64_e32 v[10:11], v[12:13], v[4:5]
	s_delay_alu instid0(VALU_DEP_1) | instskip(NEXT) | instid1(VALU_DEP_1)
	v_ldexp_f64 v[4:5], v[10:11], s4
	v_dual_cndmask_b32 v3, v5, v3 :: v_dual_cndmask_b32 v2, v4, v2
	s_delay_alu instid0(VALU_DEP_1)
	v_mul_f64_e32 v[4:5], v[0:1], v[2:3]
.LBB63_110:
	s_delay_alu instid0(VALU_DEP_1) | instskip(SKIP_2) | instid1(SALU_CYCLE_1)
	v_cmp_gt_f64_e32 vcc_lo, 0x10000000, v[4:5]
	s_and_b32 s4, vcc_lo, exec_lo
	s_cselect_b32 s4, 0x100, 0
	v_ldexp_f64 v[0:1], v[4:5], s4
	s_cselect_b32 s4, 0xffffff80, 0
	s_delay_alu instid0(VALU_DEP_1) | instskip(SKIP_1) | instid1(TRANS32_DEP_1)
	v_rsq_f64_e32 v[2:3], v[0:1]
	v_cmp_class_f64_e64 vcc_lo, v[0:1], 0x260
	v_mul_f64_e32 v[4:5], v[0:1], v[2:3]
	v_mul_f64_e32 v[2:3], 0.5, v[2:3]
	s_delay_alu instid0(VALU_DEP_1) | instskip(NEXT) | instid1(VALU_DEP_1)
	v_fma_f64 v[10:11], -v[2:3], v[4:5], 0.5
	v_fmac_f64_e32 v[4:5], v[4:5], v[10:11]
	v_fmac_f64_e32 v[2:3], v[2:3], v[10:11]
	s_delay_alu instid0(VALU_DEP_2) | instskip(NEXT) | instid1(VALU_DEP_1)
	v_fma_f64 v[10:11], -v[4:5], v[4:5], v[0:1]
	v_fmac_f64_e32 v[4:5], v[10:11], v[2:3]
	s_delay_alu instid0(VALU_DEP_1) | instskip(NEXT) | instid1(VALU_DEP_1)
	v_fma_f64 v[10:11], -v[4:5], v[4:5], v[0:1]
	v_fmac_f64_e32 v[4:5], v[10:11], v[2:3]
	v_mov_b32_e32 v2, 0
	s_delay_alu instid0(VALU_DEP_1) | instskip(NEXT) | instid1(VALU_DEP_3)
	v_mov_b32_e32 v3, v2
	v_ldexp_f64 v[4:5], v[4:5], s4
	s_delay_alu instid0(VALU_DEP_1)
	v_dual_cndmask_b32 v1, v5, v1 :: v_dual_cndmask_b32 v0, v4, v0
	ds_store_b128 v2, v[0:3] offset:1296
.LBB63_111:
	s_or_b32 exec_lo, exec_lo, s1
	v_mov_b32_e32 v0, 0
	s_wait_dscnt 0x0
	ds_load_b128 v[0:3], v0 offset:1296
	s_wait_dscnt 0x0
	v_cmp_neq_f64_e32 vcc_lo, 0, v[0:1]
	v_cmp_neq_f64_e64 s1, 0, v[2:3]
	s_or_b32 vcc_lo, vcc_lo, s1
	v_cndmask_b32_e32 v1, 0x3ff00000, v1, vcc_lo
	v_dual_cndmask_b32 v0, 0, v0 :: v_dual_cndmask_b32 v3, 0, v3
	v_cndmask_b32_e32 v2, 0, v2, vcc_lo
	s_nor_b32 s4, vcc_lo, s0
	s_delay_alu instid0(SALU_CYCLE_1)
	s_and_saveexec_b32 s1, s4
	s_cbranch_execz .LBB63_115
; %bb.112:
	v_mbcnt_lo_u32_b32 v0, exec_lo, 0
	s_mov_b32 s4, exec_lo
	s_delay_alu instid0(VALU_DEP_1)
	v_cmpx_eq_u32_e32 0, v0
	s_cbranch_execz .LBB63_114
; %bb.113:
	v_dual_mov_b32 v0, 0 :: v_dual_mov_b32 v1, s2
	global_atomic_min_i32 v0, v1, s[10:11] scope:SCOPE_DEV
.LBB63_114:
	s_wait_xcnt 0x0
	s_or_b32 exec_lo, exec_lo, s4
	v_mov_b64_e32 v[2:3], 0
	v_mov_b64_e32 v[0:1], 1.0
.LBB63_115:
	s_or_b32 exec_lo, exec_lo, s1
	s_delay_alu instid0(SALU_CYCLE_1)
	s_mov_b32 s1, exec_lo
	v_cmpx_lt_u32_e32 3, v15
	s_cbranch_execz .LBB63_117
; %bb.116:
	s_delay_alu instid0(VALU_DEP_2) | instskip(NEXT) | instid1(VALU_DEP_1)
	v_mul_f64_e32 v[4:5], v[2:3], v[2:3]
	v_fmac_f64_e32 v[4:5], v[0:1], v[0:1]
	s_delay_alu instid0(VALU_DEP_1) | instskip(SKIP_1) | instid1(VALU_DEP_2)
	v_div_scale_f64 v[24:25], null, v[4:5], v[4:5], 1.0
	v_div_scale_f64 v[28:29], vcc_lo, 1.0, v[4:5], 1.0
	v_rcp_f64_e32 v[26:27], v[24:25]
	v_nop
	s_delay_alu instid0(TRANS32_DEP_1) | instskip(NEXT) | instid1(VALU_DEP_1)
	v_fma_f64 v[10:11], -v[24:25], v[26:27], 1.0
	v_fmac_f64_e32 v[26:27], v[26:27], v[10:11]
	s_delay_alu instid0(VALU_DEP_1) | instskip(NEXT) | instid1(VALU_DEP_1)
	v_fma_f64 v[10:11], -v[24:25], v[26:27], 1.0
	v_fmac_f64_e32 v[26:27], v[26:27], v[10:11]
	ds_load_b128 v[10:13], v7 offset:48
	ds_load_b128 v[20:23], v19 offset:48
	s_wait_dscnt 0x0
	v_add_f64_e64 v[12:13], v[12:13], -v[22:23]
	v_add_f64_e64 v[10:11], v[10:11], -v[20:21]
	v_mul_f64_e32 v[30:31], v[28:29], v[26:27]
	s_delay_alu instid0(VALU_DEP_3) | instskip(NEXT) | instid1(VALU_DEP_3)
	v_mul_f64_e32 v[20:21], v[2:3], v[12:13]
	v_mul_f64_e64 v[2:3], v[2:3], -v[10:11]
	s_delay_alu instid0(VALU_DEP_3) | instskip(NEXT) | instid1(VALU_DEP_3)
	v_fma_f64 v[22:23], -v[24:25], v[30:31], v[28:29]
	v_fmac_f64_e32 v[20:21], v[10:11], v[0:1]
	s_delay_alu instid0(VALU_DEP_3) | instskip(NEXT) | instid1(VALU_DEP_3)
	v_fmac_f64_e32 v[2:3], v[12:13], v[0:1]
	v_div_fmas_f64 v[22:23], v[22:23], v[26:27], v[30:31]
	s_delay_alu instid0(VALU_DEP_1) | instskip(NEXT) | instid1(VALU_DEP_1)
	v_div_fixup_f64 v[4:5], v[22:23], v[4:5], 1.0
	v_mul_f64_e32 v[0:1], v[4:5], v[20:21]
	s_delay_alu instid0(VALU_DEP_4)
	v_mul_f64_e32 v[2:3], v[4:5], v[2:3]
	ds_store_b128 v7, v[0:3] offset:48
	s_wait_storecnt_dscnt 0x0
	ds_load_b128 v[10:13], v9 offset:48
	ds_load_b128 v[20:23], v18
	s_wait_dscnt 0x0
	v_fmac_f64_e32 v[20:21], v[0:1], v[10:11]
	v_fmac_f64_e32 v[22:23], v[2:3], v[10:11]
	s_delay_alu instid0(VALU_DEP_2) | instskip(NEXT) | instid1(VALU_DEP_2)
	v_fmac_f64_e32 v[20:21], v[2:3], v[12:13]
	v_fma_f64 v[22:23], v[0:1], -v[12:13], v[22:23]
	ds_store_b128 v18, v[20:23]
.LBB63_117:
	s_or_b32 exec_lo, exec_lo, s1
	s_delay_alu instid0(SALU_CYCLE_1)
	s_mov_b32 s1, exec_lo
	s_wait_storecnt_dscnt 0x0
	v_cmpx_eq_u32_e32 4, v15
	s_cbranch_execz .LBB63_124
; %bb.118:
	v_mov_b32_e32 v4, 0
	ds_load_b128 v[0:3], v4 offset:1888
	ds_load_b128 v[10:13], v4 offset:1408
	s_wait_dscnt 0x0
	v_add_f64_e64 v[0:1], v[10:11], -v[0:1]
	v_add_f64_e64 v[4:5], v[12:13], -v[2:3]
	s_delay_alu instid0(VALU_DEP_2) | instskip(SKIP_1) | instid1(VALU_DEP_3)
	v_cmp_gt_f64_e32 vcc_lo, 0, v[0:1]
	v_xor_b32_e32 v2, 0x80000000, v1
	v_xor_b32_e32 v3, 0x80000000, v5
	s_delay_alu instid0(VALU_DEP_2) | instskip(SKIP_1) | instid1(VALU_DEP_3)
	v_dual_cndmask_b32 v1, v1, v2 :: v_dual_mov_b32 v2, v4
	v_cmp_gt_f64_e32 vcc_lo, 0, v[4:5]
	v_cndmask_b32_e32 v3, v5, v3, vcc_lo
	s_delay_alu instid0(VALU_DEP_1)
	v_cmp_gt_f64_e32 vcc_lo, v[0:1], v[2:3]
	s_cbranch_vccnz .LBB63_121
; %bb.119:
	v_cmp_eq_f64_e32 vcc_lo, 0, v[4:5]
	s_cbranch_vccnz .LBB63_143
; %bb.120:
	v_div_scale_f64 v[4:5], null, v[2:3], v[2:3], v[0:1]
	v_div_scale_f64 v[20:21], vcc_lo, v[0:1], v[2:3], v[0:1]
	s_delay_alu instid0(VALU_DEP_2) | instskip(SKIP_1) | instid1(TRANS32_DEP_1)
	v_rcp_f64_e32 v[10:11], v[4:5]
	v_nop
	v_fma_f64 v[12:13], -v[4:5], v[10:11], 1.0
	s_delay_alu instid0(VALU_DEP_1) | instskip(NEXT) | instid1(VALU_DEP_1)
	v_fmac_f64_e32 v[10:11], v[10:11], v[12:13]
	v_fma_f64 v[12:13], -v[4:5], v[10:11], 1.0
	s_delay_alu instid0(VALU_DEP_1) | instskip(NEXT) | instid1(VALU_DEP_1)
	v_fmac_f64_e32 v[10:11], v[10:11], v[12:13]
	v_mul_f64_e32 v[12:13], v[20:21], v[10:11]
	s_delay_alu instid0(VALU_DEP_1) | instskip(NEXT) | instid1(VALU_DEP_1)
	v_fma_f64 v[4:5], -v[4:5], v[12:13], v[20:21]
	v_div_fmas_f64 v[4:5], v[4:5], v[10:11], v[12:13]
	s_delay_alu instid0(VALU_DEP_1) | instskip(NEXT) | instid1(VALU_DEP_1)
	v_div_fixup_f64 v[4:5], v[4:5], v[2:3], v[0:1]
	v_fma_f64 v[4:5], v[4:5], v[4:5], 1.0
	s_delay_alu instid0(VALU_DEP_1) | instskip(SKIP_2) | instid1(SALU_CYCLE_1)
	v_cmp_gt_f64_e32 vcc_lo, 0x10000000, v[4:5]
	s_and_b32 s4, vcc_lo, exec_lo
	s_cselect_b32 s4, 0x100, 0
	v_ldexp_f64 v[4:5], v[4:5], s4
	s_cselect_b32 s4, 0xffffff80, 0
	s_delay_alu instid0(VALU_DEP_1) | instskip(SKIP_1) | instid1(TRANS32_DEP_1)
	v_rsq_f64_e32 v[10:11], v[4:5]
	v_cmp_class_f64_e64 vcc_lo, v[4:5], 0x260
	v_mul_f64_e32 v[12:13], v[4:5], v[10:11]
	v_mul_f64_e32 v[10:11], 0.5, v[10:11]
	s_delay_alu instid0(VALU_DEP_1) | instskip(NEXT) | instid1(VALU_DEP_1)
	v_fma_f64 v[20:21], -v[10:11], v[12:13], 0.5
	v_fmac_f64_e32 v[12:13], v[12:13], v[20:21]
	v_fmac_f64_e32 v[10:11], v[10:11], v[20:21]
	s_delay_alu instid0(VALU_DEP_2) | instskip(NEXT) | instid1(VALU_DEP_1)
	v_fma_f64 v[20:21], -v[12:13], v[12:13], v[4:5]
	v_fmac_f64_e32 v[12:13], v[20:21], v[10:11]
	s_delay_alu instid0(VALU_DEP_1) | instskip(NEXT) | instid1(VALU_DEP_1)
	v_fma_f64 v[20:21], -v[12:13], v[12:13], v[4:5]
	v_fmac_f64_e32 v[12:13], v[20:21], v[10:11]
	s_delay_alu instid0(VALU_DEP_1) | instskip(NEXT) | instid1(VALU_DEP_1)
	v_ldexp_f64 v[10:11], v[12:13], s4
	v_dual_cndmask_b32 v5, v11, v5 :: v_dual_cndmask_b32 v4, v10, v4
	s_delay_alu instid0(VALU_DEP_1)
	v_mul_f64_e32 v[4:5], v[2:3], v[4:5]
	s_cbranch_execz .LBB63_122
	s_branch .LBB63_123
.LBB63_121:
                                        ; implicit-def: $vgpr4_vgpr5
.LBB63_122:
	v_div_scale_f64 v[4:5], null, v[0:1], v[0:1], v[2:3]
	v_div_scale_f64 v[20:21], vcc_lo, v[2:3], v[0:1], v[2:3]
	s_delay_alu instid0(VALU_DEP_2) | instskip(SKIP_1) | instid1(TRANS32_DEP_1)
	v_rcp_f64_e32 v[10:11], v[4:5]
	v_nop
	v_fma_f64 v[12:13], -v[4:5], v[10:11], 1.0
	s_delay_alu instid0(VALU_DEP_1) | instskip(NEXT) | instid1(VALU_DEP_1)
	v_fmac_f64_e32 v[10:11], v[10:11], v[12:13]
	v_fma_f64 v[12:13], -v[4:5], v[10:11], 1.0
	s_delay_alu instid0(VALU_DEP_1) | instskip(NEXT) | instid1(VALU_DEP_1)
	v_fmac_f64_e32 v[10:11], v[10:11], v[12:13]
	v_mul_f64_e32 v[12:13], v[20:21], v[10:11]
	s_delay_alu instid0(VALU_DEP_1) | instskip(NEXT) | instid1(VALU_DEP_1)
	v_fma_f64 v[4:5], -v[4:5], v[12:13], v[20:21]
	v_div_fmas_f64 v[4:5], v[4:5], v[10:11], v[12:13]
	s_delay_alu instid0(VALU_DEP_1) | instskip(NEXT) | instid1(VALU_DEP_1)
	v_div_fixup_f64 v[2:3], v[4:5], v[0:1], v[2:3]
	v_fma_f64 v[2:3], v[2:3], v[2:3], 1.0
	s_delay_alu instid0(VALU_DEP_1) | instskip(SKIP_2) | instid1(SALU_CYCLE_1)
	v_cmp_gt_f64_e32 vcc_lo, 0x10000000, v[2:3]
	s_and_b32 s4, vcc_lo, exec_lo
	s_cselect_b32 s4, 0x100, 0
	v_ldexp_f64 v[2:3], v[2:3], s4
	s_cselect_b32 s4, 0xffffff80, 0
	s_delay_alu instid0(VALU_DEP_1) | instskip(SKIP_1) | instid1(TRANS32_DEP_1)
	v_rsq_f64_e32 v[4:5], v[2:3]
	v_cmp_class_f64_e64 vcc_lo, v[2:3], 0x260
	v_mul_f64_e32 v[10:11], v[2:3], v[4:5]
	v_mul_f64_e32 v[4:5], 0.5, v[4:5]
	s_delay_alu instid0(VALU_DEP_1) | instskip(NEXT) | instid1(VALU_DEP_1)
	v_fma_f64 v[12:13], -v[4:5], v[10:11], 0.5
	v_fmac_f64_e32 v[10:11], v[10:11], v[12:13]
	v_fmac_f64_e32 v[4:5], v[4:5], v[12:13]
	s_delay_alu instid0(VALU_DEP_2) | instskip(NEXT) | instid1(VALU_DEP_1)
	v_fma_f64 v[12:13], -v[10:11], v[10:11], v[2:3]
	v_fmac_f64_e32 v[10:11], v[12:13], v[4:5]
	s_delay_alu instid0(VALU_DEP_1) | instskip(NEXT) | instid1(VALU_DEP_1)
	v_fma_f64 v[12:13], -v[10:11], v[10:11], v[2:3]
	v_fmac_f64_e32 v[10:11], v[12:13], v[4:5]
	s_delay_alu instid0(VALU_DEP_1) | instskip(NEXT) | instid1(VALU_DEP_1)
	v_ldexp_f64 v[4:5], v[10:11], s4
	v_dual_cndmask_b32 v3, v5, v3 :: v_dual_cndmask_b32 v2, v4, v2
	s_delay_alu instid0(VALU_DEP_1)
	v_mul_f64_e32 v[4:5], v[0:1], v[2:3]
.LBB63_123:
	s_delay_alu instid0(VALU_DEP_1) | instskip(SKIP_2) | instid1(SALU_CYCLE_1)
	v_cmp_gt_f64_e32 vcc_lo, 0x10000000, v[4:5]
	s_and_b32 s4, vcc_lo, exec_lo
	s_cselect_b32 s4, 0x100, 0
	v_ldexp_f64 v[0:1], v[4:5], s4
	s_cselect_b32 s4, 0xffffff80, 0
	s_delay_alu instid0(VALU_DEP_1) | instskip(SKIP_1) | instid1(TRANS32_DEP_1)
	v_rsq_f64_e32 v[2:3], v[0:1]
	v_cmp_class_f64_e64 vcc_lo, v[0:1], 0x260
	v_mul_f64_e32 v[4:5], v[0:1], v[2:3]
	v_mul_f64_e32 v[2:3], 0.5, v[2:3]
	s_delay_alu instid0(VALU_DEP_1) | instskip(NEXT) | instid1(VALU_DEP_1)
	v_fma_f64 v[10:11], -v[2:3], v[4:5], 0.5
	v_fmac_f64_e32 v[4:5], v[4:5], v[10:11]
	v_fmac_f64_e32 v[2:3], v[2:3], v[10:11]
	s_delay_alu instid0(VALU_DEP_2) | instskip(NEXT) | instid1(VALU_DEP_1)
	v_fma_f64 v[10:11], -v[4:5], v[4:5], v[0:1]
	v_fmac_f64_e32 v[4:5], v[10:11], v[2:3]
	s_delay_alu instid0(VALU_DEP_1) | instskip(NEXT) | instid1(VALU_DEP_1)
	v_fma_f64 v[10:11], -v[4:5], v[4:5], v[0:1]
	v_fmac_f64_e32 v[4:5], v[10:11], v[2:3]
	v_mov_b32_e32 v2, 0
	s_delay_alu instid0(VALU_DEP_1) | instskip(NEXT) | instid1(VALU_DEP_3)
	v_mov_b32_e32 v3, v2
	v_ldexp_f64 v[4:5], v[4:5], s4
	s_delay_alu instid0(VALU_DEP_1)
	v_dual_cndmask_b32 v1, v5, v1 :: v_dual_cndmask_b32 v0, v4, v0
	ds_store_b128 v2, v[0:3] offset:1408
.LBB63_124:
	s_or_b32 exec_lo, exec_lo, s1
	v_mov_b32_e32 v0, 0
	s_wait_dscnt 0x0
	ds_load_b128 v[0:3], v0 offset:1408
	s_wait_dscnt 0x0
	v_cmp_neq_f64_e32 vcc_lo, 0, v[0:1]
	v_cmp_neq_f64_e64 s1, 0, v[2:3]
	s_or_b32 vcc_lo, vcc_lo, s1
	v_cndmask_b32_e32 v1, 0x3ff00000, v1, vcc_lo
	v_dual_cndmask_b32 v0, 0, v0 :: v_dual_cndmask_b32 v3, 0, v3
	v_cndmask_b32_e32 v2, 0, v2, vcc_lo
	s_nor_b32 s1, vcc_lo, s0
	s_delay_alu instid0(SALU_CYCLE_1)
	s_and_saveexec_b32 s0, s1
	s_cbranch_execz .LBB63_128
; %bb.125:
	v_mbcnt_lo_u32_b32 v0, exec_lo, 0
	s_mov_b32 s1, exec_lo
	s_delay_alu instid0(VALU_DEP_1)
	v_cmpx_eq_u32_e32 0, v0
	s_cbranch_execz .LBB63_127
; %bb.126:
	v_dual_mov_b32 v0, 0 :: v_dual_mov_b32 v1, s2
	global_atomic_min_i32 v0, v1, s[10:11] scope:SCOPE_DEV
.LBB63_127:
	s_wait_xcnt 0x0
	s_or_b32 exec_lo, exec_lo, s1
	v_mov_b64_e32 v[2:3], 0
	v_mov_b64_e32 v[0:1], 1.0
.LBB63_128:
	s_or_b32 exec_lo, exec_lo, s0
	s_delay_alu instid0(SALU_CYCLE_1)
	s_mov_b32 s0, exec_lo
	v_cmpx_lt_u32_e32 4, v15
	s_cbranch_execz .LBB63_130
; %bb.129:
	s_delay_alu instid0(VALU_DEP_2) | instskip(NEXT) | instid1(VALU_DEP_1)
	v_mul_f64_e32 v[4:5], v[2:3], v[2:3]
	v_fmac_f64_e32 v[4:5], v[0:1], v[0:1]
	s_delay_alu instid0(VALU_DEP_1) | instskip(SKIP_1) | instid1(VALU_DEP_2)
	v_div_scale_f64 v[24:25], null, v[4:5], v[4:5], 1.0
	v_div_scale_f64 v[28:29], vcc_lo, 1.0, v[4:5], 1.0
	v_rcp_f64_e32 v[26:27], v[24:25]
	v_nop
	s_delay_alu instid0(TRANS32_DEP_1) | instskip(NEXT) | instid1(VALU_DEP_1)
	v_fma_f64 v[10:11], -v[24:25], v[26:27], 1.0
	v_fmac_f64_e32 v[26:27], v[26:27], v[10:11]
	s_delay_alu instid0(VALU_DEP_1) | instskip(NEXT) | instid1(VALU_DEP_1)
	v_fma_f64 v[10:11], -v[24:25], v[26:27], 1.0
	v_fmac_f64_e32 v[26:27], v[26:27], v[10:11]
	ds_load_b128 v[10:13], v7 offset:64
	ds_load_b128 v[20:23], v19 offset:64
	s_wait_dscnt 0x0
	v_add_f64_e64 v[12:13], v[12:13], -v[22:23]
	v_add_f64_e64 v[10:11], v[10:11], -v[20:21]
	v_mul_f64_e32 v[30:31], v[28:29], v[26:27]
	s_delay_alu instid0(VALU_DEP_3) | instskip(NEXT) | instid1(VALU_DEP_3)
	v_mul_f64_e32 v[20:21], v[2:3], v[12:13]
	v_mul_f64_e64 v[2:3], v[2:3], -v[10:11]
	s_delay_alu instid0(VALU_DEP_3) | instskip(NEXT) | instid1(VALU_DEP_3)
	v_fma_f64 v[22:23], -v[24:25], v[30:31], v[28:29]
	v_fmac_f64_e32 v[20:21], v[10:11], v[0:1]
	s_delay_alu instid0(VALU_DEP_3) | instskip(NEXT) | instid1(VALU_DEP_3)
	v_fmac_f64_e32 v[2:3], v[12:13], v[0:1]
	v_div_fmas_f64 v[22:23], v[22:23], v[26:27], v[30:31]
	s_delay_alu instid0(VALU_DEP_1) | instskip(NEXT) | instid1(VALU_DEP_1)
	v_div_fixup_f64 v[4:5], v[22:23], v[4:5], 1.0
	v_mul_f64_e32 v[0:1], v[4:5], v[20:21]
	s_delay_alu instid0(VALU_DEP_4)
	v_mul_f64_e32 v[2:3], v[4:5], v[2:3]
	ds_store_b128 v7, v[0:3] offset:64
	s_wait_storecnt_dscnt 0x0
	ds_load_b128 v[10:13], v9 offset:64
	ds_load_b128 v[20:23], v18
	s_wait_dscnt 0x0
	v_fmac_f64_e32 v[20:21], v[0:1], v[10:11]
	v_fmac_f64_e32 v[22:23], v[2:3], v[10:11]
	s_delay_alu instid0(VALU_DEP_2) | instskip(NEXT) | instid1(VALU_DEP_2)
	v_fmac_f64_e32 v[20:21], v[2:3], v[12:13]
	v_fma_f64 v[22:23], v[0:1], -v[12:13], v[22:23]
	ds_store_b128 v18, v[20:23]
.LBB63_130:
	s_or_b32 exec_lo, exec_lo, s0
	s_delay_alu instid0(SALU_CYCLE_1)
	s_and_not1_b32 vcc_lo, exec_lo, s3
	s_wait_storecnt_dscnt 0x0
	s_cbranch_vccnz .LBB63_132
; %bb.131:
	v_mov_b32_e32 v16, v17
.LBB63_132:
	ds_load_2addr_b64 v[0:3], v6 offset1:1
	v_add_nc_u32_e32 v4, s26, v16
	s_mov_b32 s0, 0
	s_mov_b32 s1, exec_lo
	s_wait_dscnt 0x0
	global_store_b128 v4, v[0:3], s[18:19] scale_offset
	s_wait_xcnt 0x0
	v_cmpx_eq_u32_e32 0, v8
	s_cbranch_execz .LBB63_134
; %bb.133:
	v_dual_mov_b32 v0, 0 :: v_dual_mov_b32 v1, 1
	s_add_nc_u64 s[2:3], s[6:7], s[8:9]
	global_wb scope:SCOPE_DEV
	s_wait_storecnt 0x0
	global_store_b32 v0, v1, s[2:3] scope:SCOPE_DEV
.LBB63_134:
	s_wait_xcnt 0x0
	s_or_b32 exec_lo, exec_lo, s1
	s_delay_alu instid0(SALU_CYCLE_1)
	s_and_b32 vcc_lo, exec_lo, s0
	s_cbranch_vccz .LBB63_68
.LBB63_135:
	v_or_b32_e32 v0, v14, v15
	s_mov_b32 s0, exec_lo
	s_delay_alu instid0(VALU_DEP_1)
	v_cmpx_eq_u32_e32 0, v0
	s_cbranch_execz .LBB63_68
; %bb.136:
	v_mbcnt_lo_u32_b32 v0, exec_lo, 0
	s_mov_b32 s0, exec_lo
	s_delay_alu instid0(VALU_DEP_1)
	v_cmpx_eq_u32_e32 0, v0
	s_cbranch_execz .LBB63_138
; %bb.137:
	s_add_co_i32 s1, s16, s17
	s_delay_alu instid0(SALU_CYCLE_1)
	v_dual_mov_b32 v0, 0 :: v_dual_mov_b32 v1, s1
	global_atomic_min_i32 v0, v1, s[10:11] scope:SCOPE_DEV
.LBB63_138:
	s_wait_xcnt 0x0
	s_or_b32 exec_lo, exec_lo, s0
	v_dual_mov_b32 v0, 0 :: v_dual_mov_b32 v1, 1
	s_add_nc_u64 s[0:1], s[6:7], s[8:9]
	global_wb scope:SCOPE_DEV
	s_wait_storecnt 0x0
	global_store_b32 v0, v1, s[0:1] scope:SCOPE_DEV
	s_sendmsg sendmsg(MSG_DEALLOC_VGPRS)
	s_endpgm
.LBB63_139:
	v_mov_b64_e32 v[4:5], 0
	s_cbranch_execz .LBB63_70
	s_branch .LBB63_71
.LBB63_140:
	v_mov_b64_e32 v[4:5], 0
	s_cbranch_execz .LBB63_83
	s_branch .LBB63_84
.LBB63_141:
	v_mov_b64_e32 v[4:5], 0
	s_cbranch_execz .LBB63_96
	s_branch .LBB63_97
.LBB63_142:
	v_mov_b64_e32 v[4:5], 0
	s_cbranch_execz .LBB63_109
	s_branch .LBB63_110
.LBB63_143:
	v_mov_b64_e32 v[4:5], 0
	s_cbranch_execz .LBB63_122
	s_branch .LBB63_123
	.section	.rodata,"a",@progbits
	.p2align	6, 0x0
	.amdhsa_kernel _ZN9rocsparseL26bsric0_2_8_unrolled_kernelILi25ELi32ELi5E21rocsparse_complex_numIdEEEv20rocsparse_direction_iiPKiS5_PT2_S5_PiS5_S8_21rocsparse_index_base_
		.amdhsa_group_segment_fixed_size 2304
		.amdhsa_private_segment_fixed_size 0
		.amdhsa_kernarg_size 76
		.amdhsa_user_sgpr_count 2
		.amdhsa_user_sgpr_dispatch_ptr 0
		.amdhsa_user_sgpr_queue_ptr 0
		.amdhsa_user_sgpr_kernarg_segment_ptr 1
		.amdhsa_user_sgpr_dispatch_id 0
		.amdhsa_user_sgpr_kernarg_preload_length 0
		.amdhsa_user_sgpr_kernarg_preload_offset 0
		.amdhsa_user_sgpr_private_segment_size 0
		.amdhsa_wavefront_size32 1
		.amdhsa_uses_dynamic_stack 0
		.amdhsa_enable_private_segment 0
		.amdhsa_system_sgpr_workgroup_id_x 1
		.amdhsa_system_sgpr_workgroup_id_y 0
		.amdhsa_system_sgpr_workgroup_id_z 0
		.amdhsa_system_sgpr_workgroup_info 0
		.amdhsa_system_vgpr_workitem_id 1
		.amdhsa_next_free_vgpr 68
		.amdhsa_next_free_sgpr 37
		.amdhsa_named_barrier_count 0
		.amdhsa_reserve_vcc 1
		.amdhsa_float_round_mode_32 0
		.amdhsa_float_round_mode_16_64 0
		.amdhsa_float_denorm_mode_32 3
		.amdhsa_float_denorm_mode_16_64 3
		.amdhsa_fp16_overflow 0
		.amdhsa_memory_ordered 1
		.amdhsa_forward_progress 1
		.amdhsa_inst_pref_size 94
		.amdhsa_round_robin_scheduling 0
		.amdhsa_exception_fp_ieee_invalid_op 0
		.amdhsa_exception_fp_denorm_src 0
		.amdhsa_exception_fp_ieee_div_zero 0
		.amdhsa_exception_fp_ieee_overflow 0
		.amdhsa_exception_fp_ieee_underflow 0
		.amdhsa_exception_fp_ieee_inexact 0
		.amdhsa_exception_int_div_zero 0
	.end_amdhsa_kernel
	.section	.text._ZN9rocsparseL26bsric0_2_8_unrolled_kernelILi25ELi32ELi5E21rocsparse_complex_numIdEEEv20rocsparse_direction_iiPKiS5_PT2_S5_PiS5_S8_21rocsparse_index_base_,"axG",@progbits,_ZN9rocsparseL26bsric0_2_8_unrolled_kernelILi25ELi32ELi5E21rocsparse_complex_numIdEEEv20rocsparse_direction_iiPKiS5_PT2_S5_PiS5_S8_21rocsparse_index_base_,comdat
.Lfunc_end63:
	.size	_ZN9rocsparseL26bsric0_2_8_unrolled_kernelILi25ELi32ELi5E21rocsparse_complex_numIdEEEv20rocsparse_direction_iiPKiS5_PT2_S5_PiS5_S8_21rocsparse_index_base_, .Lfunc_end63-_ZN9rocsparseL26bsric0_2_8_unrolled_kernelILi25ELi32ELi5E21rocsparse_complex_numIdEEEv20rocsparse_direction_iiPKiS5_PT2_S5_PiS5_S8_21rocsparse_index_base_
                                        ; -- End function
	.set _ZN9rocsparseL26bsric0_2_8_unrolled_kernelILi25ELi32ELi5E21rocsparse_complex_numIdEEEv20rocsparse_direction_iiPKiS5_PT2_S5_PiS5_S8_21rocsparse_index_base_.num_vgpr, 68
	.set _ZN9rocsparseL26bsric0_2_8_unrolled_kernelILi25ELi32ELi5E21rocsparse_complex_numIdEEEv20rocsparse_direction_iiPKiS5_PT2_S5_PiS5_S8_21rocsparse_index_base_.num_agpr, 0
	.set _ZN9rocsparseL26bsric0_2_8_unrolled_kernelILi25ELi32ELi5E21rocsparse_complex_numIdEEEv20rocsparse_direction_iiPKiS5_PT2_S5_PiS5_S8_21rocsparse_index_base_.numbered_sgpr, 37
	.set _ZN9rocsparseL26bsric0_2_8_unrolled_kernelILi25ELi32ELi5E21rocsparse_complex_numIdEEEv20rocsparse_direction_iiPKiS5_PT2_S5_PiS5_S8_21rocsparse_index_base_.num_named_barrier, 0
	.set _ZN9rocsparseL26bsric0_2_8_unrolled_kernelILi25ELi32ELi5E21rocsparse_complex_numIdEEEv20rocsparse_direction_iiPKiS5_PT2_S5_PiS5_S8_21rocsparse_index_base_.private_seg_size, 0
	.set _ZN9rocsparseL26bsric0_2_8_unrolled_kernelILi25ELi32ELi5E21rocsparse_complex_numIdEEEv20rocsparse_direction_iiPKiS5_PT2_S5_PiS5_S8_21rocsparse_index_base_.uses_vcc, 1
	.set _ZN9rocsparseL26bsric0_2_8_unrolled_kernelILi25ELi32ELi5E21rocsparse_complex_numIdEEEv20rocsparse_direction_iiPKiS5_PT2_S5_PiS5_S8_21rocsparse_index_base_.uses_flat_scratch, 0
	.set _ZN9rocsparseL26bsric0_2_8_unrolled_kernelILi25ELi32ELi5E21rocsparse_complex_numIdEEEv20rocsparse_direction_iiPKiS5_PT2_S5_PiS5_S8_21rocsparse_index_base_.has_dyn_sized_stack, 0
	.set _ZN9rocsparseL26bsric0_2_8_unrolled_kernelILi25ELi32ELi5E21rocsparse_complex_numIdEEEv20rocsparse_direction_iiPKiS5_PT2_S5_PiS5_S8_21rocsparse_index_base_.has_recursion, 0
	.set _ZN9rocsparseL26bsric0_2_8_unrolled_kernelILi25ELi32ELi5E21rocsparse_complex_numIdEEEv20rocsparse_direction_iiPKiS5_PT2_S5_PiS5_S8_21rocsparse_index_base_.has_indirect_call, 0
	.section	.AMDGPU.csdata,"",@progbits
; Kernel info:
; codeLenInByte = 11912
; TotalNumSgprs: 39
; NumVgprs: 68
; ScratchSize: 0
; MemoryBound: 1
; FloatMode: 240
; IeeeMode: 1
; LDSByteSize: 2304 bytes/workgroup (compile time only)
; SGPRBlocks: 0
; VGPRBlocks: 4
; NumSGPRsForWavesPerEU: 39
; NumVGPRsForWavesPerEU: 68
; NamedBarCnt: 0
; Occupancy: 12
; WaveLimiterHint : 1
; COMPUTE_PGM_RSRC2:SCRATCH_EN: 0
; COMPUTE_PGM_RSRC2:USER_SGPR: 2
; COMPUTE_PGM_RSRC2:TRAP_HANDLER: 0
; COMPUTE_PGM_RSRC2:TGID_X_EN: 1
; COMPUTE_PGM_RSRC2:TGID_Y_EN: 0
; COMPUTE_PGM_RSRC2:TGID_Z_EN: 0
; COMPUTE_PGM_RSRC2:TIDIG_COMP_CNT: 1
	.section	.text._ZN9rocsparseL26bsric0_2_8_unrolled_kernelILi36ELi32ELi6E21rocsparse_complex_numIdEEEv20rocsparse_direction_iiPKiS5_PT2_S5_PiS5_S8_21rocsparse_index_base_,"axG",@progbits,_ZN9rocsparseL26bsric0_2_8_unrolled_kernelILi36ELi32ELi6E21rocsparse_complex_numIdEEEv20rocsparse_direction_iiPKiS5_PT2_S5_PiS5_S8_21rocsparse_index_base_,comdat
	.globl	_ZN9rocsparseL26bsric0_2_8_unrolled_kernelILi36ELi32ELi6E21rocsparse_complex_numIdEEEv20rocsparse_direction_iiPKiS5_PT2_S5_PiS5_S8_21rocsparse_index_base_ ; -- Begin function _ZN9rocsparseL26bsric0_2_8_unrolled_kernelILi36ELi32ELi6E21rocsparse_complex_numIdEEEv20rocsparse_direction_iiPKiS5_PT2_S5_PiS5_S8_21rocsparse_index_base_
	.p2align	8
	.type	_ZN9rocsparseL26bsric0_2_8_unrolled_kernelILi36ELi32ELi6E21rocsparse_complex_numIdEEEv20rocsparse_direction_iiPKiS5_PT2_S5_PiS5_S8_21rocsparse_index_base_,@function
_ZN9rocsparseL26bsric0_2_8_unrolled_kernelILi36ELi32ELi6E21rocsparse_complex_numIdEEEv20rocsparse_direction_iiPKiS5_PT2_S5_PiS5_S8_21rocsparse_index_base_: ; @_ZN9rocsparseL26bsric0_2_8_unrolled_kernelILi36ELi32ELi6E21rocsparse_complex_numIdEEEv20rocsparse_direction_iiPKiS5_PT2_S5_PiS5_S8_21rocsparse_index_base_
; %bb.0:
	s_load_b256 s[4:11], s[0:1], 0x28
	s_bfe_u32 s2, ttmp6, 0x4000c
	s_and_b32 s3, ttmp6, 15
	s_add_co_i32 s2, s2, 1
	s_getreg_b32 s12, hwreg(HW_REG_IB_STS2, 6, 4)
	s_mul_i32 s2, ttmp9, s2
	v_and_b32_e32 v14, 0x3ff, v0
	s_add_co_i32 s3, s3, s2
	s_cmp_eq_u32 s12, 0
	v_bfe_u32 v15, v0, 10, 10
	s_cselect_b32 s2, ttmp9, s3
	s_wait_kmcnt 0x0
	s_load_b32 s16, s[8:9], s2 offset:0x0 scale_offset
	s_wait_kmcnt 0x0
	s_ashr_i32 s17, s16, 31
	s_delay_alu instid0(SALU_CYCLE_1) | instskip(NEXT) | instid1(SALU_CYCLE_1)
	s_lshl_b64 s[8:9], s[16:17], 2
	s_add_nc_u64 s[2:3], s[4:5], s[8:9]
	s_load_b32 s26, s[2:3], 0x0
	s_load_b32 s17, s[0:1], 0x48
	s_wait_kmcnt 0x0
	s_cmp_lg_u32 s26, -1
	s_cbranch_scc0 .LBB64_71
; %bb.1:
	s_clause 0x1
	s_load_b128 s[12:15], s[0:1], 0x10
	s_load_b64 s[18:19], s[0:1], 0x20
	v_mad_u32_u24 v16, v15, 6, v14
	v_mul_u32_u24_e32 v20, 6, v15
	s_wait_kmcnt 0x0
	s_add_nc_u64 s[2:3], s[12:13], s[8:9]
	s_load_b32 s3, s[2:3], 0x0
	s_wait_xcnt 0x0
	s_mov_b32 s2, exec_lo
	s_wait_kmcnt 0x0
	s_sub_co_i32 s27, s3, s17
	s_delay_alu instid0(SALU_CYCLE_1) | instskip(NEXT) | instid1(VALU_DEP_1)
	v_add_nc_u32_e32 v0, s27, v16
	v_cmpx_ge_i32_e64 s26, v0
	s_cbranch_execz .LBB64_14
; %bb.2:
	v_add_nc_u32_e32 v1, s3, v14
	s_add_co_i32 s20, s26, 1
	s_mov_b32 s21, -1
	s_delay_alu instid0(VALU_DEP_1) | instskip(NEXT) | instid1(VALU_DEP_1)
	v_add_nc_u32_e32 v2, v1, v20
	v_subrev_nc_u32_e32 v2, s17, v2
	s_delay_alu instid0(VALU_DEP_1) | instskip(SKIP_1) | instid1(VALU_DEP_1)
	v_add_max_i32_e64 v2, v2, 36, s20
	s_mov_b32 s20, exec_lo
	v_add_nc_u32_e32 v2, s17, v2
	s_delay_alu instid0(VALU_DEP_1) | instskip(NEXT) | instid1(VALU_DEP_1)
	v_sub_nc_u32_e32 v1, v2, v1
	v_subrev_nc_u32_e32 v1, 36, v1
	s_delay_alu instid0(VALU_DEP_1) | instskip(SKIP_1) | instid1(VALU_DEP_1)
	v_cmp_ne_u32_e32 vcc_lo, v1, v20
	v_cndmask_b32_e64 v2, 0, 1, vcc_lo
	v_or_b32_e32 v2, v20, v2
	s_delay_alu instid0(VALU_DEP_1) | instskip(NEXT) | instid1(VALU_DEP_1)
	v_sub_nc_u32_e32 v1, v1, v2
	v_mul_hi_u32 v1, 0x38e38e39, v1
	s_delay_alu instid0(VALU_DEP_1) | instskip(NEXT) | instid1(VALU_DEP_1)
	v_lshrrev_b32_e32 v1, 3, v1
	v_add_co_ci_u32_e64 v4, null, 0, v1, vcc_lo
	s_delay_alu instid0(VALU_DEP_1)
	v_cmpx_ne_u32_e32 0, v4
	s_cbranch_execz .LBB64_11
; %bb.3:
	v_add_nc_u32_e32 v1, -1, v4
	s_mov_b32 s21, exec_lo
	s_delay_alu instid0(VALU_DEP_1) | instskip(NEXT) | instid1(VALU_DEP_1)
	v_dual_lshrrev_b32 v2, 1, v1 :: v_dual_add_nc_u32 v1, 36, v0
	v_add_nc_u32_e32 v5, 1, v2
	s_delay_alu instid0(VALU_DEP_2)
	v_mov_b64_e32 v[2:3], v[0:1]
	v_cmpx_lt_u32_e32 14, v4
	s_cbranch_execz .LBB64_7
; %bb.4:
	v_mov_b64_e32 v[2:3], v[0:1]
	v_and_b32_e32 v6, -8, v5
	s_mov_b32 s22, 0
.LBB64_5:                               ; =>This Inner Loop Header: Depth=1
	s_clause 0x1
	global_load_b32 v1, v2, s[14:15] scale_offset
	global_load_b32 v7, v3, s[14:15] scale_offset
	v_add_nc_u32_e32 v17, 0x120, v3
	v_add_nc_u32_e32 v12, 0xd8, v3
	;; [unrolled: 1-line block ×14, first 2 shown]
	s_clause 0xd
	global_load_b32 v26, v17, s[14:15] scale_offset
	global_load_b32 v27, v12, s[14:15] scale_offset
	;; [unrolled: 1-line block ×14, first 2 shown]
	v_subrev_nc_u32_e32 v40, s27, v2
	v_subrev_nc_u32_e32 v41, s27, v3
	v_add_nc_u32_e32 v6, -8, v6
	s_wait_xcnt 0xa
	v_subrev_nc_u32_e32 v8, s27, v8
	s_wait_xcnt 0x9
	v_subrev_nc_u32_e32 v9, s27, v9
	v_dual_lshlrev_b32 v40, 2, v40 :: v_dual_lshlrev_b32 v41, 2, v41
	s_wait_xcnt 0x8
	v_subrev_nc_u32_e32 v11, s27, v11
	v_subrev_nc_u32_e32 v10, s27, v10
	v_cmp_eq_u32_e32 vcc_lo, 0, v6
	s_wait_xcnt 0x7
	v_subrev_nc_u32_e32 v13, s27, v13
	v_add_nc_u32_e32 v3, 0x240, v3
	v_subrev_nc_u32_e32 v12, s27, v12
	v_subrev_nc_u32_e32 v17, s27, v17
	s_wait_xcnt 0x6
	v_subrev_nc_u32_e32 v18, s27, v18
	s_wait_xcnt 0x3
	v_subrev_nc_u32_e32 v19, s27, v19
	s_wait_xcnt 0x2
	v_subrev_nc_u32_e32 v21, s27, v21
	v_subrev_nc_u32_e32 v22, s27, v22
	s_wait_xcnt 0x1
	v_subrev_nc_u32_e32 v23, s27, v23
	v_subrev_nc_u32_e32 v24, s27, v24
	s_wait_xcnt 0x0
	v_subrev_nc_u32_e32 v25, s27, v25
	v_add_nc_u32_e32 v2, 0x240, v2
	v_dual_lshlrev_b32 v9, 2, v9 :: v_dual_lshlrev_b32 v11, 2, v11
	v_dual_lshlrev_b32 v8, 2, v8 :: v_dual_lshlrev_b32 v10, 2, v10
	v_lshlrev_b32_e32 v13, 2, v13
	s_or_b32 s22, vcc_lo, s22
	v_dual_lshlrev_b32 v12, 2, v12 :: v_dual_lshlrev_b32 v18, 2, v18
	v_dual_lshlrev_b32 v17, 2, v17 :: v_dual_lshlrev_b32 v19, 2, v19
	;; [unrolled: 1-line block ×4, first 2 shown]
	v_lshlrev_b32_e32 v24, 2, v24
	s_wait_loadcnt 0xf
	v_subrev_nc_u32_e32 v1, s17, v1
	s_wait_loadcnt 0xe
	v_subrev_nc_u32_e32 v7, s17, v7
	ds_store_b32 v40, v1 offset:2944
	ds_store_b32 v41, v7 offset:2944
	s_wait_loadcnt 0xa
	v_subrev_nc_u32_e32 v1, s17, v29
	s_wait_loadcnt 0x9
	v_subrev_nc_u32_e32 v7, s17, v30
	;; [unrolled: 2-line block ×3, first 2 shown]
	v_subrev_nc_u32_e32 v28, s17, v28
	s_wait_loadcnt 0x7
	v_subrev_nc_u32_e32 v30, s17, v32
	v_subrev_nc_u32_e32 v27, s17, v27
	;; [unrolled: 1-line block ×3, first 2 shown]
	s_wait_loadcnt 0x6
	v_subrev_nc_u32_e32 v31, s17, v33
	s_wait_loadcnt 0x3
	v_subrev_nc_u32_e32 v32, s17, v36
	;; [unrolled: 2-line block ×3, first 2 shown]
	v_subrev_nc_u32_e32 v35, s17, v35
	s_wait_loadcnt 0x1
	v_subrev_nc_u32_e32 v36, s17, v38
	v_subrev_nc_u32_e32 v34, s17, v34
	s_wait_loadcnt 0x0
	v_subrev_nc_u32_e32 v37, s17, v39
	ds_store_b32 v9, v7 offset:2944
	ds_store_b32 v8, v1 offset:2944
	;; [unrolled: 1-line block ×14, first 2 shown]
	s_and_not1_b32 exec_lo, exec_lo, s22
	s_cbranch_execnz .LBB64_5
; %bb.6:
	s_or_b32 exec_lo, exec_lo, s22
.LBB64_7:
	s_delay_alu instid0(SALU_CYCLE_1) | instskip(SKIP_3) | instid1(VALU_DEP_1)
	s_or_b32 exec_lo, exec_lo, s21
	v_and_b32_e32 v1, 7, v5
	s_mov_b32 s22, 0
	s_mov_b32 s21, exec_lo
	v_cmpx_ne_u32_e32 0, v1
	s_cbranch_execz .LBB64_10
; %bb.8:
	v_sub_nc_u32_e32 v1, 0, v1
.LBB64_9:                               ; =>This Inner Loop Header: Depth=1
	s_clause 0x1
	global_load_b32 v5, v3, s[14:15] scale_offset
	global_load_b32 v6, v2, s[14:15] scale_offset
	v_subrev_nc_u32_e32 v7, s27, v2
	v_subrev_nc_u32_e32 v8, s27, v3
	s_wait_xcnt 0x1
	v_add_nc_u32_e32 v3, 0x48, v3
	s_wait_xcnt 0x0
	v_add_nc_u32_e32 v2, 0x48, v2
	v_add_co_u32 v1, s23, v1, 1
	v_dual_lshlrev_b32 v7, 2, v7 :: v_dual_lshlrev_b32 v8, 2, v8
	s_or_b32 s22, s23, s22
	s_wait_loadcnt 0x1
	v_subrev_nc_u32_e32 v5, s17, v5
	s_wait_loadcnt 0x0
	v_subrev_nc_u32_e32 v6, s17, v6
	ds_store_b32 v7, v6 offset:2944
	ds_store_b32 v8, v5 offset:2944
	s_and_not1_b32 exec_lo, exec_lo, s22
	s_cbranch_execnz .LBB64_9
.LBB64_10:
	s_or_b32 exec_lo, exec_lo, s21
	v_add_nc_u32_e32 v1, 1, v4
	s_delay_alu instid0(VALU_DEP_1) | instskip(NEXT) | instid1(VALU_DEP_1)
	v_and_b32_e32 v2, 0x1ffffffe, v1
	v_mad_u32 v0, v2, 36, v0
	v_cmp_ne_u32_e32 vcc_lo, v1, v2
	s_or_not1_b32 s21, vcc_lo, exec_lo
.LBB64_11:
	s_or_b32 exec_lo, exec_lo, s20
	s_delay_alu instid0(SALU_CYCLE_1)
	s_and_b32 exec_lo, exec_lo, s21
	s_cbranch_execz .LBB64_14
; %bb.12:
	s_delay_alu instid0(VALU_DEP_2) | instskip(NEXT) | instid1(VALU_DEP_1)
	v_add_nc_u32_e32 v1, s17, v0
	v_subrev_nc_u32_e32 v2, s3, v1
	v_ashrrev_i32_e32 v1, 31, v0
	s_mov_b32 s3, 0
	s_delay_alu instid0(VALU_DEP_2) | instskip(NEXT) | instid1(VALU_DEP_2)
	v_lshl_add_u32 v4, v2, 2, 0xb80
	v_lshl_add_u64 v[2:3], v[0:1], 2, s[14:15]
.LBB64_13:                              ; =>This Inner Loop Header: Depth=1
	global_load_b32 v1, v[2:3], off
	v_add_nc_u32_e32 v0, 36, v0
	s_wait_xcnt 0x0
	v_add_nc_u64_e32 v[2:3], 0x90, v[2:3]
	s_delay_alu instid0(VALU_DEP_2)
	v_cmp_lt_i32_e32 vcc_lo, s26, v0
	s_or_b32 s3, vcc_lo, s3
	s_wait_loadcnt 0x0
	v_subrev_nc_u32_e32 v1, s17, v1
	ds_store_b32 v4, v1
	v_add_nc_u32_e32 v4, 0x90, v4
	s_and_not1_b32 exec_lo, exec_lo, s3
	s_cbranch_execnz .LBB64_13
.LBB64_14:
	s_or_b32 exec_lo, exec_lo, s2
	s_load_b32 s28, s[0:1], 0x0
	s_wait_xcnt 0x0
	s_movk_i32 s0, 0x70
	v_mov_b32_e32 v0, 0
	v_mad_u32_u24 v19, v15, s0, 0x7e0
	v_mad_u32_u24 v17, v14, 6, v15
	s_cmp_ge_i32 s27, s26
	s_delay_alu instid0(VALU_DEP_3) | instskip(NEXT) | instid1(VALU_DEP_3)
	v_dual_mov_b32 v1, v0 :: v_dual_mov_b32 v2, v0
	v_lshl_add_u32 v18, v14, 4, v19
	v_mov_b32_e32 v3, v0
	ds_store_b128 v18, v[0:3]
	s_wait_dscnt 0x0
	s_cbranch_scc1 .LBB64_65
; %bb.15:
	s_movk_i32 s0, 0x540
	s_movk_i32 s1, 0x2a0
	s_wait_kmcnt 0x0
	s_cmp_lg_u32 s28, 0
	v_mad_u32_u24 v1, 0x70, v15, s0
	v_dual_lshlrev_b32 v2, 4, v14 :: v_dual_bitop2_b32 v4, v14, v15 bitop3:0x54
	v_mad_u32_u24 v22, 0x70, v15, s1
	v_mad_u32_u24 v3, v14, 6, v15
	s_cselect_b32 s29, -1, 0
	s_cmp_eq_u32 s28, 0
	v_mul_u32_u24_e32 v21, 6, v14
	s_cselect_b32 vcc_lo, -1, 0
	v_dual_add_nc_u32 v23, v1, v2 :: v_dual_add_nc_u32 v25, v22, v2
	v_mad_u32_u24 v24, 0x70, v15, v2
	v_mad_u32_u24 v26, 0x70, v14, s0
	v_cmp_ne_u32_e64 s0, 0, v4
	v_cndmask_b32_e32 v27, v3, v16, vcc_lo
	s_mov_b32 s2, s27
	s_branch .LBB64_19
.LBB64_16:                              ;   in Loop: Header=BB64_19 Depth=1
	s_wait_xcnt 0x0
	s_or_b32 exec_lo, exec_lo, s20
	v_mov_b64_e32 v[10:11], 0
	v_mov_b64_e32 v[8:9], 1.0
.LBB64_17:                              ;   in Loop: Header=BB64_19 Depth=1
	s_or_b32 exec_lo, exec_lo, s1
	ds_load_b128 v[28:31], v1
	ds_load_b128 v[32:35], v22 offset:80
	ds_load_b128 v[36:39], v0 offset:560
	;; [unrolled: 1-line block ×4, first 2 shown]
	v_mul_f64_e32 v[12:13], v[10:11], v[10:11]
	s_add_co_i32 s2, s2, 1
	s_delay_alu instid0(SALU_CYCLE_1) | instskip(SKIP_4) | instid1(VALU_DEP_3)
	s_cmp_ge_i32 s2, s26
	s_cselect_b32 s23, -1, 0
	s_wait_dscnt 0x2
	v_fmac_f64_e32 v[34:35], v[38:39], v[28:29]
	v_fmac_f64_e32 v[32:33], v[36:37], v[28:29]
	;; [unrolled: 1-line block ×3, first 2 shown]
	s_delay_alu instid0(VALU_DEP_3) | instskip(NEXT) | instid1(VALU_DEP_3)
	v_fma_f64 v[28:29], v[36:37], -v[30:31], v[34:35]
	v_fmac_f64_e32 v[32:33], v[38:39], v[30:31]
	s_delay_alu instid0(VALU_DEP_3) | instskip(SKIP_1) | instid1(VALU_DEP_3)
	v_div_scale_f64 v[48:49], null, v[12:13], v[12:13], 1.0
	s_wait_dscnt 0x0
	v_fmac_f64_e32 v[28:29], v[42:43], v[44:45]
	s_delay_alu instid0(VALU_DEP_3) | instskip(NEXT) | instid1(VALU_DEP_2)
	v_fmac_f64_e32 v[32:33], v[40:41], v[44:45]
	v_fma_f64 v[50:51], v[40:41], -v[46:47], v[28:29]
	s_delay_alu instid0(VALU_DEP_2)
	v_fmac_f64_e32 v[32:33], v[42:43], v[46:47]
	ds_load_b128 v[28:31], v0 offset:592
	ds_load_b128 v[34:37], v1 offset:32
	v_rcp_f64_e32 v[46:47], v[48:49]
	ds_load_b128 v[38:41], v0 offset:608
	ds_load_b128 v[42:45], v1 offset:48
	s_wait_dscnt 0x2
	v_fmac_f64_e32 v[50:51], v[30:31], v[34:35]
	v_fmac_f64_e32 v[32:33], v[28:29], v[34:35]
	v_fma_f64 v[34:35], -v[48:49], v[46:47], 1.0
	s_delay_alu instid0(VALU_DEP_3) | instskip(NEXT) | instid1(VALU_DEP_3)
	v_fma_f64 v[28:29], v[28:29], -v[36:37], v[50:51]
	v_fmac_f64_e32 v[32:33], v[30:31], v[36:37]
	s_delay_alu instid0(VALU_DEP_3) | instskip(SKIP_1) | instid1(VALU_DEP_3)
	v_fmac_f64_e32 v[46:47], v[46:47], v[34:35]
	s_wait_dscnt 0x0
	v_fmac_f64_e32 v[28:29], v[40:41], v[42:43]
	s_delay_alu instid0(VALU_DEP_3) | instskip(NEXT) | instid1(VALU_DEP_3)
	v_fmac_f64_e32 v[32:33], v[38:39], v[42:43]
	v_fma_f64 v[42:43], -v[48:49], v[46:47], 1.0
	s_delay_alu instid0(VALU_DEP_3) | instskip(NEXT) | instid1(VALU_DEP_3)
	v_fma_f64 v[38:39], v[38:39], -v[44:45], v[28:29]
	v_fmac_f64_e32 v[32:33], v[40:41], v[44:45]
	ds_load_b128 v[28:31], v1 offset:64
	ds_load_b128 v[34:37], v0 offset:624
	v_div_scale_f64 v[40:41], vcc_lo, 1.0, v[12:13], 1.0
	v_fmac_f64_e32 v[46:47], v[46:47], v[42:43]
	s_wait_dscnt 0x0
	v_fmac_f64_e32 v[38:39], v[36:37], v[28:29]
	v_fmac_f64_e32 v[32:33], v[34:35], v[28:29]
	s_delay_alu instid0(VALU_DEP_3) | instskip(NEXT) | instid1(VALU_DEP_3)
	v_mul_f64_e32 v[28:29], v[40:41], v[46:47]
	v_fma_f64 v[34:35], v[34:35], -v[30:31], v[38:39]
	s_delay_alu instid0(VALU_DEP_3) | instskip(NEXT) | instid1(VALU_DEP_3)
	v_fmac_f64_e32 v[32:33], v[36:37], v[30:31]
	v_fma_f64 v[30:31], -v[48:49], v[28:29], v[40:41]
	s_delay_alu instid0(VALU_DEP_3) | instskip(NEXT) | instid1(VALU_DEP_3)
	v_add_f64_e64 v[4:5], v[4:5], -v[34:35]
	v_add_f64_e64 v[2:3], v[2:3], -v[32:33]
	s_delay_alu instid0(VALU_DEP_3) | instskip(NEXT) | instid1(VALU_DEP_3)
	v_div_fmas_f64 v[28:29], v[30:31], v[46:47], v[28:29]
	v_mul_f64_e32 v[30:31], v[10:11], v[4:5]
	s_delay_alu instid0(VALU_DEP_3) | instskip(NEXT) | instid1(VALU_DEP_3)
	v_mul_f64_e64 v[10:11], v[10:11], -v[2:3]
	v_div_fixup_f64 v[12:13], v[28:29], v[12:13], 1.0
	s_delay_alu instid0(VALU_DEP_3) | instskip(NEXT) | instid1(VALU_DEP_3)
	v_fmac_f64_e32 v[30:31], v[2:3], v[8:9]
	v_fmac_f64_e32 v[10:11], v[4:5], v[8:9]
	s_delay_alu instid0(VALU_DEP_2) | instskip(NEXT) | instid1(VALU_DEP_2)
	v_mul_f64_e32 v[2:3], v[12:13], v[30:31]
	v_mul_f64_e32 v[4:5], v[12:13], v[10:11]
	ds_store_b128 v1, v[2:5] offset:80
	s_wait_storecnt_dscnt 0x0
	ds_load_b128 v[8:11], v26 offset:80
	ds_load_b128 v[28:31], v18
	s_wait_dscnt 0x0
	v_fmac_f64_e32 v[28:29], v[2:3], v[8:9]
	v_fmac_f64_e32 v[30:31], v[4:5], v[8:9]
	s_delay_alu instid0(VALU_DEP_2) | instskip(NEXT) | instid1(VALU_DEP_2)
	v_fmac_f64_e32 v[28:29], v[4:5], v[10:11]
	v_fma_f64 v[30:31], v[2:3], -v[10:11], v[30:31]
	ds_store_b128 v18, v[28:31]
	s_wait_dscnt 0x0
	ds_load_2addr_b64 v[2:5], v23 offset1:1
	s_wait_dscnt 0x0
	global_store_b128 v[6:7], v[2:5], off
	global_wb scope:SCOPE_DEV
	s_wait_storecnt 0x0
	global_inv scope:SCOPE_DEV
.LBB64_18:                              ;   in Loop: Header=BB64_19 Depth=1
	s_and_b32 vcc_lo, exec_lo, s23
	s_cbranch_vccnz .LBB64_65
.LBB64_19:                              ; =>This Loop Header: Depth=1
                                        ;     Child Loop BB64_22 Depth 2
                                        ;     Child Loop BB64_33 Depth 2
	;; [unrolled: 1-line block ×3, first 2 shown]
	s_ashr_i32 s3, s2, 31
	s_delay_alu instid0(SALU_CYCLE_1) | instskip(NEXT) | instid1(SALU_CYCLE_1)
	s_lshl_b64 s[20:21], s[2:3], 2
	s_add_nc_u64 s[20:21], s[14:15], s[20:21]
	s_load_b32 s3, s[20:21], 0x0
	s_wait_kmcnt 0x0
	s_sub_co_i32 s22, s3, s17
	s_delay_alu instid0(SALU_CYCLE_1)
	s_ashr_i32 s23, s22, 31
	s_wait_xcnt 0x0
	s_lshl_b64 s[20:21], s[22:23], 2
	s_mov_b32 s23, -1
	s_add_nc_u64 s[24:25], s[4:5], s[20:21]
	s_load_b32 s1, s[24:25], 0x0
	s_wait_kmcnt 0x0
	s_cmp_eq_u32 s1, -1
	s_cbranch_scc1 .LBB64_18
; %bb.20:                               ;   in Loop: Header=BB64_19 Depth=1
	v_mad_u32 v2, s2, 36, v27
	s_wait_xcnt 0x0
	s_add_nc_u64 s[24:25], s[12:13], s[20:21]
	ds_load_b32 v3, v0 offset:2944
	s_load_b32 s23, s[24:25], 0x0
	global_load_b128 v[4:7], v2, s[18:19] scale_offset
	s_wait_dscnt 0x0
	v_cmp_ge_i32_e32 vcc_lo, s22, v3
	s_wait_kmcnt 0x0
	s_sub_co_i32 s24, s23, s17
	s_delay_alu instid0(SALU_CYCLE_1) | instskip(SKIP_1) | instid1(SALU_CYCLE_1)
	s_cmp_le_i32 s24, s1
	s_cselect_b32 s23, -1, 0
	s_and_b32 s23, s23, vcc_lo
	s_delay_alu instid0(SALU_CYCLE_1)
	s_and_not1_b32 vcc_lo, exec_lo, s23
	s_mov_b32 s23, 0
	s_wait_loadcnt 0x0
	ds_store_2addr_b64 v23, v[4:5], v[6:7] offset1:1
	s_cbranch_vccnz .LBB64_32
; %bb.21:                               ;   in Loop: Header=BB64_19 Depth=1
	s_mov_b32 s30, 0
	s_mov_b32 s31, 0
.LBB64_22:                              ;   Parent Loop BB64_19 Depth=1
                                        ; =>  This Inner Loop Header: Depth=2
	s_ashr_i32 s25, s24, 31
	s_lshl_b32 s23, s31, 2
	s_lshl_b64 s[34:35], s[24:25], 2
	v_mov_b32_e32 v3, s23
	s_add_nc_u64 s[34:35], s[14:15], s[34:35]
                                        ; implicit-def: $sgpr33
	s_load_b32 s23, s[34:35], 0x0
	s_wait_xcnt 0x0
	s_mov_b32 s35, -1
	ds_load_b32 v3, v3 offset:2944
                                        ; implicit-def: $sgpr34
	s_wait_kmcnt 0x0
	s_sub_co_i32 s36, s23, s17
                                        ; implicit-def: $sgpr23
	s_wait_dscnt 0x0
	v_readfirstlane_b32 s25, v3
	v_cmp_ge_i32_e32 vcc_lo, s36, v3
	s_cbranch_vccz .LBB64_28
; %bb.23:                               ;   in Loop: Header=BB64_22 Depth=2
	s_cmp_le_i32 s36, s25
                                        ; implicit-def: $sgpr23
                                        ; implicit-def: $sgpr34
                                        ; implicit-def: $sgpr33
	s_cbranch_scc0 .LBB64_25
; %bb.24:                               ;   in Loop: Header=BB64_22 Depth=2
	s_add_co_i32 s23, s31, s27
	s_lshl_b32 s33, s30, 2
	s_mul_i32 s23, s23, 36
	s_mul_i32 s34, s24, 36
	s_delay_alu instid0(SALU_CYCLE_1)
	v_dual_mov_b32 v3, s23 :: v_dual_mov_b32 v4, s34
	v_add_nc_u32_e64 v5, 0x800, s33
	s_add_co_i32 s33, s31, 1
	s_add_co_i32 s34, s24, 1
	;; [unrolled: 1-line block ×3, first 2 shown]
	s_mov_b32 s35, 0
	ds_store_2addr_b32 v5, v4, v3 offset0:160 offset1:192
.LBB64_25:                              ;   in Loop: Header=BB64_22 Depth=2
	s_and_not1_b32 vcc_lo, exec_lo, s35
	s_cbranch_vccnz .LBB64_27
; %bb.26:                               ;   in Loop: Header=BB64_22 Depth=2
	s_add_co_i32 s33, s31, 1
	s_mov_b32 s23, s30
	s_mov_b32 s34, s24
.LBB64_27:                              ;   in Loop: Header=BB64_22 Depth=2
	s_mov_b32 s35, 0
.LBB64_28:                              ;   in Loop: Header=BB64_22 Depth=2
	s_delay_alu instid0(SALU_CYCLE_1)
	s_and_not1_b32 vcc_lo, exec_lo, s35
	s_cbranch_vccnz .LBB64_30
; %bb.29:                               ;   in Loop: Header=BB64_22 Depth=2
	s_add_co_i32 s34, s24, 1
	s_mov_b32 s33, s31
	s_mov_b32 s23, s30
.LBB64_30:                              ;   in Loop: Header=BB64_22 Depth=2
	s_cmp_le_i32 s34, s1
	s_cselect_b32 s24, -1, 0
	s_cmp_le_i32 s25, s22
	s_cselect_b32 s25, -1, 0
	s_delay_alu instid0(SALU_CYCLE_1) | instskip(NEXT) | instid1(SALU_CYCLE_1)
	s_and_b32 s24, s24, s25
	s_and_b32 vcc_lo, exec_lo, s24
	s_cbranch_vccz .LBB64_32
; %bb.31:                               ;   in Loop: Header=BB64_22 Depth=2
	s_mov_b32 s30, s23
	s_mov_b32 s24, s34
	;; [unrolled: 1-line block ×3, first 2 shown]
	s_branch .LBB64_22
.LBB64_32:                              ;   in Loop: Header=BB64_19 Depth=1
	v_ashrrev_i32_e32 v3, 31, v2
	s_add_nc_u64 s[20:21], s[6:7], s[20:21]
	s_wait_dscnt 0x0
	s_delay_alu instid0(VALU_DEP_1)
	v_lshl_add_u64 v[6:7], v[2:3], 4, s[18:19]
.LBB64_33:                              ;   Parent Loop BB64_19 Depth=1
                                        ; =>  This Inner Loop Header: Depth=2
	global_load_b32 v2, v0, s[20:21] scope:SCOPE_DEV
	s_wait_loadcnt 0x0
	v_cmp_eq_u32_e32 vcc_lo, 0, v2
	s_cbranch_vccnz .LBB64_33
; %bb.34:                               ;   in Loop: Header=BB64_19 Depth=1
	v_mad_u32 v2, s1, 36, v27
	global_inv scope:SCOPE_DEV
	v_mov_b64_e32 v[4:5], 0
	s_cmp_lt_i32 s23, 2
	global_load_b128 v[8:11], v2, s[18:19] scale_offset
	s_wait_xcnt 0x0
	v_mov_b64_e32 v[2:3], 0
	s_wait_loadcnt 0x0
	ds_store_2addr_b64 v24, v[8:9], v[10:11] offset1:1
	s_wait_dscnt 0x0
	s_cbranch_scc1 .LBB64_42
; %bb.35:                               ;   in Loop: Header=BB64_19 Depth=1
	v_mov_b64_e32 v[10:11], 0
	v_mov_b64_e32 v[8:9], 0
	s_add_co_i32 s1, s23, -1
	s_movk_i32 s20, 0xa80
.LBB64_36:                              ;   Parent Loop BB64_19 Depth=1
                                        ; =>  This Inner Loop Header: Depth=2
	s_delay_alu instid0(SALU_CYCLE_1)
	v_mov_b32_e32 v2, s20
	s_and_b32 vcc_lo, exec_lo, s29
	s_mov_b32 s21, -1
	s_wait_dscnt 0x0
	ds_load_2addr_b32 v[12:13], v2 offset1:32
                                        ; implicit-def: $vgpr4_vgpr5
	s_cbranch_vccz .LBB64_39
; %bb.37:                               ;   in Loop: Header=BB64_36 Depth=2
	s_wait_dscnt 0x0
	v_dual_add_nc_u32 v2, v12, v14 :: v_dual_add_nc_u32 v3, v13, v15
	s_clause 0x1
	global_load_b128 v[28:31], v2, s[18:19] scale_offset
	global_load_b128 v[32:35], v3, s[18:19] scale_offset
	v_dual_add_nc_u32 v4, 6, v2 :: v_dual_add_nc_u32 v5, 6, v3
	s_clause 0x1
	global_load_b128 v[36:39], v4, s[18:19] scale_offset
	global_load_b128 v[40:43], v5, s[18:19] scale_offset
	s_wait_xcnt 0x0
	v_dual_add_nc_u32 v4, 12, v2 :: v_dual_add_nc_u32 v5, 12, v3
	s_clause 0x1
	global_load_b128 v[44:47], v4, s[18:19] scale_offset
	global_load_b128 v[48:51], v5, s[18:19] scale_offset
	s_wait_xcnt 0x0
	;; [unrolled: 5-line block ×3, first 2 shown]
	v_dual_add_nc_u32 v4, 24, v2 :: v_dual_add_nc_u32 v5, 24, v3
	s_clause 0x1
	global_load_b128 v[60:63], v4, s[18:19] scale_offset
	global_load_b128 v[64:67], v5, s[18:19] scale_offset
	v_dual_add_nc_u32 v2, 30, v2 :: v_dual_add_nc_u32 v3, 30, v3
	s_clause 0x1
	global_load_b128 v[68:71], v2, s[18:19] scale_offset
	global_load_b128 v[72:75], v3, s[18:19] scale_offset
	s_wait_loadcnt 0xa
	s_wait_xcnt 0x0
	v_fma_f64 v[2:3], v[28:29], v[32:33], v[8:9]
	v_fma_f64 v[4:5], v[30:31], v[32:33], v[10:11]
	s_delay_alu instid0(VALU_DEP_2) | instskip(NEXT) | instid1(VALU_DEP_2)
	v_fmac_f64_e32 v[2:3], v[30:31], v[34:35]
	v_fma_f64 v[4:5], v[28:29], -v[34:35], v[4:5]
	s_wait_loadcnt 0x8
	s_delay_alu instid0(VALU_DEP_2) | instskip(NEXT) | instid1(VALU_DEP_2)
	v_fmac_f64_e32 v[2:3], v[36:37], v[40:41]
	v_fmac_f64_e32 v[4:5], v[38:39], v[40:41]
	s_delay_alu instid0(VALU_DEP_2) | instskip(NEXT) | instid1(VALU_DEP_2)
	v_fmac_f64_e32 v[2:3], v[38:39], v[42:43]
	v_fma_f64 v[4:5], v[36:37], -v[42:43], v[4:5]
	s_wait_loadcnt 0x6
	s_delay_alu instid0(VALU_DEP_2) | instskip(NEXT) | instid1(VALU_DEP_2)
	v_fmac_f64_e32 v[2:3], v[44:45], v[48:49]
	v_fmac_f64_e32 v[4:5], v[46:47], v[48:49]
	;; [unrolled: 7-line block ×5, first 2 shown]
	s_delay_alu instid0(VALU_DEP_2) | instskip(NEXT) | instid1(VALU_DEP_2)
	v_fmac_f64_e32 v[2:3], v[70:71], v[74:75]
	v_fma_f64 v[4:5], v[68:69], -v[74:75], v[4:5]
	s_cbranch_execz .LBB64_40
.LBB64_38:                              ;   in Loop: Header=BB64_36 Depth=2
	s_add_co_i32 s1, s1, -1
	s_add_co_i32 s20, s20, 4
	s_cmp_eq_u32 s1, 0
	s_cbranch_scc0 .LBB64_41
	s_branch .LBB64_42
.LBB64_39:                              ;   in Loop: Header=BB64_36 Depth=2
	s_and_not1_b32 vcc_lo, exec_lo, s21
	s_cbranch_vccnz .LBB64_38
.LBB64_40:                              ;   in Loop: Header=BB64_36 Depth=2
	s_wait_dscnt 0x0
	v_dual_add_nc_u32 v13, v13, v20 :: v_dual_add_nc_u32 v12, v12, v21
	s_clause 0xb
	global_load_b128 v[2:5], v13, s[18:19] scale_offset
	global_load_b128 v[28:31], v12, s[18:19] scale_offset
	global_load_b128 v[32:35], v12, s[18:19] offset:16 scale_offset
	global_load_b128 v[36:39], v13, s[18:19] offset:16 scale_offset
	;; [unrolled: 1-line block ×10, first 2 shown]
	s_wait_loadcnt 0xa
	v_fmac_f64_e32 v[8:9], v[28:29], v[2:3]
	v_fmac_f64_e32 v[10:11], v[30:31], v[2:3]
	s_delay_alu instid0(VALU_DEP_2) | instskip(NEXT) | instid1(VALU_DEP_2)
	v_fmac_f64_e32 v[8:9], v[30:31], v[4:5]
	v_fma_f64 v[2:3], v[28:29], -v[4:5], v[10:11]
	s_wait_loadcnt 0x8
	s_delay_alu instid0(VALU_DEP_2) | instskip(NEXT) | instid1(VALU_DEP_2)
	v_fmac_f64_e32 v[8:9], v[32:33], v[36:37]
	v_fmac_f64_e32 v[2:3], v[34:35], v[36:37]
	s_delay_alu instid0(VALU_DEP_2) | instskip(NEXT) | instid1(VALU_DEP_2)
	v_fmac_f64_e32 v[8:9], v[34:35], v[38:39]
	v_fma_f64 v[2:3], v[32:33], -v[38:39], v[2:3]
	s_wait_loadcnt 0x6
	s_delay_alu instid0(VALU_DEP_2) | instskip(NEXT) | instid1(VALU_DEP_2)
	;; [unrolled: 7-line block ×5, first 2 shown]
	v_fmac_f64_e32 v[8:9], v[64:65], v[68:69]
	v_fmac_f64_e32 v[2:3], v[66:67], v[68:69]
	s_delay_alu instid0(VALU_DEP_2) | instskip(NEXT) | instid1(VALU_DEP_2)
	v_fmac_f64_e32 v[8:9], v[66:67], v[70:71]
	v_fma_f64 v[4:5], v[64:65], -v[70:71], v[2:3]
	s_delay_alu instid0(VALU_DEP_2)
	v_mov_b64_e32 v[2:3], v[8:9]
	s_add_co_i32 s1, s1, -1
	s_add_co_i32 s20, s20, 4
	s_cmp_eq_u32 s1, 0
	s_cbranch_scc1 .LBB64_42
.LBB64_41:                              ;   in Loop: Header=BB64_36 Depth=2
	s_delay_alu instid0(VALU_DEP_1) | instskip(NEXT) | instid1(VALU_DEP_2)
	v_mov_b64_e32 v[10:11], v[4:5]
	v_mov_b64_e32 v[8:9], v[2:3]
	s_branch .LBB64_36
.LBB64_42:                              ;   in Loop: Header=BB64_19 Depth=1
	ds_store_b128 v25, v[2:5]
	s_wait_dscnt 0x0
	ds_load_b128 v[8:11], v0
	ds_load_b128 v[2:5], v1
	s_wait_dscnt 0x1
	v_cmp_neq_f64_e32 vcc_lo, 0, v[8:9]
	v_cmp_neq_f64_e64 s1, 0, v[10:11]
	s_or_b32 vcc_lo, vcc_lo, s1
	v_cndmask_b32_e32 v9, 0x3ff00000, v9, vcc_lo
	v_dual_cndmask_b32 v8, 0, v8 :: v_dual_cndmask_b32 v11, 0, v11
	v_cndmask_b32_e32 v10, 0, v10, vcc_lo
	s_nor_b32 s20, vcc_lo, s0
	s_delay_alu instid0(SALU_CYCLE_1)
	s_and_saveexec_b32 s1, s20
	s_cbranch_execz .LBB64_46
; %bb.43:                               ;   in Loop: Header=BB64_19 Depth=1
	v_mbcnt_lo_u32_b32 v8, exec_lo, 0
	s_mov_b32 s20, exec_lo
	s_delay_alu instid0(VALU_DEP_1)
	v_cmpx_eq_u32_e32 0, v8
	s_cbranch_execz .LBB64_45
; %bb.44:                               ;   in Loop: Header=BB64_19 Depth=1
	v_mov_b32_e32 v8, s3
	global_atomic_min_i32 v0, v8, s[10:11] scope:SCOPE_DEV
.LBB64_45:                              ;   in Loop: Header=BB64_19 Depth=1
	s_wait_xcnt 0x0
	s_or_b32 exec_lo, exec_lo, s20
	v_mov_b64_e32 v[10:11], 0
	v_mov_b64_e32 v[8:9], 1.0
.LBB64_46:                              ;   in Loop: Header=BB64_19 Depth=1
	s_or_b32 exec_lo, exec_lo, s1
	s_delay_alu instid0(VALU_DEP_1) | instskip(NEXT) | instid1(VALU_DEP_1)
	v_mul_f64_e32 v[12:13], v[10:11], v[10:11]
	v_fmac_f64_e32 v[12:13], v[8:9], v[8:9]
	s_delay_alu instid0(VALU_DEP_1) | instskip(SKIP_1) | instid1(VALU_DEP_2)
	v_div_scale_f64 v[32:33], null, v[12:13], v[12:13], 1.0
	v_div_scale_f64 v[36:37], vcc_lo, 1.0, v[12:13], 1.0
	v_rcp_f64_e32 v[34:35], v[32:33]
	v_nop
	s_delay_alu instid0(TRANS32_DEP_1) | instskip(NEXT) | instid1(VALU_DEP_1)
	v_fma_f64 v[28:29], -v[32:33], v[34:35], 1.0
	v_fmac_f64_e32 v[34:35], v[34:35], v[28:29]
	s_delay_alu instid0(VALU_DEP_1) | instskip(NEXT) | instid1(VALU_DEP_1)
	v_fma_f64 v[28:29], -v[32:33], v[34:35], 1.0
	v_fmac_f64_e32 v[34:35], v[34:35], v[28:29]
	ds_load_b128 v[28:31], v22
	s_wait_dscnt 0x0
	v_add_f64_e64 v[4:5], v[4:5], -v[30:31]
	v_add_f64_e64 v[2:3], v[2:3], -v[28:29]
	v_mul_f64_e32 v[38:39], v[36:37], v[34:35]
	s_delay_alu instid0(VALU_DEP_3) | instskip(NEXT) | instid1(VALU_DEP_3)
	v_mul_f64_e32 v[28:29], v[10:11], v[4:5]
	v_mul_f64_e64 v[10:11], v[10:11], -v[2:3]
	s_delay_alu instid0(VALU_DEP_3) | instskip(NEXT) | instid1(VALU_DEP_3)
	v_fma_f64 v[30:31], -v[32:33], v[38:39], v[36:37]
	v_fmac_f64_e32 v[28:29], v[2:3], v[8:9]
	s_delay_alu instid0(VALU_DEP_3) | instskip(NEXT) | instid1(VALU_DEP_3)
	v_fmac_f64_e32 v[10:11], v[4:5], v[8:9]
	v_div_fmas_f64 v[30:31], v[30:31], v[34:35], v[38:39]
	s_delay_alu instid0(VALU_DEP_1) | instskip(NEXT) | instid1(VALU_DEP_1)
	v_div_fixup_f64 v[12:13], v[30:31], v[12:13], 1.0
	v_mul_f64_e32 v[2:3], v[12:13], v[28:29]
	s_delay_alu instid0(VALU_DEP_4)
	v_mul_f64_e32 v[4:5], v[12:13], v[10:11]
	ds_store_b128 v1, v[2:5]
	s_wait_storecnt_dscnt 0x0
	ds_load_b128 v[8:11], v26
	ds_load_b128 v[28:31], v18
	s_wait_dscnt 0x0
	v_fmac_f64_e32 v[28:29], v[2:3], v[8:9]
	v_fmac_f64_e32 v[30:31], v[4:5], v[8:9]
	s_delay_alu instid0(VALU_DEP_2) | instskip(NEXT) | instid1(VALU_DEP_2)
	v_fmac_f64_e32 v[28:29], v[4:5], v[10:11]
	v_fma_f64 v[30:31], v[2:3], -v[10:11], v[30:31]
	ds_store_b128 v18, v[28:31]
	s_wait_dscnt 0x0
	ds_load_b128 v[8:11], v0 offset:128
	ds_load_b128 v[2:5], v1 offset:16
	s_wait_dscnt 0x1
	v_cmp_neq_f64_e32 vcc_lo, 0, v[8:9]
	v_cmp_neq_f64_e64 s1, 0, v[10:11]
	s_or_b32 vcc_lo, vcc_lo, s1
	v_cndmask_b32_e32 v9, 0x3ff00000, v9, vcc_lo
	v_dual_cndmask_b32 v8, 0, v8 :: v_dual_cndmask_b32 v11, 0, v11
	v_cndmask_b32_e32 v10, 0, v10, vcc_lo
	s_nor_b32 s20, vcc_lo, s0
	s_delay_alu instid0(SALU_CYCLE_1)
	s_and_saveexec_b32 s1, s20
	s_cbranch_execz .LBB64_50
; %bb.47:                               ;   in Loop: Header=BB64_19 Depth=1
	v_mbcnt_lo_u32_b32 v8, exec_lo, 0
	s_mov_b32 s20, exec_lo
	s_delay_alu instid0(VALU_DEP_1)
	v_cmpx_eq_u32_e32 0, v8
	s_cbranch_execz .LBB64_49
; %bb.48:                               ;   in Loop: Header=BB64_19 Depth=1
	v_mov_b32_e32 v8, s3
	global_atomic_min_i32 v0, v8, s[10:11] scope:SCOPE_DEV
.LBB64_49:                              ;   in Loop: Header=BB64_19 Depth=1
	s_wait_xcnt 0x0
	s_or_b32 exec_lo, exec_lo, s20
	v_mov_b64_e32 v[10:11], 0
	v_mov_b64_e32 v[8:9], 1.0
.LBB64_50:                              ;   in Loop: Header=BB64_19 Depth=1
	s_or_b32 exec_lo, exec_lo, s1
	s_delay_alu instid0(VALU_DEP_1) | instskip(NEXT) | instid1(VALU_DEP_1)
	v_mul_f64_e32 v[12:13], v[10:11], v[10:11]
	v_fmac_f64_e32 v[12:13], v[8:9], v[8:9]
	s_delay_alu instid0(VALU_DEP_1) | instskip(SKIP_1) | instid1(VALU_DEP_2)
	v_div_scale_f64 v[40:41], null, v[12:13], v[12:13], 1.0
	v_div_scale_f64 v[46:47], vcc_lo, 1.0, v[12:13], 1.0
	v_rcp_f64_e32 v[42:43], v[40:41]
	v_nop
	s_delay_alu instid0(TRANS32_DEP_1) | instskip(NEXT) | instid1(VALU_DEP_1)
	v_fma_f64 v[28:29], -v[40:41], v[42:43], 1.0
	v_fmac_f64_e32 v[42:43], v[42:43], v[28:29]
	ds_load_b128 v[28:31], v0 offset:112
	ds_load_b128 v[32:35], v1
	ds_load_b128 v[36:39], v22 offset:16
	s_wait_dscnt 0x0
	v_fmac_f64_e32 v[38:39], v[30:31], v[32:33]
	v_fmac_f64_e32 v[36:37], v[28:29], v[32:33]
	v_fma_f64 v[44:45], -v[40:41], v[42:43], 1.0
	s_delay_alu instid0(VALU_DEP_3) | instskip(NEXT) | instid1(VALU_DEP_3)
	v_fma_f64 v[28:29], v[28:29], -v[34:35], v[38:39]
	v_fmac_f64_e32 v[36:37], v[30:31], v[34:35]
	s_delay_alu instid0(VALU_DEP_3) | instskip(NEXT) | instid1(VALU_DEP_3)
	v_fmac_f64_e32 v[42:43], v[42:43], v[44:45]
	v_add_f64_e64 v[4:5], v[4:5], -v[28:29]
	s_delay_alu instid0(VALU_DEP_3) | instskip(NEXT) | instid1(VALU_DEP_3)
	v_add_f64_e64 v[2:3], v[2:3], -v[36:37]
	v_mul_f64_e32 v[32:33], v[46:47], v[42:43]
	s_delay_alu instid0(VALU_DEP_3) | instskip(NEXT) | instid1(VALU_DEP_3)
	v_mul_f64_e32 v[30:31], v[10:11], v[4:5]
	v_mul_f64_e64 v[10:11], v[10:11], -v[2:3]
	s_delay_alu instid0(VALU_DEP_3) | instskip(NEXT) | instid1(VALU_DEP_3)
	v_fma_f64 v[28:29], -v[40:41], v[32:33], v[46:47]
	v_fmac_f64_e32 v[30:31], v[2:3], v[8:9]
	s_delay_alu instid0(VALU_DEP_3) | instskip(NEXT) | instid1(VALU_DEP_3)
	v_fmac_f64_e32 v[10:11], v[4:5], v[8:9]
	v_div_fmas_f64 v[28:29], v[28:29], v[42:43], v[32:33]
	s_delay_alu instid0(VALU_DEP_1) | instskip(NEXT) | instid1(VALU_DEP_1)
	v_div_fixup_f64 v[12:13], v[28:29], v[12:13], 1.0
	v_mul_f64_e32 v[2:3], v[12:13], v[30:31]
	s_delay_alu instid0(VALU_DEP_4)
	v_mul_f64_e32 v[4:5], v[12:13], v[10:11]
	ds_store_b128 v1, v[2:5] offset:16
	s_wait_storecnt_dscnt 0x0
	ds_load_b128 v[8:11], v26 offset:16
	ds_load_b128 v[28:31], v18
	s_wait_dscnt 0x0
	v_fmac_f64_e32 v[28:29], v[2:3], v[8:9]
	v_fmac_f64_e32 v[30:31], v[4:5], v[8:9]
	s_delay_alu instid0(VALU_DEP_2) | instskip(NEXT) | instid1(VALU_DEP_2)
	v_fmac_f64_e32 v[28:29], v[4:5], v[10:11]
	v_fma_f64 v[30:31], v[2:3], -v[10:11], v[30:31]
	ds_store_b128 v18, v[28:31]
	s_wait_dscnt 0x0
	ds_load_b128 v[8:11], v0 offset:256
	ds_load_b128 v[2:5], v1 offset:32
	s_wait_dscnt 0x1
	v_cmp_neq_f64_e32 vcc_lo, 0, v[8:9]
	v_cmp_neq_f64_e64 s1, 0, v[10:11]
	s_or_b32 vcc_lo, vcc_lo, s1
	v_cndmask_b32_e32 v9, 0x3ff00000, v9, vcc_lo
	v_dual_cndmask_b32 v8, 0, v8 :: v_dual_cndmask_b32 v11, 0, v11
	v_cndmask_b32_e32 v10, 0, v10, vcc_lo
	s_nor_b32 s20, vcc_lo, s0
	s_delay_alu instid0(SALU_CYCLE_1)
	s_and_saveexec_b32 s1, s20
	s_cbranch_execz .LBB64_54
; %bb.51:                               ;   in Loop: Header=BB64_19 Depth=1
	v_mbcnt_lo_u32_b32 v8, exec_lo, 0
	s_mov_b32 s20, exec_lo
	s_delay_alu instid0(VALU_DEP_1)
	v_cmpx_eq_u32_e32 0, v8
	s_cbranch_execz .LBB64_53
; %bb.52:                               ;   in Loop: Header=BB64_19 Depth=1
	v_mov_b32_e32 v8, s3
	global_atomic_min_i32 v0, v8, s[10:11] scope:SCOPE_DEV
.LBB64_53:                              ;   in Loop: Header=BB64_19 Depth=1
	s_wait_xcnt 0x0
	s_or_b32 exec_lo, exec_lo, s20
	v_mov_b64_e32 v[10:11], 0
	v_mov_b64_e32 v[8:9], 1.0
.LBB64_54:                              ;   in Loop: Header=BB64_19 Depth=1
	s_or_b32 exec_lo, exec_lo, s1
	s_delay_alu instid0(VALU_DEP_1)
	v_mul_f64_e32 v[12:13], v[10:11], v[10:11]
	ds_load_b128 v[28:31], v0 offset:224
	ds_load_b128 v[32:35], v22 offset:32
	ds_load_b128 v[36:39], v1
	ds_load_b128 v[40:43], v1 offset:16
	s_wait_dscnt 0x1
	v_fmac_f64_e32 v[34:35], v[30:31], v[36:37]
	v_fmac_f64_e32 v[32:33], v[28:29], v[36:37]
	;; [unrolled: 1-line block ×3, first 2 shown]
	s_delay_alu instid0(VALU_DEP_3) | instskip(NEXT) | instid1(VALU_DEP_3)
	v_fma_f64 v[34:35], v[28:29], -v[38:39], v[34:35]
	v_fmac_f64_e32 v[32:33], v[30:31], v[38:39]
	ds_load_b128 v[28:31], v0 offset:240
	v_div_scale_f64 v[44:45], null, v[12:13], v[12:13], 1.0
	v_div_scale_f64 v[38:39], vcc_lo, 1.0, v[12:13], 1.0
	s_wait_dscnt 0x0
	v_fmac_f64_e32 v[34:35], v[30:31], v[40:41]
	v_fmac_f64_e32 v[32:33], v[28:29], v[40:41]
	s_delay_alu instid0(VALU_DEP_4) | instskip(NEXT) | instid1(VALU_DEP_2)
	v_rcp_f64_e32 v[46:47], v[44:45]
	v_fma_f64 v[28:29], v[28:29], -v[42:43], v[34:35]
	s_delay_alu instid0(VALU_DEP_2) | instskip(NEXT) | instid1(TRANS32_DEP_1)
	v_fmac_f64_e32 v[32:33], v[30:31], v[42:43]
	v_fma_f64 v[48:49], -v[44:45], v[46:47], 1.0
	s_delay_alu instid0(VALU_DEP_3) | instskip(NEXT) | instid1(VALU_DEP_3)
	v_add_f64_e64 v[4:5], v[4:5], -v[28:29]
	v_add_f64_e64 v[2:3], v[2:3], -v[32:33]
	s_delay_alu instid0(VALU_DEP_3) | instskip(NEXT) | instid1(VALU_DEP_3)
	v_fmac_f64_e32 v[46:47], v[46:47], v[48:49]
	v_mul_f64_e32 v[30:31], v[10:11], v[4:5]
	s_delay_alu instid0(VALU_DEP_3) | instskip(NEXT) | instid1(VALU_DEP_3)
	v_mul_f64_e64 v[10:11], v[10:11], -v[2:3]
	v_fma_f64 v[36:37], -v[44:45], v[46:47], 1.0
	s_delay_alu instid0(VALU_DEP_3) | instskip(NEXT) | instid1(VALU_DEP_3)
	v_fmac_f64_e32 v[30:31], v[2:3], v[8:9]
	v_fmac_f64_e32 v[10:11], v[4:5], v[8:9]
	s_delay_alu instid0(VALU_DEP_3) | instskip(NEXT) | instid1(VALU_DEP_1)
	v_fmac_f64_e32 v[46:47], v[46:47], v[36:37]
	v_mul_f64_e32 v[34:35], v[38:39], v[46:47]
	s_delay_alu instid0(VALU_DEP_1) | instskip(NEXT) | instid1(VALU_DEP_1)
	v_fma_f64 v[28:29], -v[44:45], v[34:35], v[38:39]
	v_div_fmas_f64 v[28:29], v[28:29], v[46:47], v[34:35]
	s_delay_alu instid0(VALU_DEP_1) | instskip(NEXT) | instid1(VALU_DEP_1)
	v_div_fixup_f64 v[12:13], v[28:29], v[12:13], 1.0
	v_mul_f64_e32 v[2:3], v[12:13], v[30:31]
	v_mul_f64_e32 v[4:5], v[12:13], v[10:11]
	ds_store_b128 v1, v[2:5] offset:32
	s_wait_storecnt_dscnt 0x0
	ds_load_b128 v[8:11], v26 offset:32
	ds_load_b128 v[28:31], v18
	s_wait_dscnt 0x0
	v_fmac_f64_e32 v[28:29], v[2:3], v[8:9]
	v_fmac_f64_e32 v[30:31], v[4:5], v[8:9]
	s_delay_alu instid0(VALU_DEP_2) | instskip(NEXT) | instid1(VALU_DEP_2)
	v_fmac_f64_e32 v[28:29], v[4:5], v[10:11]
	v_fma_f64 v[30:31], v[2:3], -v[10:11], v[30:31]
	ds_store_b128 v18, v[28:31]
	s_wait_dscnt 0x0
	ds_load_b128 v[8:11], v0 offset:384
	ds_load_b128 v[2:5], v1 offset:48
	s_wait_dscnt 0x1
	v_cmp_neq_f64_e32 vcc_lo, 0, v[8:9]
	v_cmp_neq_f64_e64 s1, 0, v[10:11]
	s_or_b32 vcc_lo, vcc_lo, s1
	v_cndmask_b32_e32 v9, 0x3ff00000, v9, vcc_lo
	v_dual_cndmask_b32 v8, 0, v8 :: v_dual_cndmask_b32 v11, 0, v11
	v_cndmask_b32_e32 v10, 0, v10, vcc_lo
	s_nor_b32 s20, vcc_lo, s0
	s_delay_alu instid0(SALU_CYCLE_1)
	s_and_saveexec_b32 s1, s20
	s_cbranch_execz .LBB64_58
; %bb.55:                               ;   in Loop: Header=BB64_19 Depth=1
	v_mbcnt_lo_u32_b32 v8, exec_lo, 0
	s_mov_b32 s20, exec_lo
	s_delay_alu instid0(VALU_DEP_1)
	v_cmpx_eq_u32_e32 0, v8
	s_cbranch_execz .LBB64_57
; %bb.56:                               ;   in Loop: Header=BB64_19 Depth=1
	v_mov_b32_e32 v8, s3
	global_atomic_min_i32 v0, v8, s[10:11] scope:SCOPE_DEV
.LBB64_57:                              ;   in Loop: Header=BB64_19 Depth=1
	s_wait_xcnt 0x0
	s_or_b32 exec_lo, exec_lo, s20
	v_mov_b64_e32 v[10:11], 0
	v_mov_b64_e32 v[8:9], 1.0
.LBB64_58:                              ;   in Loop: Header=BB64_19 Depth=1
	s_or_b32 exec_lo, exec_lo, s1
	s_delay_alu instid0(VALU_DEP_1)
	v_mul_f64_e32 v[12:13], v[10:11], v[10:11]
	ds_load_b128 v[28:31], v0 offset:336
	ds_load_b128 v[32:35], v1
	ds_load_b128 v[36:39], v22 offset:48
	ds_load_b128 v[40:43], v0 offset:352
	;; [unrolled: 1-line block ×3, first 2 shown]
	s_wait_dscnt 0x2
	v_fmac_f64_e32 v[38:39], v[30:31], v[32:33]
	v_fmac_f64_e32 v[36:37], v[28:29], v[32:33]
	;; [unrolled: 1-line block ×3, first 2 shown]
	s_delay_alu instid0(VALU_DEP_3) | instskip(NEXT) | instid1(VALU_DEP_3)
	v_fma_f64 v[28:29], v[28:29], -v[34:35], v[38:39]
	v_fmac_f64_e32 v[36:37], v[30:31], v[34:35]
	s_delay_alu instid0(VALU_DEP_3) | instskip(SKIP_1) | instid1(VALU_DEP_3)
	v_div_scale_f64 v[48:49], null, v[12:13], v[12:13], 1.0
	s_wait_dscnt 0x0
	v_fmac_f64_e32 v[28:29], v[42:43], v[44:45]
	s_delay_alu instid0(VALU_DEP_3) | instskip(NEXT) | instid1(VALU_DEP_3)
	v_fmac_f64_e32 v[36:37], v[40:41], v[44:45]
	v_rcp_f64_e32 v[50:51], v[48:49]
	s_delay_alu instid0(VALU_DEP_2) | instskip(NEXT) | instid1(VALU_DEP_2)
	v_fma_f64 v[38:39], v[40:41], -v[46:47], v[28:29]
	v_fmac_f64_e32 v[36:37], v[42:43], v[46:47]
	v_div_scale_f64 v[42:43], vcc_lo, 1.0, v[12:13], 1.0
	s_delay_alu instid0(TRANS32_DEP_1) | instskip(NEXT) | instid1(VALU_DEP_1)
	v_fma_f64 v[32:33], -v[48:49], v[50:51], 1.0
	v_fmac_f64_e32 v[50:51], v[50:51], v[32:33]
	ds_load_b128 v[28:31], v1 offset:32
	ds_load_b128 v[32:35], v0 offset:368
	s_wait_dscnt 0x0
	v_fmac_f64_e32 v[38:39], v[34:35], v[28:29]
	v_fmac_f64_e32 v[36:37], v[32:33], v[28:29]
	v_fma_f64 v[40:41], -v[48:49], v[50:51], 1.0
	s_delay_alu instid0(VALU_DEP_3) | instskip(NEXT) | instid1(VALU_DEP_3)
	v_fma_f64 v[28:29], v[32:33], -v[30:31], v[38:39]
	v_fmac_f64_e32 v[36:37], v[34:35], v[30:31]
	s_delay_alu instid0(VALU_DEP_3) | instskip(NEXT) | instid1(VALU_DEP_3)
	v_fmac_f64_e32 v[50:51], v[50:51], v[40:41]
	v_add_f64_e64 v[4:5], v[4:5], -v[28:29]
	s_delay_alu instid0(VALU_DEP_3) | instskip(NEXT) | instid1(VALU_DEP_3)
	v_add_f64_e64 v[2:3], v[2:3], -v[36:37]
	v_mul_f64_e32 v[32:33], v[42:43], v[50:51]
	s_delay_alu instid0(VALU_DEP_3) | instskip(NEXT) | instid1(VALU_DEP_3)
	v_mul_f64_e32 v[30:31], v[10:11], v[4:5]
	v_mul_f64_e64 v[10:11], v[10:11], -v[2:3]
	s_delay_alu instid0(VALU_DEP_3) | instskip(NEXT) | instid1(VALU_DEP_3)
	v_fma_f64 v[28:29], -v[48:49], v[32:33], v[42:43]
	v_fmac_f64_e32 v[30:31], v[2:3], v[8:9]
	s_delay_alu instid0(VALU_DEP_3) | instskip(NEXT) | instid1(VALU_DEP_3)
	v_fmac_f64_e32 v[10:11], v[4:5], v[8:9]
	v_div_fmas_f64 v[28:29], v[28:29], v[50:51], v[32:33]
	s_delay_alu instid0(VALU_DEP_1) | instskip(NEXT) | instid1(VALU_DEP_1)
	v_div_fixup_f64 v[12:13], v[28:29], v[12:13], 1.0
	v_mul_f64_e32 v[2:3], v[12:13], v[30:31]
	s_delay_alu instid0(VALU_DEP_4)
	v_mul_f64_e32 v[4:5], v[12:13], v[10:11]
	ds_store_b128 v1, v[2:5] offset:48
	s_wait_storecnt_dscnt 0x0
	ds_load_b128 v[8:11], v26 offset:48
	ds_load_b128 v[28:31], v18
	s_wait_dscnt 0x0
	v_fmac_f64_e32 v[28:29], v[2:3], v[8:9]
	v_fmac_f64_e32 v[30:31], v[4:5], v[8:9]
	s_delay_alu instid0(VALU_DEP_2) | instskip(NEXT) | instid1(VALU_DEP_2)
	v_fmac_f64_e32 v[28:29], v[4:5], v[10:11]
	v_fma_f64 v[30:31], v[2:3], -v[10:11], v[30:31]
	ds_store_b128 v18, v[28:31]
	s_wait_dscnt 0x0
	ds_load_b128 v[8:11], v0 offset:512
	ds_load_b128 v[2:5], v1 offset:64
	s_wait_dscnt 0x1
	v_cmp_neq_f64_e32 vcc_lo, 0, v[8:9]
	v_cmp_neq_f64_e64 s1, 0, v[10:11]
	s_or_b32 vcc_lo, vcc_lo, s1
	v_cndmask_b32_e32 v9, 0x3ff00000, v9, vcc_lo
	v_dual_cndmask_b32 v8, 0, v8 :: v_dual_cndmask_b32 v11, 0, v11
	v_cndmask_b32_e32 v10, 0, v10, vcc_lo
	s_nor_b32 s20, vcc_lo, s0
	s_delay_alu instid0(SALU_CYCLE_1)
	s_and_saveexec_b32 s1, s20
	s_cbranch_execz .LBB64_62
; %bb.59:                               ;   in Loop: Header=BB64_19 Depth=1
	v_mbcnt_lo_u32_b32 v8, exec_lo, 0
	s_mov_b32 s20, exec_lo
	s_delay_alu instid0(VALU_DEP_1)
	v_cmpx_eq_u32_e32 0, v8
	s_cbranch_execz .LBB64_61
; %bb.60:                               ;   in Loop: Header=BB64_19 Depth=1
	v_mov_b32_e32 v8, s3
	global_atomic_min_i32 v0, v8, s[10:11] scope:SCOPE_DEV
.LBB64_61:                              ;   in Loop: Header=BB64_19 Depth=1
	s_wait_xcnt 0x0
	s_or_b32 exec_lo, exec_lo, s20
	v_mov_b64_e32 v[10:11], 0
	v_mov_b64_e32 v[8:9], 1.0
.LBB64_62:                              ;   in Loop: Header=BB64_19 Depth=1
	s_or_b32 exec_lo, exec_lo, s1
	s_delay_alu instid0(VALU_DEP_1)
	v_mul_f64_e32 v[12:13], v[10:11], v[10:11]
	ds_load_b128 v[28:31], v1
	ds_load_b128 v[32:35], v0 offset:448
	ds_load_b128 v[36:39], v22 offset:64
	;; [unrolled: 1-line block ×3, first 2 shown]
	s_wait_dscnt 0x1
	v_fmac_f64_e32 v[38:39], v[34:35], v[28:29]
	v_fmac_f64_e32 v[36:37], v[32:33], v[28:29]
	;; [unrolled: 1-line block ×3, first 2 shown]
	s_delay_alu instid0(VALU_DEP_3) | instskip(NEXT) | instid1(VALU_DEP_3)
	v_fma_f64 v[38:39], v[32:33], -v[30:31], v[38:39]
	v_fmac_f64_e32 v[36:37], v[34:35], v[30:31]
	ds_load_b128 v[28:31], v0 offset:464
	ds_load_b128 v[32:35], v0 offset:480
	v_div_scale_f64 v[44:45], null, v[12:13], v[12:13], 1.0
	s_wait_dscnt 0x1
	v_fmac_f64_e32 v[38:39], v[30:31], v[40:41]
	v_fmac_f64_e32 v[36:37], v[28:29], v[40:41]
	s_delay_alu instid0(VALU_DEP_3) | instskip(NEXT) | instid1(VALU_DEP_2)
	v_rcp_f64_e32 v[46:47], v[44:45]
	v_fma_f64 v[48:49], v[28:29], -v[42:43], v[38:39]
	s_delay_alu instid0(VALU_DEP_2)
	v_fmac_f64_e32 v[36:37], v[30:31], v[42:43]
	ds_load_b128 v[28:31], v1 offset:32
	ds_load_b128 v[38:41], v1 offset:48
	v_fma_f64 v[50:51], -v[44:45], v[46:47], 1.0
	s_wait_dscnt 0x1
	v_fmac_f64_e32 v[48:49], v[34:35], v[28:29]
	v_fmac_f64_e32 v[36:37], v[32:33], v[28:29]
	s_delay_alu instid0(VALU_DEP_3) | instskip(NEXT) | instid1(VALU_DEP_3)
	v_fmac_f64_e32 v[46:47], v[46:47], v[50:51]
	v_fma_f64 v[32:33], v[32:33], -v[30:31], v[48:49]
	s_delay_alu instid0(VALU_DEP_3)
	v_fmac_f64_e32 v[36:37], v[34:35], v[30:31]
	ds_load_b128 v[28:31], v0 offset:496
	v_div_scale_f64 v[34:35], vcc_lo, 1.0, v[12:13], 1.0
	v_fma_f64 v[42:43], -v[44:45], v[46:47], 1.0
	s_wait_dscnt 0x0
	v_fmac_f64_e32 v[32:33], v[30:31], v[38:39]
	v_fmac_f64_e32 v[36:37], v[28:29], v[38:39]
	s_delay_alu instid0(VALU_DEP_3) | instskip(NEXT) | instid1(VALU_DEP_3)
	v_fmac_f64_e32 v[46:47], v[46:47], v[42:43]
	v_fma_f64 v[28:29], v[28:29], -v[40:41], v[32:33]
	s_delay_alu instid0(VALU_DEP_3) | instskip(NEXT) | instid1(VALU_DEP_3)
	v_fmac_f64_e32 v[36:37], v[30:31], v[40:41]
	v_mul_f64_e32 v[32:33], v[34:35], v[46:47]
	s_delay_alu instid0(VALU_DEP_3) | instskip(NEXT) | instid1(VALU_DEP_3)
	v_add_f64_e64 v[4:5], v[4:5], -v[28:29]
	v_add_f64_e64 v[2:3], v[2:3], -v[36:37]
	s_delay_alu instid0(VALU_DEP_3) | instskip(NEXT) | instid1(VALU_DEP_3)
	v_fma_f64 v[28:29], -v[44:45], v[32:33], v[34:35]
	v_mul_f64_e32 v[30:31], v[10:11], v[4:5]
	s_delay_alu instid0(VALU_DEP_3) | instskip(NEXT) | instid1(VALU_DEP_3)
	v_mul_f64_e64 v[10:11], v[10:11], -v[2:3]
	v_div_fmas_f64 v[28:29], v[28:29], v[46:47], v[32:33]
	s_delay_alu instid0(VALU_DEP_3) | instskip(NEXT) | instid1(VALU_DEP_3)
	v_fmac_f64_e32 v[30:31], v[2:3], v[8:9]
	v_fmac_f64_e32 v[10:11], v[4:5], v[8:9]
	s_delay_alu instid0(VALU_DEP_3) | instskip(NEXT) | instid1(VALU_DEP_1)
	v_div_fixup_f64 v[12:13], v[28:29], v[12:13], 1.0
	v_mul_f64_e32 v[2:3], v[12:13], v[30:31]
	s_delay_alu instid0(VALU_DEP_3)
	v_mul_f64_e32 v[4:5], v[12:13], v[10:11]
	ds_store_b128 v1, v[2:5] offset:64
	s_wait_storecnt_dscnt 0x0
	ds_load_b128 v[8:11], v26 offset:64
	ds_load_b128 v[28:31], v18
	s_wait_dscnt 0x0
	v_fmac_f64_e32 v[28:29], v[2:3], v[8:9]
	v_fmac_f64_e32 v[30:31], v[4:5], v[8:9]
	s_delay_alu instid0(VALU_DEP_2) | instskip(NEXT) | instid1(VALU_DEP_2)
	v_fmac_f64_e32 v[28:29], v[4:5], v[10:11]
	v_fma_f64 v[30:31], v[2:3], -v[10:11], v[30:31]
	ds_store_b128 v18, v[28:31]
	s_wait_dscnt 0x0
	ds_load_b128 v[8:11], v0 offset:640
	ds_load_b128 v[2:5], v1 offset:80
	s_wait_dscnt 0x1
	v_cmp_neq_f64_e32 vcc_lo, 0, v[8:9]
	v_cmp_neq_f64_e64 s1, 0, v[10:11]
	s_or_b32 vcc_lo, vcc_lo, s1
	v_cndmask_b32_e32 v9, 0x3ff00000, v9, vcc_lo
	v_dual_cndmask_b32 v8, 0, v8 :: v_dual_cndmask_b32 v11, 0, v11
	v_cndmask_b32_e32 v10, 0, v10, vcc_lo
	s_nor_b32 s20, vcc_lo, s0
	s_delay_alu instid0(SALU_CYCLE_1)
	s_and_saveexec_b32 s1, s20
	s_cbranch_execz .LBB64_17
; %bb.63:                               ;   in Loop: Header=BB64_19 Depth=1
	v_mbcnt_lo_u32_b32 v8, exec_lo, 0
	s_mov_b32 s20, exec_lo
	s_delay_alu instid0(VALU_DEP_1)
	v_cmpx_eq_u32_e32 0, v8
	s_cbranch_execz .LBB64_16
; %bb.64:                               ;   in Loop: Header=BB64_19 Depth=1
	v_mov_b32_e32 v8, s3
	global_atomic_min_i32 v0, v8, s[10:11] scope:SCOPE_DEV
	s_branch .LBB64_16
.LBB64_65:
	v_mov_b32_e32 v0, v16
	s_wait_kmcnt 0x0
	s_cmp_lg_u32 s28, 0
	s_cselect_b32 s3, -1, 0
	s_cmp_eq_u32 s28, 0
	s_cbranch_scc1 .LBB64_67
; %bb.66:
	v_mad_u32_u24 v0, v14, 6, v15
.LBB64_67:
	s_mul_i32 s26, s26, 36
	s_movk_i32 s0, 0x70
	s_delay_alu instid0(VALU_DEP_1)
	v_add_nc_u32_e32 v0, s26, v0
	s_wait_xcnt 0x0
	v_mad_u32_u24 v7, v15, s0, 0x540
	v_cmp_ne_u32_e64 s1, 0, v15
	s_mov_b32 s0, exec_lo
	global_load_b128 v[0:3], v0, s[18:19] scale_offset
	v_lshl_add_u32 v6, v14, 4, v7
	s_wait_loadcnt 0x0
	ds_store_2addr_b64 v6, v[0:1], v[2:3] offset1:1
	s_wait_dscnt 0x0
	s_wait_xcnt 0x0
	v_cmpx_eq_u32_e32 0, v15
	s_cbranch_execz .LBB64_76
; %bb.68:
	v_mov_b32_e32 v4, 0
	ds_load_b128 v[0:3], v4 offset:2016
	ds_load_b128 v[8:11], v4 offset:1344
	s_wait_dscnt 0x0
	v_add_f64_e64 v[0:1], v[8:9], -v[0:1]
	v_add_f64_e64 v[4:5], v[10:11], -v[2:3]
	s_delay_alu instid0(VALU_DEP_2) | instskip(SKIP_1) | instid1(VALU_DEP_3)
	v_cmp_gt_f64_e32 vcc_lo, 0, v[0:1]
	v_xor_b32_e32 v2, 0x80000000, v1
	v_xor_b32_e32 v3, 0x80000000, v5
	s_delay_alu instid0(VALU_DEP_2) | instskip(SKIP_1) | instid1(VALU_DEP_3)
	v_dual_cndmask_b32 v1, v1, v2 :: v_dual_mov_b32 v2, v4
	v_cmp_gt_f64_e32 vcc_lo, 0, v[4:5]
	v_cndmask_b32_e32 v3, v5, v3, vcc_lo
	s_delay_alu instid0(VALU_DEP_1)
	v_cmp_ngt_f64_e32 vcc_lo, v[0:1], v[2:3]
	s_cbranch_vccz .LBB64_73
; %bb.69:
	v_cmp_eq_f64_e32 vcc_lo, 0, v[4:5]
	s_cbranch_vccnz .LBB64_156
; %bb.70:
	v_div_scale_f64 v[4:5], null, v[2:3], v[2:3], v[0:1]
	v_div_scale_f64 v[12:13], vcc_lo, v[0:1], v[2:3], v[0:1]
	s_delay_alu instid0(VALU_DEP_2) | instskip(SKIP_1) | instid1(TRANS32_DEP_1)
	v_rcp_f64_e32 v[8:9], v[4:5]
	v_nop
	v_fma_f64 v[10:11], -v[4:5], v[8:9], 1.0
	s_delay_alu instid0(VALU_DEP_1) | instskip(NEXT) | instid1(VALU_DEP_1)
	v_fmac_f64_e32 v[8:9], v[8:9], v[10:11]
	v_fma_f64 v[10:11], -v[4:5], v[8:9], 1.0
	s_delay_alu instid0(VALU_DEP_1) | instskip(NEXT) | instid1(VALU_DEP_1)
	v_fmac_f64_e32 v[8:9], v[8:9], v[10:11]
	v_mul_f64_e32 v[10:11], v[12:13], v[8:9]
	s_delay_alu instid0(VALU_DEP_1) | instskip(NEXT) | instid1(VALU_DEP_1)
	v_fma_f64 v[4:5], -v[4:5], v[10:11], v[12:13]
	v_div_fmas_f64 v[4:5], v[4:5], v[8:9], v[10:11]
	s_delay_alu instid0(VALU_DEP_1) | instskip(NEXT) | instid1(VALU_DEP_1)
	v_div_fixup_f64 v[4:5], v[4:5], v[2:3], v[0:1]
	v_fma_f64 v[4:5], v[4:5], v[4:5], 1.0
	s_delay_alu instid0(VALU_DEP_1) | instskip(SKIP_2) | instid1(SALU_CYCLE_1)
	v_cmp_gt_f64_e32 vcc_lo, 0x10000000, v[4:5]
	s_and_b32 s2, vcc_lo, exec_lo
	s_cselect_b32 s2, 0x100, 0
	v_ldexp_f64 v[4:5], v[4:5], s2
	s_cselect_b32 s2, 0xffffff80, 0
	s_delay_alu instid0(VALU_DEP_1) | instskip(SKIP_1) | instid1(TRANS32_DEP_1)
	v_rsq_f64_e32 v[8:9], v[4:5]
	v_cmp_class_f64_e64 vcc_lo, v[4:5], 0x260
	v_mul_f64_e32 v[10:11], v[4:5], v[8:9]
	v_mul_f64_e32 v[8:9], 0.5, v[8:9]
	s_delay_alu instid0(VALU_DEP_1) | instskip(NEXT) | instid1(VALU_DEP_1)
	v_fma_f64 v[12:13], -v[8:9], v[10:11], 0.5
	v_fmac_f64_e32 v[10:11], v[10:11], v[12:13]
	v_fmac_f64_e32 v[8:9], v[8:9], v[12:13]
	s_delay_alu instid0(VALU_DEP_2) | instskip(NEXT) | instid1(VALU_DEP_1)
	v_fma_f64 v[12:13], -v[10:11], v[10:11], v[4:5]
	v_fmac_f64_e32 v[10:11], v[12:13], v[8:9]
	s_delay_alu instid0(VALU_DEP_1) | instskip(NEXT) | instid1(VALU_DEP_1)
	v_fma_f64 v[12:13], -v[10:11], v[10:11], v[4:5]
	v_fmac_f64_e32 v[10:11], v[12:13], v[8:9]
	s_delay_alu instid0(VALU_DEP_1) | instskip(NEXT) | instid1(VALU_DEP_1)
	v_ldexp_f64 v[8:9], v[10:11], s2
	v_dual_cndmask_b32 v5, v9, v5 :: v_dual_cndmask_b32 v4, v8, v4
	s_delay_alu instid0(VALU_DEP_1)
	v_mul_f64_e32 v[4:5], v[2:3], v[4:5]
	s_cbranch_execz .LBB64_74
	s_branch .LBB64_75
.LBB64_71:
	s_cbranch_execnz .LBB64_152
.LBB64_72:
	s_sendmsg sendmsg(MSG_DEALLOC_VGPRS)
	s_endpgm
.LBB64_73:
                                        ; implicit-def: $vgpr4_vgpr5
.LBB64_74:
	v_div_scale_f64 v[4:5], null, v[0:1], v[0:1], v[2:3]
	v_div_scale_f64 v[12:13], vcc_lo, v[2:3], v[0:1], v[2:3]
	s_delay_alu instid0(VALU_DEP_2) | instskip(SKIP_1) | instid1(TRANS32_DEP_1)
	v_rcp_f64_e32 v[8:9], v[4:5]
	v_nop
	v_fma_f64 v[10:11], -v[4:5], v[8:9], 1.0
	s_delay_alu instid0(VALU_DEP_1) | instskip(NEXT) | instid1(VALU_DEP_1)
	v_fmac_f64_e32 v[8:9], v[8:9], v[10:11]
	v_fma_f64 v[10:11], -v[4:5], v[8:9], 1.0
	s_delay_alu instid0(VALU_DEP_1) | instskip(NEXT) | instid1(VALU_DEP_1)
	v_fmac_f64_e32 v[8:9], v[8:9], v[10:11]
	v_mul_f64_e32 v[10:11], v[12:13], v[8:9]
	s_delay_alu instid0(VALU_DEP_1) | instskip(NEXT) | instid1(VALU_DEP_1)
	v_fma_f64 v[4:5], -v[4:5], v[10:11], v[12:13]
	v_div_fmas_f64 v[4:5], v[4:5], v[8:9], v[10:11]
	s_delay_alu instid0(VALU_DEP_1) | instskip(NEXT) | instid1(VALU_DEP_1)
	v_div_fixup_f64 v[2:3], v[4:5], v[0:1], v[2:3]
	v_fma_f64 v[2:3], v[2:3], v[2:3], 1.0
	s_delay_alu instid0(VALU_DEP_1) | instskip(SKIP_2) | instid1(SALU_CYCLE_1)
	v_cmp_gt_f64_e32 vcc_lo, 0x10000000, v[2:3]
	s_and_b32 s2, vcc_lo, exec_lo
	s_cselect_b32 s2, 0x100, 0
	v_ldexp_f64 v[2:3], v[2:3], s2
	s_cselect_b32 s2, 0xffffff80, 0
	s_delay_alu instid0(VALU_DEP_1) | instskip(SKIP_1) | instid1(TRANS32_DEP_1)
	v_rsq_f64_e32 v[4:5], v[2:3]
	v_cmp_class_f64_e64 vcc_lo, v[2:3], 0x260
	v_mul_f64_e32 v[8:9], v[2:3], v[4:5]
	v_mul_f64_e32 v[4:5], 0.5, v[4:5]
	s_delay_alu instid0(VALU_DEP_1) | instskip(NEXT) | instid1(VALU_DEP_1)
	v_fma_f64 v[10:11], -v[4:5], v[8:9], 0.5
	v_fmac_f64_e32 v[8:9], v[8:9], v[10:11]
	v_fmac_f64_e32 v[4:5], v[4:5], v[10:11]
	s_delay_alu instid0(VALU_DEP_2) | instskip(NEXT) | instid1(VALU_DEP_1)
	v_fma_f64 v[10:11], -v[8:9], v[8:9], v[2:3]
	v_fmac_f64_e32 v[8:9], v[10:11], v[4:5]
	s_delay_alu instid0(VALU_DEP_1) | instskip(NEXT) | instid1(VALU_DEP_1)
	v_fma_f64 v[10:11], -v[8:9], v[8:9], v[2:3]
	v_fmac_f64_e32 v[8:9], v[10:11], v[4:5]
	s_delay_alu instid0(VALU_DEP_1) | instskip(NEXT) | instid1(VALU_DEP_1)
	v_ldexp_f64 v[4:5], v[8:9], s2
	v_dual_cndmask_b32 v3, v5, v3 :: v_dual_cndmask_b32 v2, v4, v2
	s_delay_alu instid0(VALU_DEP_1)
	v_mul_f64_e32 v[4:5], v[0:1], v[2:3]
.LBB64_75:
	s_delay_alu instid0(VALU_DEP_1) | instskip(SKIP_2) | instid1(SALU_CYCLE_1)
	v_cmp_gt_f64_e32 vcc_lo, 0x10000000, v[4:5]
	s_and_b32 s2, vcc_lo, exec_lo
	s_cselect_b32 s2, 0x100, 0
	v_ldexp_f64 v[0:1], v[4:5], s2
	s_cselect_b32 s2, 0xffffff80, 0
	s_delay_alu instid0(VALU_DEP_1) | instskip(SKIP_1) | instid1(TRANS32_DEP_1)
	v_rsq_f64_e32 v[2:3], v[0:1]
	v_cmp_class_f64_e64 vcc_lo, v[0:1], 0x260
	v_mul_f64_e32 v[4:5], v[0:1], v[2:3]
	v_mul_f64_e32 v[2:3], 0.5, v[2:3]
	s_delay_alu instid0(VALU_DEP_1) | instskip(NEXT) | instid1(VALU_DEP_1)
	v_fma_f64 v[8:9], -v[2:3], v[4:5], 0.5
	v_fmac_f64_e32 v[4:5], v[4:5], v[8:9]
	v_fmac_f64_e32 v[2:3], v[2:3], v[8:9]
	s_delay_alu instid0(VALU_DEP_2) | instskip(NEXT) | instid1(VALU_DEP_1)
	v_fma_f64 v[8:9], -v[4:5], v[4:5], v[0:1]
	v_fmac_f64_e32 v[4:5], v[8:9], v[2:3]
	s_delay_alu instid0(VALU_DEP_1) | instskip(NEXT) | instid1(VALU_DEP_1)
	v_fma_f64 v[8:9], -v[4:5], v[4:5], v[0:1]
	v_fmac_f64_e32 v[4:5], v[8:9], v[2:3]
	v_mov_b32_e32 v2, 0
	s_delay_alu instid0(VALU_DEP_1) | instskip(NEXT) | instid1(VALU_DEP_3)
	v_mov_b32_e32 v3, v2
	v_ldexp_f64 v[4:5], v[4:5], s2
	s_delay_alu instid0(VALU_DEP_1)
	v_dual_cndmask_b32 v1, v5, v1 :: v_dual_cndmask_b32 v0, v4, v0
	ds_store_b128 v2, v[0:3] offset:1344
.LBB64_76:
	s_or_b32 exec_lo, exec_lo, s0
	v_dual_mov_b32 v0, 0 :: v_dual_bitop2_b32 v8, v14, v15 bitop3:0x54
	s_wait_dscnt 0x0
	ds_load_b128 v[0:3], v0 offset:1344
	v_cmp_ne_u32_e64 s0, 0, v8
	s_wait_dscnt 0x0
	v_cmp_neq_f64_e32 vcc_lo, 0, v[0:1]
	v_cmp_neq_f64_e64 s2, 0, v[2:3]
	s_or_b32 vcc_lo, vcc_lo, s2
	s_add_co_i32 s2, s16, s17
	v_cndmask_b32_e32 v1, 0x3ff00000, v1, vcc_lo
	v_dual_cndmask_b32 v0, 0, v0 :: v_dual_cndmask_b32 v3, 0, v3
	v_cndmask_b32_e32 v2, 0, v2, vcc_lo
	s_nor_b32 s5, vcc_lo, s0
	s_delay_alu instid0(SALU_CYCLE_1)
	s_and_saveexec_b32 s4, s5
	s_cbranch_execz .LBB64_80
; %bb.77:
	v_mbcnt_lo_u32_b32 v0, exec_lo, 0
	s_mov_b32 s5, exec_lo
	s_delay_alu instid0(VALU_DEP_1)
	v_cmpx_eq_u32_e32 0, v0
	s_cbranch_execz .LBB64_79
; %bb.78:
	v_dual_mov_b32 v0, 0 :: v_dual_mov_b32 v1, s2
	global_atomic_min_i32 v0, v1, s[10:11] scope:SCOPE_DEV
.LBB64_79:
	s_wait_xcnt 0x0
	s_or_b32 exec_lo, exec_lo, s5
	v_mov_b64_e32 v[2:3], 0
	v_mov_b64_e32 v[0:1], 1.0
.LBB64_80:
	s_or_b32 exec_lo, exec_lo, s4
	s_movk_i32 s4, 0x70
	s_delay_alu instid0(SALU_CYCLE_1)
	v_mad_u32_u24 v9, v14, s4, 0x540
	s_and_saveexec_b32 s4, s1
	s_cbranch_execz .LBB64_82
; %bb.81:
	v_mul_f64_e32 v[4:5], v[2:3], v[2:3]
	s_delay_alu instid0(VALU_DEP_1) | instskip(NEXT) | instid1(VALU_DEP_1)
	v_fmac_f64_e32 v[4:5], v[0:1], v[0:1]
	v_div_scale_f64 v[24:25], null, v[4:5], v[4:5], 1.0
	v_div_scale_f64 v[28:29], vcc_lo, 1.0, v[4:5], 1.0
	s_delay_alu instid0(VALU_DEP_2) | instskip(SKIP_1) | instid1(TRANS32_DEP_1)
	v_rcp_f64_e32 v[26:27], v[24:25]
	v_nop
	v_fma_f64 v[10:11], -v[24:25], v[26:27], 1.0
	s_delay_alu instid0(VALU_DEP_1) | instskip(NEXT) | instid1(VALU_DEP_1)
	v_fmac_f64_e32 v[26:27], v[26:27], v[10:11]
	v_fma_f64 v[10:11], -v[24:25], v[26:27], 1.0
	s_delay_alu instid0(VALU_DEP_1)
	v_fmac_f64_e32 v[26:27], v[26:27], v[10:11]
	ds_load_b128 v[10:13], v7
	ds_load_b128 v[20:23], v19
	s_wait_dscnt 0x0
	v_add_f64_e64 v[12:13], v[12:13], -v[22:23]
	v_add_f64_e64 v[10:11], v[10:11], -v[20:21]
	v_mul_f64_e32 v[30:31], v[28:29], v[26:27]
	s_delay_alu instid0(VALU_DEP_3) | instskip(NEXT) | instid1(VALU_DEP_3)
	v_mul_f64_e32 v[20:21], v[2:3], v[12:13]
	v_mul_f64_e64 v[2:3], v[2:3], -v[10:11]
	s_delay_alu instid0(VALU_DEP_3) | instskip(NEXT) | instid1(VALU_DEP_3)
	v_fma_f64 v[22:23], -v[24:25], v[30:31], v[28:29]
	v_fmac_f64_e32 v[20:21], v[10:11], v[0:1]
	s_delay_alu instid0(VALU_DEP_3) | instskip(NEXT) | instid1(VALU_DEP_3)
	v_fmac_f64_e32 v[2:3], v[12:13], v[0:1]
	v_div_fmas_f64 v[22:23], v[22:23], v[26:27], v[30:31]
	s_delay_alu instid0(VALU_DEP_1) | instskip(NEXT) | instid1(VALU_DEP_1)
	v_div_fixup_f64 v[4:5], v[22:23], v[4:5], 1.0
	v_mul_f64_e32 v[0:1], v[4:5], v[20:21]
	s_delay_alu instid0(VALU_DEP_4)
	v_mul_f64_e32 v[2:3], v[4:5], v[2:3]
	ds_store_b128 v7, v[0:3]
	s_wait_storecnt_dscnt 0x0
	ds_load_b128 v[10:13], v9
	ds_load_b128 v[20:23], v18
	s_wait_dscnt 0x0
	v_fmac_f64_e32 v[20:21], v[0:1], v[10:11]
	v_fmac_f64_e32 v[22:23], v[2:3], v[10:11]
	s_delay_alu instid0(VALU_DEP_2) | instskip(NEXT) | instid1(VALU_DEP_2)
	v_fmac_f64_e32 v[20:21], v[2:3], v[12:13]
	v_fma_f64 v[22:23], v[0:1], -v[12:13], v[22:23]
	ds_store_b128 v18, v[20:23]
.LBB64_82:
	s_or_b32 exec_lo, exec_lo, s4
	s_delay_alu instid0(SALU_CYCLE_1)
	s_mov_b32 s1, exec_lo
	s_wait_storecnt_dscnt 0x0
	v_cmpx_eq_u32_e32 1, v15
	s_cbranch_execz .LBB64_89
; %bb.83:
	v_mov_b32_e32 v4, 0
	ds_load_b128 v[0:3], v4 offset:2144
	ds_load_b128 v[10:13], v4 offset:1472
	s_wait_dscnt 0x0
	v_add_f64_e64 v[0:1], v[10:11], -v[0:1]
	v_add_f64_e64 v[4:5], v[12:13], -v[2:3]
	s_delay_alu instid0(VALU_DEP_2) | instskip(SKIP_1) | instid1(VALU_DEP_3)
	v_cmp_gt_f64_e32 vcc_lo, 0, v[0:1]
	v_xor_b32_e32 v2, 0x80000000, v1
	v_xor_b32_e32 v3, 0x80000000, v5
	s_delay_alu instid0(VALU_DEP_2) | instskip(SKIP_1) | instid1(VALU_DEP_3)
	v_dual_cndmask_b32 v1, v1, v2 :: v_dual_mov_b32 v2, v4
	v_cmp_gt_f64_e32 vcc_lo, 0, v[4:5]
	v_cndmask_b32_e32 v3, v5, v3, vcc_lo
	s_delay_alu instid0(VALU_DEP_1)
	v_cmp_gt_f64_e32 vcc_lo, v[0:1], v[2:3]
	s_cbranch_vccnz .LBB64_86
; %bb.84:
	v_cmp_eq_f64_e32 vcc_lo, 0, v[4:5]
	s_cbranch_vccnz .LBB64_157
; %bb.85:
	v_div_scale_f64 v[4:5], null, v[2:3], v[2:3], v[0:1]
	v_div_scale_f64 v[20:21], vcc_lo, v[0:1], v[2:3], v[0:1]
	s_delay_alu instid0(VALU_DEP_2) | instskip(SKIP_1) | instid1(TRANS32_DEP_1)
	v_rcp_f64_e32 v[10:11], v[4:5]
	v_nop
	v_fma_f64 v[12:13], -v[4:5], v[10:11], 1.0
	s_delay_alu instid0(VALU_DEP_1) | instskip(NEXT) | instid1(VALU_DEP_1)
	v_fmac_f64_e32 v[10:11], v[10:11], v[12:13]
	v_fma_f64 v[12:13], -v[4:5], v[10:11], 1.0
	s_delay_alu instid0(VALU_DEP_1) | instskip(NEXT) | instid1(VALU_DEP_1)
	v_fmac_f64_e32 v[10:11], v[10:11], v[12:13]
	v_mul_f64_e32 v[12:13], v[20:21], v[10:11]
	s_delay_alu instid0(VALU_DEP_1) | instskip(NEXT) | instid1(VALU_DEP_1)
	v_fma_f64 v[4:5], -v[4:5], v[12:13], v[20:21]
	v_div_fmas_f64 v[4:5], v[4:5], v[10:11], v[12:13]
	s_delay_alu instid0(VALU_DEP_1) | instskip(NEXT) | instid1(VALU_DEP_1)
	v_div_fixup_f64 v[4:5], v[4:5], v[2:3], v[0:1]
	v_fma_f64 v[4:5], v[4:5], v[4:5], 1.0
	s_delay_alu instid0(VALU_DEP_1) | instskip(SKIP_2) | instid1(SALU_CYCLE_1)
	v_cmp_gt_f64_e32 vcc_lo, 0x10000000, v[4:5]
	s_and_b32 s4, vcc_lo, exec_lo
	s_cselect_b32 s4, 0x100, 0
	v_ldexp_f64 v[4:5], v[4:5], s4
	s_cselect_b32 s4, 0xffffff80, 0
	s_delay_alu instid0(VALU_DEP_1) | instskip(SKIP_1) | instid1(TRANS32_DEP_1)
	v_rsq_f64_e32 v[10:11], v[4:5]
	v_cmp_class_f64_e64 vcc_lo, v[4:5], 0x260
	v_mul_f64_e32 v[12:13], v[4:5], v[10:11]
	v_mul_f64_e32 v[10:11], 0.5, v[10:11]
	s_delay_alu instid0(VALU_DEP_1) | instskip(NEXT) | instid1(VALU_DEP_1)
	v_fma_f64 v[20:21], -v[10:11], v[12:13], 0.5
	v_fmac_f64_e32 v[12:13], v[12:13], v[20:21]
	v_fmac_f64_e32 v[10:11], v[10:11], v[20:21]
	s_delay_alu instid0(VALU_DEP_2) | instskip(NEXT) | instid1(VALU_DEP_1)
	v_fma_f64 v[20:21], -v[12:13], v[12:13], v[4:5]
	v_fmac_f64_e32 v[12:13], v[20:21], v[10:11]
	s_delay_alu instid0(VALU_DEP_1) | instskip(NEXT) | instid1(VALU_DEP_1)
	v_fma_f64 v[20:21], -v[12:13], v[12:13], v[4:5]
	v_fmac_f64_e32 v[12:13], v[20:21], v[10:11]
	s_delay_alu instid0(VALU_DEP_1) | instskip(NEXT) | instid1(VALU_DEP_1)
	v_ldexp_f64 v[10:11], v[12:13], s4
	v_dual_cndmask_b32 v5, v11, v5 :: v_dual_cndmask_b32 v4, v10, v4
	s_delay_alu instid0(VALU_DEP_1)
	v_mul_f64_e32 v[4:5], v[2:3], v[4:5]
	s_cbranch_execz .LBB64_87
	s_branch .LBB64_88
.LBB64_86:
                                        ; implicit-def: $vgpr4_vgpr5
.LBB64_87:
	v_div_scale_f64 v[4:5], null, v[0:1], v[0:1], v[2:3]
	v_div_scale_f64 v[20:21], vcc_lo, v[2:3], v[0:1], v[2:3]
	s_delay_alu instid0(VALU_DEP_2) | instskip(SKIP_1) | instid1(TRANS32_DEP_1)
	v_rcp_f64_e32 v[10:11], v[4:5]
	v_nop
	v_fma_f64 v[12:13], -v[4:5], v[10:11], 1.0
	s_delay_alu instid0(VALU_DEP_1) | instskip(NEXT) | instid1(VALU_DEP_1)
	v_fmac_f64_e32 v[10:11], v[10:11], v[12:13]
	v_fma_f64 v[12:13], -v[4:5], v[10:11], 1.0
	s_delay_alu instid0(VALU_DEP_1) | instskip(NEXT) | instid1(VALU_DEP_1)
	v_fmac_f64_e32 v[10:11], v[10:11], v[12:13]
	v_mul_f64_e32 v[12:13], v[20:21], v[10:11]
	s_delay_alu instid0(VALU_DEP_1) | instskip(NEXT) | instid1(VALU_DEP_1)
	v_fma_f64 v[4:5], -v[4:5], v[12:13], v[20:21]
	v_div_fmas_f64 v[4:5], v[4:5], v[10:11], v[12:13]
	s_delay_alu instid0(VALU_DEP_1) | instskip(NEXT) | instid1(VALU_DEP_1)
	v_div_fixup_f64 v[2:3], v[4:5], v[0:1], v[2:3]
	v_fma_f64 v[2:3], v[2:3], v[2:3], 1.0
	s_delay_alu instid0(VALU_DEP_1) | instskip(SKIP_2) | instid1(SALU_CYCLE_1)
	v_cmp_gt_f64_e32 vcc_lo, 0x10000000, v[2:3]
	s_and_b32 s4, vcc_lo, exec_lo
	s_cselect_b32 s4, 0x100, 0
	v_ldexp_f64 v[2:3], v[2:3], s4
	s_cselect_b32 s4, 0xffffff80, 0
	s_delay_alu instid0(VALU_DEP_1) | instskip(SKIP_1) | instid1(TRANS32_DEP_1)
	v_rsq_f64_e32 v[4:5], v[2:3]
	v_cmp_class_f64_e64 vcc_lo, v[2:3], 0x260
	v_mul_f64_e32 v[10:11], v[2:3], v[4:5]
	v_mul_f64_e32 v[4:5], 0.5, v[4:5]
	s_delay_alu instid0(VALU_DEP_1) | instskip(NEXT) | instid1(VALU_DEP_1)
	v_fma_f64 v[12:13], -v[4:5], v[10:11], 0.5
	v_fmac_f64_e32 v[10:11], v[10:11], v[12:13]
	v_fmac_f64_e32 v[4:5], v[4:5], v[12:13]
	s_delay_alu instid0(VALU_DEP_2) | instskip(NEXT) | instid1(VALU_DEP_1)
	v_fma_f64 v[12:13], -v[10:11], v[10:11], v[2:3]
	v_fmac_f64_e32 v[10:11], v[12:13], v[4:5]
	s_delay_alu instid0(VALU_DEP_1) | instskip(NEXT) | instid1(VALU_DEP_1)
	v_fma_f64 v[12:13], -v[10:11], v[10:11], v[2:3]
	v_fmac_f64_e32 v[10:11], v[12:13], v[4:5]
	s_delay_alu instid0(VALU_DEP_1) | instskip(NEXT) | instid1(VALU_DEP_1)
	v_ldexp_f64 v[4:5], v[10:11], s4
	v_dual_cndmask_b32 v3, v5, v3 :: v_dual_cndmask_b32 v2, v4, v2
	s_delay_alu instid0(VALU_DEP_1)
	v_mul_f64_e32 v[4:5], v[0:1], v[2:3]
.LBB64_88:
	s_delay_alu instid0(VALU_DEP_1) | instskip(SKIP_2) | instid1(SALU_CYCLE_1)
	v_cmp_gt_f64_e32 vcc_lo, 0x10000000, v[4:5]
	s_and_b32 s4, vcc_lo, exec_lo
	s_cselect_b32 s4, 0x100, 0
	v_ldexp_f64 v[0:1], v[4:5], s4
	s_cselect_b32 s4, 0xffffff80, 0
	s_delay_alu instid0(VALU_DEP_1) | instskip(SKIP_1) | instid1(TRANS32_DEP_1)
	v_rsq_f64_e32 v[2:3], v[0:1]
	v_cmp_class_f64_e64 vcc_lo, v[0:1], 0x260
	v_mul_f64_e32 v[4:5], v[0:1], v[2:3]
	v_mul_f64_e32 v[2:3], 0.5, v[2:3]
	s_delay_alu instid0(VALU_DEP_1) | instskip(NEXT) | instid1(VALU_DEP_1)
	v_fma_f64 v[10:11], -v[2:3], v[4:5], 0.5
	v_fmac_f64_e32 v[4:5], v[4:5], v[10:11]
	v_fmac_f64_e32 v[2:3], v[2:3], v[10:11]
	s_delay_alu instid0(VALU_DEP_2) | instskip(NEXT) | instid1(VALU_DEP_1)
	v_fma_f64 v[10:11], -v[4:5], v[4:5], v[0:1]
	v_fmac_f64_e32 v[4:5], v[10:11], v[2:3]
	s_delay_alu instid0(VALU_DEP_1) | instskip(NEXT) | instid1(VALU_DEP_1)
	v_fma_f64 v[10:11], -v[4:5], v[4:5], v[0:1]
	v_fmac_f64_e32 v[4:5], v[10:11], v[2:3]
	v_mov_b32_e32 v2, 0
	s_delay_alu instid0(VALU_DEP_1) | instskip(NEXT) | instid1(VALU_DEP_3)
	v_mov_b32_e32 v3, v2
	v_ldexp_f64 v[4:5], v[4:5], s4
	s_delay_alu instid0(VALU_DEP_1)
	v_dual_cndmask_b32 v1, v5, v1 :: v_dual_cndmask_b32 v0, v4, v0
	ds_store_b128 v2, v[0:3] offset:1472
.LBB64_89:
	s_or_b32 exec_lo, exec_lo, s1
	v_mov_b32_e32 v0, 0
	s_wait_dscnt 0x0
	ds_load_b128 v[0:3], v0 offset:1472
	s_wait_dscnt 0x0
	v_cmp_neq_f64_e32 vcc_lo, 0, v[0:1]
	v_cmp_neq_f64_e64 s1, 0, v[2:3]
	s_or_b32 vcc_lo, vcc_lo, s1
	v_cndmask_b32_e32 v1, 0x3ff00000, v1, vcc_lo
	v_dual_cndmask_b32 v0, 0, v0 :: v_dual_cndmask_b32 v3, 0, v3
	v_cndmask_b32_e32 v2, 0, v2, vcc_lo
	s_nor_b32 s4, vcc_lo, s0
	s_delay_alu instid0(SALU_CYCLE_1)
	s_and_saveexec_b32 s1, s4
	s_cbranch_execz .LBB64_93
; %bb.90:
	v_mbcnt_lo_u32_b32 v0, exec_lo, 0
	s_mov_b32 s4, exec_lo
	s_delay_alu instid0(VALU_DEP_1)
	v_cmpx_eq_u32_e32 0, v0
	s_cbranch_execz .LBB64_92
; %bb.91:
	v_dual_mov_b32 v0, 0 :: v_dual_mov_b32 v1, s2
	global_atomic_min_i32 v0, v1, s[10:11] scope:SCOPE_DEV
.LBB64_92:
	s_wait_xcnt 0x0
	s_or_b32 exec_lo, exec_lo, s4
	v_mov_b64_e32 v[2:3], 0
	v_mov_b64_e32 v[0:1], 1.0
.LBB64_93:
	s_or_b32 exec_lo, exec_lo, s1
	s_delay_alu instid0(SALU_CYCLE_1)
	s_mov_b32 s1, exec_lo
	v_cmpx_lt_u32_e32 1, v15
	s_cbranch_execz .LBB64_95
; %bb.94:
	s_delay_alu instid0(VALU_DEP_2) | instskip(NEXT) | instid1(VALU_DEP_1)
	v_mul_f64_e32 v[4:5], v[2:3], v[2:3]
	v_fmac_f64_e32 v[4:5], v[0:1], v[0:1]
	s_delay_alu instid0(VALU_DEP_1) | instskip(SKIP_1) | instid1(VALU_DEP_2)
	v_div_scale_f64 v[24:25], null, v[4:5], v[4:5], 1.0
	v_div_scale_f64 v[28:29], vcc_lo, 1.0, v[4:5], 1.0
	v_rcp_f64_e32 v[26:27], v[24:25]
	v_nop
	s_delay_alu instid0(TRANS32_DEP_1) | instskip(NEXT) | instid1(VALU_DEP_1)
	v_fma_f64 v[10:11], -v[24:25], v[26:27], 1.0
	v_fmac_f64_e32 v[26:27], v[26:27], v[10:11]
	s_delay_alu instid0(VALU_DEP_1) | instskip(NEXT) | instid1(VALU_DEP_1)
	v_fma_f64 v[10:11], -v[24:25], v[26:27], 1.0
	v_fmac_f64_e32 v[26:27], v[26:27], v[10:11]
	ds_load_b128 v[10:13], v7 offset:16
	ds_load_b128 v[20:23], v19 offset:16
	s_wait_dscnt 0x0
	v_add_f64_e64 v[12:13], v[12:13], -v[22:23]
	v_add_f64_e64 v[10:11], v[10:11], -v[20:21]
	v_mul_f64_e32 v[30:31], v[28:29], v[26:27]
	s_delay_alu instid0(VALU_DEP_3) | instskip(NEXT) | instid1(VALU_DEP_3)
	v_mul_f64_e32 v[20:21], v[2:3], v[12:13]
	v_mul_f64_e64 v[2:3], v[2:3], -v[10:11]
	s_delay_alu instid0(VALU_DEP_3) | instskip(NEXT) | instid1(VALU_DEP_3)
	v_fma_f64 v[22:23], -v[24:25], v[30:31], v[28:29]
	v_fmac_f64_e32 v[20:21], v[10:11], v[0:1]
	s_delay_alu instid0(VALU_DEP_3) | instskip(NEXT) | instid1(VALU_DEP_3)
	v_fmac_f64_e32 v[2:3], v[12:13], v[0:1]
	v_div_fmas_f64 v[22:23], v[22:23], v[26:27], v[30:31]
	s_delay_alu instid0(VALU_DEP_1) | instskip(NEXT) | instid1(VALU_DEP_1)
	v_div_fixup_f64 v[4:5], v[22:23], v[4:5], 1.0
	v_mul_f64_e32 v[0:1], v[4:5], v[20:21]
	s_delay_alu instid0(VALU_DEP_4)
	v_mul_f64_e32 v[2:3], v[4:5], v[2:3]
	ds_store_b128 v7, v[0:3] offset:16
	s_wait_storecnt_dscnt 0x0
	ds_load_b128 v[10:13], v9 offset:16
	ds_load_b128 v[20:23], v18
	s_wait_dscnt 0x0
	v_fmac_f64_e32 v[20:21], v[0:1], v[10:11]
	v_fmac_f64_e32 v[22:23], v[2:3], v[10:11]
	s_delay_alu instid0(VALU_DEP_2) | instskip(NEXT) | instid1(VALU_DEP_2)
	v_fmac_f64_e32 v[20:21], v[2:3], v[12:13]
	v_fma_f64 v[22:23], v[0:1], -v[12:13], v[22:23]
	ds_store_b128 v18, v[20:23]
.LBB64_95:
	s_or_b32 exec_lo, exec_lo, s1
	s_delay_alu instid0(SALU_CYCLE_1)
	s_mov_b32 s1, exec_lo
	s_wait_storecnt_dscnt 0x0
	v_cmpx_eq_u32_e32 2, v15
	s_cbranch_execz .LBB64_102
; %bb.96:
	v_mov_b32_e32 v4, 0
	ds_load_b128 v[0:3], v4 offset:2272
	ds_load_b128 v[10:13], v4 offset:1600
	s_wait_dscnt 0x0
	v_add_f64_e64 v[0:1], v[10:11], -v[0:1]
	v_add_f64_e64 v[4:5], v[12:13], -v[2:3]
	s_delay_alu instid0(VALU_DEP_2) | instskip(SKIP_1) | instid1(VALU_DEP_3)
	v_cmp_gt_f64_e32 vcc_lo, 0, v[0:1]
	v_xor_b32_e32 v2, 0x80000000, v1
	v_xor_b32_e32 v3, 0x80000000, v5
	s_delay_alu instid0(VALU_DEP_2) | instskip(SKIP_1) | instid1(VALU_DEP_3)
	v_dual_cndmask_b32 v1, v1, v2 :: v_dual_mov_b32 v2, v4
	v_cmp_gt_f64_e32 vcc_lo, 0, v[4:5]
	v_cndmask_b32_e32 v3, v5, v3, vcc_lo
	s_delay_alu instid0(VALU_DEP_1)
	v_cmp_gt_f64_e32 vcc_lo, v[0:1], v[2:3]
	s_cbranch_vccnz .LBB64_99
; %bb.97:
	v_cmp_eq_f64_e32 vcc_lo, 0, v[4:5]
	s_cbranch_vccnz .LBB64_158
; %bb.98:
	v_div_scale_f64 v[4:5], null, v[2:3], v[2:3], v[0:1]
	v_div_scale_f64 v[20:21], vcc_lo, v[0:1], v[2:3], v[0:1]
	s_delay_alu instid0(VALU_DEP_2) | instskip(SKIP_1) | instid1(TRANS32_DEP_1)
	v_rcp_f64_e32 v[10:11], v[4:5]
	v_nop
	v_fma_f64 v[12:13], -v[4:5], v[10:11], 1.0
	s_delay_alu instid0(VALU_DEP_1) | instskip(NEXT) | instid1(VALU_DEP_1)
	v_fmac_f64_e32 v[10:11], v[10:11], v[12:13]
	v_fma_f64 v[12:13], -v[4:5], v[10:11], 1.0
	s_delay_alu instid0(VALU_DEP_1) | instskip(NEXT) | instid1(VALU_DEP_1)
	v_fmac_f64_e32 v[10:11], v[10:11], v[12:13]
	v_mul_f64_e32 v[12:13], v[20:21], v[10:11]
	s_delay_alu instid0(VALU_DEP_1) | instskip(NEXT) | instid1(VALU_DEP_1)
	v_fma_f64 v[4:5], -v[4:5], v[12:13], v[20:21]
	v_div_fmas_f64 v[4:5], v[4:5], v[10:11], v[12:13]
	s_delay_alu instid0(VALU_DEP_1) | instskip(NEXT) | instid1(VALU_DEP_1)
	v_div_fixup_f64 v[4:5], v[4:5], v[2:3], v[0:1]
	v_fma_f64 v[4:5], v[4:5], v[4:5], 1.0
	s_delay_alu instid0(VALU_DEP_1) | instskip(SKIP_2) | instid1(SALU_CYCLE_1)
	v_cmp_gt_f64_e32 vcc_lo, 0x10000000, v[4:5]
	s_and_b32 s4, vcc_lo, exec_lo
	s_cselect_b32 s4, 0x100, 0
	v_ldexp_f64 v[4:5], v[4:5], s4
	s_cselect_b32 s4, 0xffffff80, 0
	s_delay_alu instid0(VALU_DEP_1) | instskip(SKIP_1) | instid1(TRANS32_DEP_1)
	v_rsq_f64_e32 v[10:11], v[4:5]
	v_cmp_class_f64_e64 vcc_lo, v[4:5], 0x260
	v_mul_f64_e32 v[12:13], v[4:5], v[10:11]
	v_mul_f64_e32 v[10:11], 0.5, v[10:11]
	s_delay_alu instid0(VALU_DEP_1) | instskip(NEXT) | instid1(VALU_DEP_1)
	v_fma_f64 v[20:21], -v[10:11], v[12:13], 0.5
	v_fmac_f64_e32 v[12:13], v[12:13], v[20:21]
	v_fmac_f64_e32 v[10:11], v[10:11], v[20:21]
	s_delay_alu instid0(VALU_DEP_2) | instskip(NEXT) | instid1(VALU_DEP_1)
	v_fma_f64 v[20:21], -v[12:13], v[12:13], v[4:5]
	v_fmac_f64_e32 v[12:13], v[20:21], v[10:11]
	s_delay_alu instid0(VALU_DEP_1) | instskip(NEXT) | instid1(VALU_DEP_1)
	v_fma_f64 v[20:21], -v[12:13], v[12:13], v[4:5]
	v_fmac_f64_e32 v[12:13], v[20:21], v[10:11]
	s_delay_alu instid0(VALU_DEP_1) | instskip(NEXT) | instid1(VALU_DEP_1)
	v_ldexp_f64 v[10:11], v[12:13], s4
	v_dual_cndmask_b32 v5, v11, v5 :: v_dual_cndmask_b32 v4, v10, v4
	s_delay_alu instid0(VALU_DEP_1)
	v_mul_f64_e32 v[4:5], v[2:3], v[4:5]
	s_cbranch_execz .LBB64_100
	s_branch .LBB64_101
.LBB64_99:
                                        ; implicit-def: $vgpr4_vgpr5
.LBB64_100:
	v_div_scale_f64 v[4:5], null, v[0:1], v[0:1], v[2:3]
	v_div_scale_f64 v[20:21], vcc_lo, v[2:3], v[0:1], v[2:3]
	s_delay_alu instid0(VALU_DEP_2) | instskip(SKIP_1) | instid1(TRANS32_DEP_1)
	v_rcp_f64_e32 v[10:11], v[4:5]
	v_nop
	v_fma_f64 v[12:13], -v[4:5], v[10:11], 1.0
	s_delay_alu instid0(VALU_DEP_1) | instskip(NEXT) | instid1(VALU_DEP_1)
	v_fmac_f64_e32 v[10:11], v[10:11], v[12:13]
	v_fma_f64 v[12:13], -v[4:5], v[10:11], 1.0
	s_delay_alu instid0(VALU_DEP_1) | instskip(NEXT) | instid1(VALU_DEP_1)
	v_fmac_f64_e32 v[10:11], v[10:11], v[12:13]
	v_mul_f64_e32 v[12:13], v[20:21], v[10:11]
	s_delay_alu instid0(VALU_DEP_1) | instskip(NEXT) | instid1(VALU_DEP_1)
	v_fma_f64 v[4:5], -v[4:5], v[12:13], v[20:21]
	v_div_fmas_f64 v[4:5], v[4:5], v[10:11], v[12:13]
	s_delay_alu instid0(VALU_DEP_1) | instskip(NEXT) | instid1(VALU_DEP_1)
	v_div_fixup_f64 v[2:3], v[4:5], v[0:1], v[2:3]
	v_fma_f64 v[2:3], v[2:3], v[2:3], 1.0
	s_delay_alu instid0(VALU_DEP_1) | instskip(SKIP_2) | instid1(SALU_CYCLE_1)
	v_cmp_gt_f64_e32 vcc_lo, 0x10000000, v[2:3]
	s_and_b32 s4, vcc_lo, exec_lo
	s_cselect_b32 s4, 0x100, 0
	v_ldexp_f64 v[2:3], v[2:3], s4
	s_cselect_b32 s4, 0xffffff80, 0
	s_delay_alu instid0(VALU_DEP_1) | instskip(SKIP_1) | instid1(TRANS32_DEP_1)
	v_rsq_f64_e32 v[4:5], v[2:3]
	v_cmp_class_f64_e64 vcc_lo, v[2:3], 0x260
	v_mul_f64_e32 v[10:11], v[2:3], v[4:5]
	v_mul_f64_e32 v[4:5], 0.5, v[4:5]
	s_delay_alu instid0(VALU_DEP_1) | instskip(NEXT) | instid1(VALU_DEP_1)
	v_fma_f64 v[12:13], -v[4:5], v[10:11], 0.5
	v_fmac_f64_e32 v[10:11], v[10:11], v[12:13]
	v_fmac_f64_e32 v[4:5], v[4:5], v[12:13]
	s_delay_alu instid0(VALU_DEP_2) | instskip(NEXT) | instid1(VALU_DEP_1)
	v_fma_f64 v[12:13], -v[10:11], v[10:11], v[2:3]
	v_fmac_f64_e32 v[10:11], v[12:13], v[4:5]
	s_delay_alu instid0(VALU_DEP_1) | instskip(NEXT) | instid1(VALU_DEP_1)
	v_fma_f64 v[12:13], -v[10:11], v[10:11], v[2:3]
	v_fmac_f64_e32 v[10:11], v[12:13], v[4:5]
	s_delay_alu instid0(VALU_DEP_1) | instskip(NEXT) | instid1(VALU_DEP_1)
	v_ldexp_f64 v[4:5], v[10:11], s4
	v_dual_cndmask_b32 v3, v5, v3 :: v_dual_cndmask_b32 v2, v4, v2
	s_delay_alu instid0(VALU_DEP_1)
	v_mul_f64_e32 v[4:5], v[0:1], v[2:3]
.LBB64_101:
	s_delay_alu instid0(VALU_DEP_1) | instskip(SKIP_2) | instid1(SALU_CYCLE_1)
	v_cmp_gt_f64_e32 vcc_lo, 0x10000000, v[4:5]
	s_and_b32 s4, vcc_lo, exec_lo
	s_cselect_b32 s4, 0x100, 0
	v_ldexp_f64 v[0:1], v[4:5], s4
	s_cselect_b32 s4, 0xffffff80, 0
	s_delay_alu instid0(VALU_DEP_1) | instskip(SKIP_1) | instid1(TRANS32_DEP_1)
	v_rsq_f64_e32 v[2:3], v[0:1]
	v_cmp_class_f64_e64 vcc_lo, v[0:1], 0x260
	v_mul_f64_e32 v[4:5], v[0:1], v[2:3]
	v_mul_f64_e32 v[2:3], 0.5, v[2:3]
	s_delay_alu instid0(VALU_DEP_1) | instskip(NEXT) | instid1(VALU_DEP_1)
	v_fma_f64 v[10:11], -v[2:3], v[4:5], 0.5
	v_fmac_f64_e32 v[4:5], v[4:5], v[10:11]
	v_fmac_f64_e32 v[2:3], v[2:3], v[10:11]
	s_delay_alu instid0(VALU_DEP_2) | instskip(NEXT) | instid1(VALU_DEP_1)
	v_fma_f64 v[10:11], -v[4:5], v[4:5], v[0:1]
	v_fmac_f64_e32 v[4:5], v[10:11], v[2:3]
	s_delay_alu instid0(VALU_DEP_1) | instskip(NEXT) | instid1(VALU_DEP_1)
	v_fma_f64 v[10:11], -v[4:5], v[4:5], v[0:1]
	v_fmac_f64_e32 v[4:5], v[10:11], v[2:3]
	v_mov_b32_e32 v2, 0
	s_delay_alu instid0(VALU_DEP_1) | instskip(NEXT) | instid1(VALU_DEP_3)
	v_mov_b32_e32 v3, v2
	v_ldexp_f64 v[4:5], v[4:5], s4
	s_delay_alu instid0(VALU_DEP_1)
	v_dual_cndmask_b32 v1, v5, v1 :: v_dual_cndmask_b32 v0, v4, v0
	ds_store_b128 v2, v[0:3] offset:1600
.LBB64_102:
	s_or_b32 exec_lo, exec_lo, s1
	v_mov_b32_e32 v0, 0
	s_wait_dscnt 0x0
	ds_load_b128 v[0:3], v0 offset:1600
	s_wait_dscnt 0x0
	v_cmp_neq_f64_e32 vcc_lo, 0, v[0:1]
	v_cmp_neq_f64_e64 s1, 0, v[2:3]
	s_or_b32 vcc_lo, vcc_lo, s1
	v_cndmask_b32_e32 v1, 0x3ff00000, v1, vcc_lo
	v_dual_cndmask_b32 v0, 0, v0 :: v_dual_cndmask_b32 v3, 0, v3
	v_cndmask_b32_e32 v2, 0, v2, vcc_lo
	s_nor_b32 s4, vcc_lo, s0
	s_delay_alu instid0(SALU_CYCLE_1)
	s_and_saveexec_b32 s1, s4
	s_cbranch_execz .LBB64_106
; %bb.103:
	v_mbcnt_lo_u32_b32 v0, exec_lo, 0
	s_mov_b32 s4, exec_lo
	s_delay_alu instid0(VALU_DEP_1)
	v_cmpx_eq_u32_e32 0, v0
	s_cbranch_execz .LBB64_105
; %bb.104:
	v_dual_mov_b32 v0, 0 :: v_dual_mov_b32 v1, s2
	global_atomic_min_i32 v0, v1, s[10:11] scope:SCOPE_DEV
.LBB64_105:
	s_wait_xcnt 0x0
	s_or_b32 exec_lo, exec_lo, s4
	v_mov_b64_e32 v[2:3], 0
	v_mov_b64_e32 v[0:1], 1.0
.LBB64_106:
	s_or_b32 exec_lo, exec_lo, s1
	s_delay_alu instid0(SALU_CYCLE_1)
	s_mov_b32 s1, exec_lo
	v_cmpx_lt_u32_e32 2, v15
	s_cbranch_execz .LBB64_108
; %bb.107:
	s_delay_alu instid0(VALU_DEP_2) | instskip(NEXT) | instid1(VALU_DEP_1)
	v_mul_f64_e32 v[4:5], v[2:3], v[2:3]
	v_fmac_f64_e32 v[4:5], v[0:1], v[0:1]
	s_delay_alu instid0(VALU_DEP_1) | instskip(SKIP_1) | instid1(VALU_DEP_2)
	v_div_scale_f64 v[24:25], null, v[4:5], v[4:5], 1.0
	v_div_scale_f64 v[28:29], vcc_lo, 1.0, v[4:5], 1.0
	v_rcp_f64_e32 v[26:27], v[24:25]
	v_nop
	s_delay_alu instid0(TRANS32_DEP_1) | instskip(NEXT) | instid1(VALU_DEP_1)
	v_fma_f64 v[10:11], -v[24:25], v[26:27], 1.0
	v_fmac_f64_e32 v[26:27], v[26:27], v[10:11]
	s_delay_alu instid0(VALU_DEP_1) | instskip(NEXT) | instid1(VALU_DEP_1)
	v_fma_f64 v[10:11], -v[24:25], v[26:27], 1.0
	v_fmac_f64_e32 v[26:27], v[26:27], v[10:11]
	ds_load_b128 v[10:13], v7 offset:32
	ds_load_b128 v[20:23], v19 offset:32
	s_wait_dscnt 0x0
	v_add_f64_e64 v[12:13], v[12:13], -v[22:23]
	v_add_f64_e64 v[10:11], v[10:11], -v[20:21]
	v_mul_f64_e32 v[30:31], v[28:29], v[26:27]
	s_delay_alu instid0(VALU_DEP_3) | instskip(NEXT) | instid1(VALU_DEP_3)
	v_mul_f64_e32 v[20:21], v[2:3], v[12:13]
	v_mul_f64_e64 v[2:3], v[2:3], -v[10:11]
	s_delay_alu instid0(VALU_DEP_3) | instskip(NEXT) | instid1(VALU_DEP_3)
	v_fma_f64 v[22:23], -v[24:25], v[30:31], v[28:29]
	v_fmac_f64_e32 v[20:21], v[10:11], v[0:1]
	s_delay_alu instid0(VALU_DEP_3) | instskip(NEXT) | instid1(VALU_DEP_3)
	v_fmac_f64_e32 v[2:3], v[12:13], v[0:1]
	v_div_fmas_f64 v[22:23], v[22:23], v[26:27], v[30:31]
	s_delay_alu instid0(VALU_DEP_1) | instskip(NEXT) | instid1(VALU_DEP_1)
	v_div_fixup_f64 v[4:5], v[22:23], v[4:5], 1.0
	v_mul_f64_e32 v[0:1], v[4:5], v[20:21]
	s_delay_alu instid0(VALU_DEP_4)
	v_mul_f64_e32 v[2:3], v[4:5], v[2:3]
	ds_store_b128 v7, v[0:3] offset:32
	s_wait_storecnt_dscnt 0x0
	ds_load_b128 v[10:13], v9 offset:32
	ds_load_b128 v[20:23], v18
	s_wait_dscnt 0x0
	v_fmac_f64_e32 v[20:21], v[0:1], v[10:11]
	v_fmac_f64_e32 v[22:23], v[2:3], v[10:11]
	s_delay_alu instid0(VALU_DEP_2) | instskip(NEXT) | instid1(VALU_DEP_2)
	v_fmac_f64_e32 v[20:21], v[2:3], v[12:13]
	v_fma_f64 v[22:23], v[0:1], -v[12:13], v[22:23]
	ds_store_b128 v18, v[20:23]
.LBB64_108:
	s_or_b32 exec_lo, exec_lo, s1
	s_delay_alu instid0(SALU_CYCLE_1)
	s_mov_b32 s1, exec_lo
	s_wait_storecnt_dscnt 0x0
	v_cmpx_eq_u32_e32 3, v15
	s_cbranch_execz .LBB64_115
; %bb.109:
	v_mov_b32_e32 v4, 0
	ds_load_b128 v[0:3], v4 offset:2400
	ds_load_b128 v[10:13], v4 offset:1728
	s_wait_dscnt 0x0
	v_add_f64_e64 v[0:1], v[10:11], -v[0:1]
	v_add_f64_e64 v[4:5], v[12:13], -v[2:3]
	s_delay_alu instid0(VALU_DEP_2) | instskip(SKIP_1) | instid1(VALU_DEP_3)
	v_cmp_gt_f64_e32 vcc_lo, 0, v[0:1]
	v_xor_b32_e32 v2, 0x80000000, v1
	v_xor_b32_e32 v3, 0x80000000, v5
	s_delay_alu instid0(VALU_DEP_2) | instskip(SKIP_1) | instid1(VALU_DEP_3)
	v_dual_cndmask_b32 v1, v1, v2 :: v_dual_mov_b32 v2, v4
	v_cmp_gt_f64_e32 vcc_lo, 0, v[4:5]
	v_cndmask_b32_e32 v3, v5, v3, vcc_lo
	s_delay_alu instid0(VALU_DEP_1)
	v_cmp_gt_f64_e32 vcc_lo, v[0:1], v[2:3]
	s_cbranch_vccnz .LBB64_112
; %bb.110:
	v_cmp_eq_f64_e32 vcc_lo, 0, v[4:5]
	s_cbranch_vccnz .LBB64_159
; %bb.111:
	v_div_scale_f64 v[4:5], null, v[2:3], v[2:3], v[0:1]
	v_div_scale_f64 v[20:21], vcc_lo, v[0:1], v[2:3], v[0:1]
	s_delay_alu instid0(VALU_DEP_2) | instskip(SKIP_1) | instid1(TRANS32_DEP_1)
	v_rcp_f64_e32 v[10:11], v[4:5]
	v_nop
	v_fma_f64 v[12:13], -v[4:5], v[10:11], 1.0
	s_delay_alu instid0(VALU_DEP_1) | instskip(NEXT) | instid1(VALU_DEP_1)
	v_fmac_f64_e32 v[10:11], v[10:11], v[12:13]
	v_fma_f64 v[12:13], -v[4:5], v[10:11], 1.0
	s_delay_alu instid0(VALU_DEP_1) | instskip(NEXT) | instid1(VALU_DEP_1)
	v_fmac_f64_e32 v[10:11], v[10:11], v[12:13]
	v_mul_f64_e32 v[12:13], v[20:21], v[10:11]
	s_delay_alu instid0(VALU_DEP_1) | instskip(NEXT) | instid1(VALU_DEP_1)
	v_fma_f64 v[4:5], -v[4:5], v[12:13], v[20:21]
	v_div_fmas_f64 v[4:5], v[4:5], v[10:11], v[12:13]
	s_delay_alu instid0(VALU_DEP_1) | instskip(NEXT) | instid1(VALU_DEP_1)
	v_div_fixup_f64 v[4:5], v[4:5], v[2:3], v[0:1]
	v_fma_f64 v[4:5], v[4:5], v[4:5], 1.0
	s_delay_alu instid0(VALU_DEP_1) | instskip(SKIP_2) | instid1(SALU_CYCLE_1)
	v_cmp_gt_f64_e32 vcc_lo, 0x10000000, v[4:5]
	s_and_b32 s4, vcc_lo, exec_lo
	s_cselect_b32 s4, 0x100, 0
	v_ldexp_f64 v[4:5], v[4:5], s4
	s_cselect_b32 s4, 0xffffff80, 0
	s_delay_alu instid0(VALU_DEP_1) | instskip(SKIP_1) | instid1(TRANS32_DEP_1)
	v_rsq_f64_e32 v[10:11], v[4:5]
	v_cmp_class_f64_e64 vcc_lo, v[4:5], 0x260
	v_mul_f64_e32 v[12:13], v[4:5], v[10:11]
	v_mul_f64_e32 v[10:11], 0.5, v[10:11]
	s_delay_alu instid0(VALU_DEP_1) | instskip(NEXT) | instid1(VALU_DEP_1)
	v_fma_f64 v[20:21], -v[10:11], v[12:13], 0.5
	v_fmac_f64_e32 v[12:13], v[12:13], v[20:21]
	v_fmac_f64_e32 v[10:11], v[10:11], v[20:21]
	s_delay_alu instid0(VALU_DEP_2) | instskip(NEXT) | instid1(VALU_DEP_1)
	v_fma_f64 v[20:21], -v[12:13], v[12:13], v[4:5]
	v_fmac_f64_e32 v[12:13], v[20:21], v[10:11]
	s_delay_alu instid0(VALU_DEP_1) | instskip(NEXT) | instid1(VALU_DEP_1)
	v_fma_f64 v[20:21], -v[12:13], v[12:13], v[4:5]
	v_fmac_f64_e32 v[12:13], v[20:21], v[10:11]
	s_delay_alu instid0(VALU_DEP_1) | instskip(NEXT) | instid1(VALU_DEP_1)
	v_ldexp_f64 v[10:11], v[12:13], s4
	v_dual_cndmask_b32 v5, v11, v5 :: v_dual_cndmask_b32 v4, v10, v4
	s_delay_alu instid0(VALU_DEP_1)
	v_mul_f64_e32 v[4:5], v[2:3], v[4:5]
	s_cbranch_execz .LBB64_113
	s_branch .LBB64_114
.LBB64_112:
                                        ; implicit-def: $vgpr4_vgpr5
.LBB64_113:
	v_div_scale_f64 v[4:5], null, v[0:1], v[0:1], v[2:3]
	v_div_scale_f64 v[20:21], vcc_lo, v[2:3], v[0:1], v[2:3]
	s_delay_alu instid0(VALU_DEP_2) | instskip(SKIP_1) | instid1(TRANS32_DEP_1)
	v_rcp_f64_e32 v[10:11], v[4:5]
	v_nop
	v_fma_f64 v[12:13], -v[4:5], v[10:11], 1.0
	s_delay_alu instid0(VALU_DEP_1) | instskip(NEXT) | instid1(VALU_DEP_1)
	v_fmac_f64_e32 v[10:11], v[10:11], v[12:13]
	v_fma_f64 v[12:13], -v[4:5], v[10:11], 1.0
	s_delay_alu instid0(VALU_DEP_1) | instskip(NEXT) | instid1(VALU_DEP_1)
	v_fmac_f64_e32 v[10:11], v[10:11], v[12:13]
	v_mul_f64_e32 v[12:13], v[20:21], v[10:11]
	s_delay_alu instid0(VALU_DEP_1) | instskip(NEXT) | instid1(VALU_DEP_1)
	v_fma_f64 v[4:5], -v[4:5], v[12:13], v[20:21]
	v_div_fmas_f64 v[4:5], v[4:5], v[10:11], v[12:13]
	s_delay_alu instid0(VALU_DEP_1) | instskip(NEXT) | instid1(VALU_DEP_1)
	v_div_fixup_f64 v[2:3], v[4:5], v[0:1], v[2:3]
	v_fma_f64 v[2:3], v[2:3], v[2:3], 1.0
	s_delay_alu instid0(VALU_DEP_1) | instskip(SKIP_2) | instid1(SALU_CYCLE_1)
	v_cmp_gt_f64_e32 vcc_lo, 0x10000000, v[2:3]
	s_and_b32 s4, vcc_lo, exec_lo
	s_cselect_b32 s4, 0x100, 0
	v_ldexp_f64 v[2:3], v[2:3], s4
	s_cselect_b32 s4, 0xffffff80, 0
	s_delay_alu instid0(VALU_DEP_1) | instskip(SKIP_1) | instid1(TRANS32_DEP_1)
	v_rsq_f64_e32 v[4:5], v[2:3]
	v_cmp_class_f64_e64 vcc_lo, v[2:3], 0x260
	v_mul_f64_e32 v[10:11], v[2:3], v[4:5]
	v_mul_f64_e32 v[4:5], 0.5, v[4:5]
	s_delay_alu instid0(VALU_DEP_1) | instskip(NEXT) | instid1(VALU_DEP_1)
	v_fma_f64 v[12:13], -v[4:5], v[10:11], 0.5
	v_fmac_f64_e32 v[10:11], v[10:11], v[12:13]
	v_fmac_f64_e32 v[4:5], v[4:5], v[12:13]
	s_delay_alu instid0(VALU_DEP_2) | instskip(NEXT) | instid1(VALU_DEP_1)
	v_fma_f64 v[12:13], -v[10:11], v[10:11], v[2:3]
	v_fmac_f64_e32 v[10:11], v[12:13], v[4:5]
	s_delay_alu instid0(VALU_DEP_1) | instskip(NEXT) | instid1(VALU_DEP_1)
	v_fma_f64 v[12:13], -v[10:11], v[10:11], v[2:3]
	v_fmac_f64_e32 v[10:11], v[12:13], v[4:5]
	s_delay_alu instid0(VALU_DEP_1) | instskip(NEXT) | instid1(VALU_DEP_1)
	v_ldexp_f64 v[4:5], v[10:11], s4
	v_dual_cndmask_b32 v3, v5, v3 :: v_dual_cndmask_b32 v2, v4, v2
	s_delay_alu instid0(VALU_DEP_1)
	v_mul_f64_e32 v[4:5], v[0:1], v[2:3]
.LBB64_114:
	s_delay_alu instid0(VALU_DEP_1) | instskip(SKIP_2) | instid1(SALU_CYCLE_1)
	v_cmp_gt_f64_e32 vcc_lo, 0x10000000, v[4:5]
	s_and_b32 s4, vcc_lo, exec_lo
	s_cselect_b32 s4, 0x100, 0
	v_ldexp_f64 v[0:1], v[4:5], s4
	s_cselect_b32 s4, 0xffffff80, 0
	s_delay_alu instid0(VALU_DEP_1) | instskip(SKIP_1) | instid1(TRANS32_DEP_1)
	v_rsq_f64_e32 v[2:3], v[0:1]
	v_cmp_class_f64_e64 vcc_lo, v[0:1], 0x260
	v_mul_f64_e32 v[4:5], v[0:1], v[2:3]
	v_mul_f64_e32 v[2:3], 0.5, v[2:3]
	s_delay_alu instid0(VALU_DEP_1) | instskip(NEXT) | instid1(VALU_DEP_1)
	v_fma_f64 v[10:11], -v[2:3], v[4:5], 0.5
	v_fmac_f64_e32 v[4:5], v[4:5], v[10:11]
	v_fmac_f64_e32 v[2:3], v[2:3], v[10:11]
	s_delay_alu instid0(VALU_DEP_2) | instskip(NEXT) | instid1(VALU_DEP_1)
	v_fma_f64 v[10:11], -v[4:5], v[4:5], v[0:1]
	v_fmac_f64_e32 v[4:5], v[10:11], v[2:3]
	s_delay_alu instid0(VALU_DEP_1) | instskip(NEXT) | instid1(VALU_DEP_1)
	v_fma_f64 v[10:11], -v[4:5], v[4:5], v[0:1]
	v_fmac_f64_e32 v[4:5], v[10:11], v[2:3]
	v_mov_b32_e32 v2, 0
	s_delay_alu instid0(VALU_DEP_1) | instskip(NEXT) | instid1(VALU_DEP_3)
	v_mov_b32_e32 v3, v2
	v_ldexp_f64 v[4:5], v[4:5], s4
	s_delay_alu instid0(VALU_DEP_1)
	v_dual_cndmask_b32 v1, v5, v1 :: v_dual_cndmask_b32 v0, v4, v0
	ds_store_b128 v2, v[0:3] offset:1728
.LBB64_115:
	s_or_b32 exec_lo, exec_lo, s1
	v_mov_b32_e32 v0, 0
	s_wait_dscnt 0x0
	ds_load_b128 v[0:3], v0 offset:1728
	s_wait_dscnt 0x0
	v_cmp_neq_f64_e32 vcc_lo, 0, v[0:1]
	v_cmp_neq_f64_e64 s1, 0, v[2:3]
	s_or_b32 vcc_lo, vcc_lo, s1
	v_cndmask_b32_e32 v1, 0x3ff00000, v1, vcc_lo
	v_dual_cndmask_b32 v0, 0, v0 :: v_dual_cndmask_b32 v3, 0, v3
	v_cndmask_b32_e32 v2, 0, v2, vcc_lo
	s_nor_b32 s4, vcc_lo, s0
	s_delay_alu instid0(SALU_CYCLE_1)
	s_and_saveexec_b32 s1, s4
	s_cbranch_execz .LBB64_119
; %bb.116:
	v_mbcnt_lo_u32_b32 v0, exec_lo, 0
	s_mov_b32 s4, exec_lo
	s_delay_alu instid0(VALU_DEP_1)
	v_cmpx_eq_u32_e32 0, v0
	s_cbranch_execz .LBB64_118
; %bb.117:
	v_dual_mov_b32 v0, 0 :: v_dual_mov_b32 v1, s2
	global_atomic_min_i32 v0, v1, s[10:11] scope:SCOPE_DEV
.LBB64_118:
	s_wait_xcnt 0x0
	s_or_b32 exec_lo, exec_lo, s4
	v_mov_b64_e32 v[2:3], 0
	v_mov_b64_e32 v[0:1], 1.0
.LBB64_119:
	s_or_b32 exec_lo, exec_lo, s1
	s_delay_alu instid0(SALU_CYCLE_1)
	s_mov_b32 s1, exec_lo
	v_cmpx_lt_u32_e32 3, v15
	s_cbranch_execz .LBB64_121
; %bb.120:
	s_delay_alu instid0(VALU_DEP_2) | instskip(NEXT) | instid1(VALU_DEP_1)
	v_mul_f64_e32 v[4:5], v[2:3], v[2:3]
	v_fmac_f64_e32 v[4:5], v[0:1], v[0:1]
	s_delay_alu instid0(VALU_DEP_1) | instskip(SKIP_1) | instid1(VALU_DEP_2)
	v_div_scale_f64 v[24:25], null, v[4:5], v[4:5], 1.0
	v_div_scale_f64 v[28:29], vcc_lo, 1.0, v[4:5], 1.0
	v_rcp_f64_e32 v[26:27], v[24:25]
	v_nop
	s_delay_alu instid0(TRANS32_DEP_1) | instskip(NEXT) | instid1(VALU_DEP_1)
	v_fma_f64 v[10:11], -v[24:25], v[26:27], 1.0
	v_fmac_f64_e32 v[26:27], v[26:27], v[10:11]
	s_delay_alu instid0(VALU_DEP_1) | instskip(NEXT) | instid1(VALU_DEP_1)
	v_fma_f64 v[10:11], -v[24:25], v[26:27], 1.0
	v_fmac_f64_e32 v[26:27], v[26:27], v[10:11]
	ds_load_b128 v[10:13], v7 offset:48
	ds_load_b128 v[20:23], v19 offset:48
	s_wait_dscnt 0x0
	v_add_f64_e64 v[12:13], v[12:13], -v[22:23]
	v_add_f64_e64 v[10:11], v[10:11], -v[20:21]
	v_mul_f64_e32 v[30:31], v[28:29], v[26:27]
	s_delay_alu instid0(VALU_DEP_3) | instskip(NEXT) | instid1(VALU_DEP_3)
	v_mul_f64_e32 v[20:21], v[2:3], v[12:13]
	v_mul_f64_e64 v[2:3], v[2:3], -v[10:11]
	s_delay_alu instid0(VALU_DEP_3) | instskip(NEXT) | instid1(VALU_DEP_3)
	v_fma_f64 v[22:23], -v[24:25], v[30:31], v[28:29]
	v_fmac_f64_e32 v[20:21], v[10:11], v[0:1]
	s_delay_alu instid0(VALU_DEP_3) | instskip(NEXT) | instid1(VALU_DEP_3)
	v_fmac_f64_e32 v[2:3], v[12:13], v[0:1]
	v_div_fmas_f64 v[22:23], v[22:23], v[26:27], v[30:31]
	s_delay_alu instid0(VALU_DEP_1) | instskip(NEXT) | instid1(VALU_DEP_1)
	v_div_fixup_f64 v[4:5], v[22:23], v[4:5], 1.0
	v_mul_f64_e32 v[0:1], v[4:5], v[20:21]
	s_delay_alu instid0(VALU_DEP_4)
	v_mul_f64_e32 v[2:3], v[4:5], v[2:3]
	ds_store_b128 v7, v[0:3] offset:48
	s_wait_storecnt_dscnt 0x0
	ds_load_b128 v[10:13], v9 offset:48
	ds_load_b128 v[20:23], v18
	s_wait_dscnt 0x0
	v_fmac_f64_e32 v[20:21], v[0:1], v[10:11]
	v_fmac_f64_e32 v[22:23], v[2:3], v[10:11]
	s_delay_alu instid0(VALU_DEP_2) | instskip(NEXT) | instid1(VALU_DEP_2)
	v_fmac_f64_e32 v[20:21], v[2:3], v[12:13]
	v_fma_f64 v[22:23], v[0:1], -v[12:13], v[22:23]
	ds_store_b128 v18, v[20:23]
.LBB64_121:
	s_or_b32 exec_lo, exec_lo, s1
	s_delay_alu instid0(SALU_CYCLE_1)
	s_mov_b32 s1, exec_lo
	s_wait_storecnt_dscnt 0x0
	v_cmpx_eq_u32_e32 4, v15
	s_cbranch_execz .LBB64_128
; %bb.122:
	v_mov_b32_e32 v4, 0
	ds_load_b128 v[0:3], v4 offset:2528
	ds_load_b128 v[10:13], v4 offset:1856
	s_wait_dscnt 0x0
	v_add_f64_e64 v[0:1], v[10:11], -v[0:1]
	v_add_f64_e64 v[4:5], v[12:13], -v[2:3]
	s_delay_alu instid0(VALU_DEP_2) | instskip(SKIP_1) | instid1(VALU_DEP_3)
	v_cmp_gt_f64_e32 vcc_lo, 0, v[0:1]
	v_xor_b32_e32 v2, 0x80000000, v1
	v_xor_b32_e32 v3, 0x80000000, v5
	s_delay_alu instid0(VALU_DEP_2) | instskip(SKIP_1) | instid1(VALU_DEP_3)
	v_dual_cndmask_b32 v1, v1, v2 :: v_dual_mov_b32 v2, v4
	v_cmp_gt_f64_e32 vcc_lo, 0, v[4:5]
	v_cndmask_b32_e32 v3, v5, v3, vcc_lo
	s_delay_alu instid0(VALU_DEP_1)
	v_cmp_gt_f64_e32 vcc_lo, v[0:1], v[2:3]
	s_cbranch_vccnz .LBB64_125
; %bb.123:
	v_cmp_eq_f64_e32 vcc_lo, 0, v[4:5]
	s_cbranch_vccnz .LBB64_160
; %bb.124:
	v_div_scale_f64 v[4:5], null, v[2:3], v[2:3], v[0:1]
	v_div_scale_f64 v[20:21], vcc_lo, v[0:1], v[2:3], v[0:1]
	s_delay_alu instid0(VALU_DEP_2) | instskip(SKIP_1) | instid1(TRANS32_DEP_1)
	v_rcp_f64_e32 v[10:11], v[4:5]
	v_nop
	v_fma_f64 v[12:13], -v[4:5], v[10:11], 1.0
	s_delay_alu instid0(VALU_DEP_1) | instskip(NEXT) | instid1(VALU_DEP_1)
	v_fmac_f64_e32 v[10:11], v[10:11], v[12:13]
	v_fma_f64 v[12:13], -v[4:5], v[10:11], 1.0
	s_delay_alu instid0(VALU_DEP_1) | instskip(NEXT) | instid1(VALU_DEP_1)
	v_fmac_f64_e32 v[10:11], v[10:11], v[12:13]
	v_mul_f64_e32 v[12:13], v[20:21], v[10:11]
	s_delay_alu instid0(VALU_DEP_1) | instskip(NEXT) | instid1(VALU_DEP_1)
	v_fma_f64 v[4:5], -v[4:5], v[12:13], v[20:21]
	v_div_fmas_f64 v[4:5], v[4:5], v[10:11], v[12:13]
	s_delay_alu instid0(VALU_DEP_1) | instskip(NEXT) | instid1(VALU_DEP_1)
	v_div_fixup_f64 v[4:5], v[4:5], v[2:3], v[0:1]
	v_fma_f64 v[4:5], v[4:5], v[4:5], 1.0
	s_delay_alu instid0(VALU_DEP_1) | instskip(SKIP_2) | instid1(SALU_CYCLE_1)
	v_cmp_gt_f64_e32 vcc_lo, 0x10000000, v[4:5]
	s_and_b32 s4, vcc_lo, exec_lo
	s_cselect_b32 s4, 0x100, 0
	v_ldexp_f64 v[4:5], v[4:5], s4
	s_cselect_b32 s4, 0xffffff80, 0
	s_delay_alu instid0(VALU_DEP_1) | instskip(SKIP_1) | instid1(TRANS32_DEP_1)
	v_rsq_f64_e32 v[10:11], v[4:5]
	v_cmp_class_f64_e64 vcc_lo, v[4:5], 0x260
	v_mul_f64_e32 v[12:13], v[4:5], v[10:11]
	v_mul_f64_e32 v[10:11], 0.5, v[10:11]
	s_delay_alu instid0(VALU_DEP_1) | instskip(NEXT) | instid1(VALU_DEP_1)
	v_fma_f64 v[20:21], -v[10:11], v[12:13], 0.5
	v_fmac_f64_e32 v[12:13], v[12:13], v[20:21]
	v_fmac_f64_e32 v[10:11], v[10:11], v[20:21]
	s_delay_alu instid0(VALU_DEP_2) | instskip(NEXT) | instid1(VALU_DEP_1)
	v_fma_f64 v[20:21], -v[12:13], v[12:13], v[4:5]
	v_fmac_f64_e32 v[12:13], v[20:21], v[10:11]
	s_delay_alu instid0(VALU_DEP_1) | instskip(NEXT) | instid1(VALU_DEP_1)
	v_fma_f64 v[20:21], -v[12:13], v[12:13], v[4:5]
	v_fmac_f64_e32 v[12:13], v[20:21], v[10:11]
	s_delay_alu instid0(VALU_DEP_1) | instskip(NEXT) | instid1(VALU_DEP_1)
	v_ldexp_f64 v[10:11], v[12:13], s4
	v_dual_cndmask_b32 v5, v11, v5 :: v_dual_cndmask_b32 v4, v10, v4
	s_delay_alu instid0(VALU_DEP_1)
	v_mul_f64_e32 v[4:5], v[2:3], v[4:5]
	s_cbranch_execz .LBB64_126
	s_branch .LBB64_127
.LBB64_125:
                                        ; implicit-def: $vgpr4_vgpr5
.LBB64_126:
	v_div_scale_f64 v[4:5], null, v[0:1], v[0:1], v[2:3]
	v_div_scale_f64 v[20:21], vcc_lo, v[2:3], v[0:1], v[2:3]
	s_delay_alu instid0(VALU_DEP_2) | instskip(SKIP_1) | instid1(TRANS32_DEP_1)
	v_rcp_f64_e32 v[10:11], v[4:5]
	v_nop
	v_fma_f64 v[12:13], -v[4:5], v[10:11], 1.0
	s_delay_alu instid0(VALU_DEP_1) | instskip(NEXT) | instid1(VALU_DEP_1)
	v_fmac_f64_e32 v[10:11], v[10:11], v[12:13]
	v_fma_f64 v[12:13], -v[4:5], v[10:11], 1.0
	s_delay_alu instid0(VALU_DEP_1) | instskip(NEXT) | instid1(VALU_DEP_1)
	v_fmac_f64_e32 v[10:11], v[10:11], v[12:13]
	v_mul_f64_e32 v[12:13], v[20:21], v[10:11]
	s_delay_alu instid0(VALU_DEP_1) | instskip(NEXT) | instid1(VALU_DEP_1)
	v_fma_f64 v[4:5], -v[4:5], v[12:13], v[20:21]
	v_div_fmas_f64 v[4:5], v[4:5], v[10:11], v[12:13]
	s_delay_alu instid0(VALU_DEP_1) | instskip(NEXT) | instid1(VALU_DEP_1)
	v_div_fixup_f64 v[2:3], v[4:5], v[0:1], v[2:3]
	v_fma_f64 v[2:3], v[2:3], v[2:3], 1.0
	s_delay_alu instid0(VALU_DEP_1) | instskip(SKIP_2) | instid1(SALU_CYCLE_1)
	v_cmp_gt_f64_e32 vcc_lo, 0x10000000, v[2:3]
	s_and_b32 s4, vcc_lo, exec_lo
	s_cselect_b32 s4, 0x100, 0
	v_ldexp_f64 v[2:3], v[2:3], s4
	s_cselect_b32 s4, 0xffffff80, 0
	s_delay_alu instid0(VALU_DEP_1) | instskip(SKIP_1) | instid1(TRANS32_DEP_1)
	v_rsq_f64_e32 v[4:5], v[2:3]
	v_cmp_class_f64_e64 vcc_lo, v[2:3], 0x260
	v_mul_f64_e32 v[10:11], v[2:3], v[4:5]
	v_mul_f64_e32 v[4:5], 0.5, v[4:5]
	s_delay_alu instid0(VALU_DEP_1) | instskip(NEXT) | instid1(VALU_DEP_1)
	v_fma_f64 v[12:13], -v[4:5], v[10:11], 0.5
	v_fmac_f64_e32 v[10:11], v[10:11], v[12:13]
	v_fmac_f64_e32 v[4:5], v[4:5], v[12:13]
	s_delay_alu instid0(VALU_DEP_2) | instskip(NEXT) | instid1(VALU_DEP_1)
	v_fma_f64 v[12:13], -v[10:11], v[10:11], v[2:3]
	v_fmac_f64_e32 v[10:11], v[12:13], v[4:5]
	s_delay_alu instid0(VALU_DEP_1) | instskip(NEXT) | instid1(VALU_DEP_1)
	v_fma_f64 v[12:13], -v[10:11], v[10:11], v[2:3]
	v_fmac_f64_e32 v[10:11], v[12:13], v[4:5]
	s_delay_alu instid0(VALU_DEP_1) | instskip(NEXT) | instid1(VALU_DEP_1)
	v_ldexp_f64 v[4:5], v[10:11], s4
	v_dual_cndmask_b32 v3, v5, v3 :: v_dual_cndmask_b32 v2, v4, v2
	s_delay_alu instid0(VALU_DEP_1)
	v_mul_f64_e32 v[4:5], v[0:1], v[2:3]
.LBB64_127:
	s_delay_alu instid0(VALU_DEP_1) | instskip(SKIP_2) | instid1(SALU_CYCLE_1)
	v_cmp_gt_f64_e32 vcc_lo, 0x10000000, v[4:5]
	s_and_b32 s4, vcc_lo, exec_lo
	s_cselect_b32 s4, 0x100, 0
	v_ldexp_f64 v[0:1], v[4:5], s4
	s_cselect_b32 s4, 0xffffff80, 0
	s_delay_alu instid0(VALU_DEP_1) | instskip(SKIP_1) | instid1(TRANS32_DEP_1)
	v_rsq_f64_e32 v[2:3], v[0:1]
	v_cmp_class_f64_e64 vcc_lo, v[0:1], 0x260
	v_mul_f64_e32 v[4:5], v[0:1], v[2:3]
	v_mul_f64_e32 v[2:3], 0.5, v[2:3]
	s_delay_alu instid0(VALU_DEP_1) | instskip(NEXT) | instid1(VALU_DEP_1)
	v_fma_f64 v[10:11], -v[2:3], v[4:5], 0.5
	v_fmac_f64_e32 v[4:5], v[4:5], v[10:11]
	v_fmac_f64_e32 v[2:3], v[2:3], v[10:11]
	s_delay_alu instid0(VALU_DEP_2) | instskip(NEXT) | instid1(VALU_DEP_1)
	v_fma_f64 v[10:11], -v[4:5], v[4:5], v[0:1]
	v_fmac_f64_e32 v[4:5], v[10:11], v[2:3]
	s_delay_alu instid0(VALU_DEP_1) | instskip(NEXT) | instid1(VALU_DEP_1)
	v_fma_f64 v[10:11], -v[4:5], v[4:5], v[0:1]
	v_fmac_f64_e32 v[4:5], v[10:11], v[2:3]
	v_mov_b32_e32 v2, 0
	s_delay_alu instid0(VALU_DEP_1) | instskip(NEXT) | instid1(VALU_DEP_3)
	v_mov_b32_e32 v3, v2
	v_ldexp_f64 v[4:5], v[4:5], s4
	s_delay_alu instid0(VALU_DEP_1)
	v_dual_cndmask_b32 v1, v5, v1 :: v_dual_cndmask_b32 v0, v4, v0
	ds_store_b128 v2, v[0:3] offset:1856
.LBB64_128:
	s_or_b32 exec_lo, exec_lo, s1
	v_mov_b32_e32 v0, 0
	s_wait_dscnt 0x0
	ds_load_b128 v[0:3], v0 offset:1856
	s_wait_dscnt 0x0
	v_cmp_neq_f64_e32 vcc_lo, 0, v[0:1]
	v_cmp_neq_f64_e64 s1, 0, v[2:3]
	s_or_b32 vcc_lo, vcc_lo, s1
	v_cndmask_b32_e32 v1, 0x3ff00000, v1, vcc_lo
	v_dual_cndmask_b32 v0, 0, v0 :: v_dual_cndmask_b32 v3, 0, v3
	v_cndmask_b32_e32 v2, 0, v2, vcc_lo
	s_nor_b32 s4, vcc_lo, s0
	s_delay_alu instid0(SALU_CYCLE_1)
	s_and_saveexec_b32 s1, s4
	s_cbranch_execz .LBB64_132
; %bb.129:
	v_mbcnt_lo_u32_b32 v0, exec_lo, 0
	s_mov_b32 s4, exec_lo
	s_delay_alu instid0(VALU_DEP_1)
	v_cmpx_eq_u32_e32 0, v0
	s_cbranch_execz .LBB64_131
; %bb.130:
	v_dual_mov_b32 v0, 0 :: v_dual_mov_b32 v1, s2
	global_atomic_min_i32 v0, v1, s[10:11] scope:SCOPE_DEV
.LBB64_131:
	s_wait_xcnt 0x0
	s_or_b32 exec_lo, exec_lo, s4
	v_mov_b64_e32 v[2:3], 0
	v_mov_b64_e32 v[0:1], 1.0
.LBB64_132:
	s_or_b32 exec_lo, exec_lo, s1
	s_delay_alu instid0(SALU_CYCLE_1)
	s_mov_b32 s1, exec_lo
	v_cmpx_lt_u32_e32 4, v15
	s_cbranch_execz .LBB64_134
; %bb.133:
	s_delay_alu instid0(VALU_DEP_2) | instskip(NEXT) | instid1(VALU_DEP_1)
	v_mul_f64_e32 v[4:5], v[2:3], v[2:3]
	v_fmac_f64_e32 v[4:5], v[0:1], v[0:1]
	s_delay_alu instid0(VALU_DEP_1) | instskip(SKIP_1) | instid1(VALU_DEP_2)
	v_div_scale_f64 v[24:25], null, v[4:5], v[4:5], 1.0
	v_div_scale_f64 v[28:29], vcc_lo, 1.0, v[4:5], 1.0
	v_rcp_f64_e32 v[26:27], v[24:25]
	v_nop
	s_delay_alu instid0(TRANS32_DEP_1) | instskip(NEXT) | instid1(VALU_DEP_1)
	v_fma_f64 v[10:11], -v[24:25], v[26:27], 1.0
	v_fmac_f64_e32 v[26:27], v[26:27], v[10:11]
	s_delay_alu instid0(VALU_DEP_1) | instskip(NEXT) | instid1(VALU_DEP_1)
	v_fma_f64 v[10:11], -v[24:25], v[26:27], 1.0
	v_fmac_f64_e32 v[26:27], v[26:27], v[10:11]
	ds_load_b128 v[10:13], v7 offset:64
	ds_load_b128 v[20:23], v19 offset:64
	s_wait_dscnt 0x0
	v_add_f64_e64 v[12:13], v[12:13], -v[22:23]
	v_add_f64_e64 v[10:11], v[10:11], -v[20:21]
	v_mul_f64_e32 v[30:31], v[28:29], v[26:27]
	s_delay_alu instid0(VALU_DEP_3) | instskip(NEXT) | instid1(VALU_DEP_3)
	v_mul_f64_e32 v[20:21], v[2:3], v[12:13]
	v_mul_f64_e64 v[2:3], v[2:3], -v[10:11]
	s_delay_alu instid0(VALU_DEP_3) | instskip(NEXT) | instid1(VALU_DEP_3)
	v_fma_f64 v[22:23], -v[24:25], v[30:31], v[28:29]
	v_fmac_f64_e32 v[20:21], v[10:11], v[0:1]
	s_delay_alu instid0(VALU_DEP_3) | instskip(NEXT) | instid1(VALU_DEP_3)
	v_fmac_f64_e32 v[2:3], v[12:13], v[0:1]
	v_div_fmas_f64 v[22:23], v[22:23], v[26:27], v[30:31]
	s_delay_alu instid0(VALU_DEP_1) | instskip(NEXT) | instid1(VALU_DEP_1)
	v_div_fixup_f64 v[4:5], v[22:23], v[4:5], 1.0
	v_mul_f64_e32 v[0:1], v[4:5], v[20:21]
	s_delay_alu instid0(VALU_DEP_4)
	v_mul_f64_e32 v[2:3], v[4:5], v[2:3]
	ds_store_b128 v7, v[0:3] offset:64
	s_wait_storecnt_dscnt 0x0
	ds_load_b128 v[10:13], v9 offset:64
	ds_load_b128 v[20:23], v18
	s_wait_dscnt 0x0
	v_fmac_f64_e32 v[20:21], v[0:1], v[10:11]
	v_fmac_f64_e32 v[22:23], v[2:3], v[10:11]
	s_delay_alu instid0(VALU_DEP_2) | instskip(NEXT) | instid1(VALU_DEP_2)
	v_fmac_f64_e32 v[20:21], v[2:3], v[12:13]
	v_fma_f64 v[22:23], v[0:1], -v[12:13], v[22:23]
	ds_store_b128 v18, v[20:23]
.LBB64_134:
	s_or_b32 exec_lo, exec_lo, s1
	s_delay_alu instid0(SALU_CYCLE_1)
	s_mov_b32 s1, exec_lo
	s_wait_storecnt_dscnt 0x0
	v_cmpx_eq_u32_e32 5, v15
	s_cbranch_execz .LBB64_141
; %bb.135:
	v_mov_b32_e32 v4, 0
	ds_load_b128 v[0:3], v4 offset:2656
	ds_load_b128 v[10:13], v4 offset:1984
	s_wait_dscnt 0x0
	v_add_f64_e64 v[0:1], v[10:11], -v[0:1]
	v_add_f64_e64 v[4:5], v[12:13], -v[2:3]
	s_delay_alu instid0(VALU_DEP_2) | instskip(SKIP_1) | instid1(VALU_DEP_3)
	v_cmp_gt_f64_e32 vcc_lo, 0, v[0:1]
	v_xor_b32_e32 v2, 0x80000000, v1
	v_xor_b32_e32 v3, 0x80000000, v5
	s_delay_alu instid0(VALU_DEP_2) | instskip(SKIP_1) | instid1(VALU_DEP_3)
	v_dual_cndmask_b32 v1, v1, v2 :: v_dual_mov_b32 v2, v4
	v_cmp_gt_f64_e32 vcc_lo, 0, v[4:5]
	v_cndmask_b32_e32 v3, v5, v3, vcc_lo
	s_delay_alu instid0(VALU_DEP_1)
	v_cmp_gt_f64_e32 vcc_lo, v[0:1], v[2:3]
	s_cbranch_vccnz .LBB64_138
; %bb.136:
	v_cmp_eq_f64_e32 vcc_lo, 0, v[4:5]
	s_cbranch_vccnz .LBB64_161
; %bb.137:
	v_div_scale_f64 v[4:5], null, v[2:3], v[2:3], v[0:1]
	v_div_scale_f64 v[20:21], vcc_lo, v[0:1], v[2:3], v[0:1]
	s_delay_alu instid0(VALU_DEP_2) | instskip(SKIP_1) | instid1(TRANS32_DEP_1)
	v_rcp_f64_e32 v[10:11], v[4:5]
	v_nop
	v_fma_f64 v[12:13], -v[4:5], v[10:11], 1.0
	s_delay_alu instid0(VALU_DEP_1) | instskip(NEXT) | instid1(VALU_DEP_1)
	v_fmac_f64_e32 v[10:11], v[10:11], v[12:13]
	v_fma_f64 v[12:13], -v[4:5], v[10:11], 1.0
	s_delay_alu instid0(VALU_DEP_1) | instskip(NEXT) | instid1(VALU_DEP_1)
	v_fmac_f64_e32 v[10:11], v[10:11], v[12:13]
	v_mul_f64_e32 v[12:13], v[20:21], v[10:11]
	s_delay_alu instid0(VALU_DEP_1) | instskip(NEXT) | instid1(VALU_DEP_1)
	v_fma_f64 v[4:5], -v[4:5], v[12:13], v[20:21]
	v_div_fmas_f64 v[4:5], v[4:5], v[10:11], v[12:13]
	s_delay_alu instid0(VALU_DEP_1) | instskip(NEXT) | instid1(VALU_DEP_1)
	v_div_fixup_f64 v[4:5], v[4:5], v[2:3], v[0:1]
	v_fma_f64 v[4:5], v[4:5], v[4:5], 1.0
	s_delay_alu instid0(VALU_DEP_1) | instskip(SKIP_2) | instid1(SALU_CYCLE_1)
	v_cmp_gt_f64_e32 vcc_lo, 0x10000000, v[4:5]
	s_and_b32 s4, vcc_lo, exec_lo
	s_cselect_b32 s4, 0x100, 0
	v_ldexp_f64 v[4:5], v[4:5], s4
	s_cselect_b32 s4, 0xffffff80, 0
	s_delay_alu instid0(VALU_DEP_1) | instskip(SKIP_1) | instid1(TRANS32_DEP_1)
	v_rsq_f64_e32 v[10:11], v[4:5]
	v_cmp_class_f64_e64 vcc_lo, v[4:5], 0x260
	v_mul_f64_e32 v[12:13], v[4:5], v[10:11]
	v_mul_f64_e32 v[10:11], 0.5, v[10:11]
	s_delay_alu instid0(VALU_DEP_1) | instskip(NEXT) | instid1(VALU_DEP_1)
	v_fma_f64 v[20:21], -v[10:11], v[12:13], 0.5
	v_fmac_f64_e32 v[12:13], v[12:13], v[20:21]
	v_fmac_f64_e32 v[10:11], v[10:11], v[20:21]
	s_delay_alu instid0(VALU_DEP_2) | instskip(NEXT) | instid1(VALU_DEP_1)
	v_fma_f64 v[20:21], -v[12:13], v[12:13], v[4:5]
	v_fmac_f64_e32 v[12:13], v[20:21], v[10:11]
	s_delay_alu instid0(VALU_DEP_1) | instskip(NEXT) | instid1(VALU_DEP_1)
	v_fma_f64 v[20:21], -v[12:13], v[12:13], v[4:5]
	v_fmac_f64_e32 v[12:13], v[20:21], v[10:11]
	s_delay_alu instid0(VALU_DEP_1) | instskip(NEXT) | instid1(VALU_DEP_1)
	v_ldexp_f64 v[10:11], v[12:13], s4
	v_dual_cndmask_b32 v5, v11, v5 :: v_dual_cndmask_b32 v4, v10, v4
	s_delay_alu instid0(VALU_DEP_1)
	v_mul_f64_e32 v[4:5], v[2:3], v[4:5]
	s_cbranch_execz .LBB64_139
	s_branch .LBB64_140
.LBB64_138:
                                        ; implicit-def: $vgpr4_vgpr5
.LBB64_139:
	v_div_scale_f64 v[4:5], null, v[0:1], v[0:1], v[2:3]
	v_div_scale_f64 v[20:21], vcc_lo, v[2:3], v[0:1], v[2:3]
	s_delay_alu instid0(VALU_DEP_2) | instskip(SKIP_1) | instid1(TRANS32_DEP_1)
	v_rcp_f64_e32 v[10:11], v[4:5]
	v_nop
	v_fma_f64 v[12:13], -v[4:5], v[10:11], 1.0
	s_delay_alu instid0(VALU_DEP_1) | instskip(NEXT) | instid1(VALU_DEP_1)
	v_fmac_f64_e32 v[10:11], v[10:11], v[12:13]
	v_fma_f64 v[12:13], -v[4:5], v[10:11], 1.0
	s_delay_alu instid0(VALU_DEP_1) | instskip(NEXT) | instid1(VALU_DEP_1)
	v_fmac_f64_e32 v[10:11], v[10:11], v[12:13]
	v_mul_f64_e32 v[12:13], v[20:21], v[10:11]
	s_delay_alu instid0(VALU_DEP_1) | instskip(NEXT) | instid1(VALU_DEP_1)
	v_fma_f64 v[4:5], -v[4:5], v[12:13], v[20:21]
	v_div_fmas_f64 v[4:5], v[4:5], v[10:11], v[12:13]
	s_delay_alu instid0(VALU_DEP_1) | instskip(NEXT) | instid1(VALU_DEP_1)
	v_div_fixup_f64 v[2:3], v[4:5], v[0:1], v[2:3]
	v_fma_f64 v[2:3], v[2:3], v[2:3], 1.0
	s_delay_alu instid0(VALU_DEP_1) | instskip(SKIP_2) | instid1(SALU_CYCLE_1)
	v_cmp_gt_f64_e32 vcc_lo, 0x10000000, v[2:3]
	s_and_b32 s4, vcc_lo, exec_lo
	s_cselect_b32 s4, 0x100, 0
	v_ldexp_f64 v[2:3], v[2:3], s4
	s_cselect_b32 s4, 0xffffff80, 0
	s_delay_alu instid0(VALU_DEP_1) | instskip(SKIP_1) | instid1(TRANS32_DEP_1)
	v_rsq_f64_e32 v[4:5], v[2:3]
	v_cmp_class_f64_e64 vcc_lo, v[2:3], 0x260
	v_mul_f64_e32 v[10:11], v[2:3], v[4:5]
	v_mul_f64_e32 v[4:5], 0.5, v[4:5]
	s_delay_alu instid0(VALU_DEP_1) | instskip(NEXT) | instid1(VALU_DEP_1)
	v_fma_f64 v[12:13], -v[4:5], v[10:11], 0.5
	v_fmac_f64_e32 v[10:11], v[10:11], v[12:13]
	v_fmac_f64_e32 v[4:5], v[4:5], v[12:13]
	s_delay_alu instid0(VALU_DEP_2) | instskip(NEXT) | instid1(VALU_DEP_1)
	v_fma_f64 v[12:13], -v[10:11], v[10:11], v[2:3]
	v_fmac_f64_e32 v[10:11], v[12:13], v[4:5]
	s_delay_alu instid0(VALU_DEP_1) | instskip(NEXT) | instid1(VALU_DEP_1)
	v_fma_f64 v[12:13], -v[10:11], v[10:11], v[2:3]
	v_fmac_f64_e32 v[10:11], v[12:13], v[4:5]
	s_delay_alu instid0(VALU_DEP_1) | instskip(NEXT) | instid1(VALU_DEP_1)
	v_ldexp_f64 v[4:5], v[10:11], s4
	v_dual_cndmask_b32 v3, v5, v3 :: v_dual_cndmask_b32 v2, v4, v2
	s_delay_alu instid0(VALU_DEP_1)
	v_mul_f64_e32 v[4:5], v[0:1], v[2:3]
.LBB64_140:
	s_delay_alu instid0(VALU_DEP_1) | instskip(SKIP_2) | instid1(SALU_CYCLE_1)
	v_cmp_gt_f64_e32 vcc_lo, 0x10000000, v[4:5]
	s_and_b32 s4, vcc_lo, exec_lo
	s_cselect_b32 s4, 0x100, 0
	v_ldexp_f64 v[0:1], v[4:5], s4
	s_cselect_b32 s4, 0xffffff80, 0
	s_delay_alu instid0(VALU_DEP_1) | instskip(SKIP_1) | instid1(TRANS32_DEP_1)
	v_rsq_f64_e32 v[2:3], v[0:1]
	v_cmp_class_f64_e64 vcc_lo, v[0:1], 0x260
	v_mul_f64_e32 v[4:5], v[0:1], v[2:3]
	v_mul_f64_e32 v[2:3], 0.5, v[2:3]
	s_delay_alu instid0(VALU_DEP_1) | instskip(NEXT) | instid1(VALU_DEP_1)
	v_fma_f64 v[10:11], -v[2:3], v[4:5], 0.5
	v_fmac_f64_e32 v[4:5], v[4:5], v[10:11]
	v_fmac_f64_e32 v[2:3], v[2:3], v[10:11]
	s_delay_alu instid0(VALU_DEP_2) | instskip(NEXT) | instid1(VALU_DEP_1)
	v_fma_f64 v[10:11], -v[4:5], v[4:5], v[0:1]
	v_fmac_f64_e32 v[4:5], v[10:11], v[2:3]
	s_delay_alu instid0(VALU_DEP_1) | instskip(NEXT) | instid1(VALU_DEP_1)
	v_fma_f64 v[10:11], -v[4:5], v[4:5], v[0:1]
	v_fmac_f64_e32 v[4:5], v[10:11], v[2:3]
	v_mov_b32_e32 v2, 0
	s_delay_alu instid0(VALU_DEP_1) | instskip(NEXT) | instid1(VALU_DEP_3)
	v_mov_b32_e32 v3, v2
	v_ldexp_f64 v[4:5], v[4:5], s4
	s_delay_alu instid0(VALU_DEP_1)
	v_dual_cndmask_b32 v1, v5, v1 :: v_dual_cndmask_b32 v0, v4, v0
	ds_store_b128 v2, v[0:3] offset:1984
.LBB64_141:
	s_or_b32 exec_lo, exec_lo, s1
	v_mov_b32_e32 v0, 0
	s_wait_dscnt 0x0
	ds_load_b128 v[0:3], v0 offset:1984
	s_wait_dscnt 0x0
	v_cmp_neq_f64_e32 vcc_lo, 0, v[0:1]
	v_cmp_neq_f64_e64 s1, 0, v[2:3]
	s_or_b32 vcc_lo, vcc_lo, s1
	v_cndmask_b32_e32 v1, 0x3ff00000, v1, vcc_lo
	v_dual_cndmask_b32 v0, 0, v0 :: v_dual_cndmask_b32 v3, 0, v3
	v_cndmask_b32_e32 v2, 0, v2, vcc_lo
	s_nor_b32 s1, vcc_lo, s0
	s_delay_alu instid0(SALU_CYCLE_1)
	s_and_saveexec_b32 s0, s1
	s_cbranch_execz .LBB64_145
; %bb.142:
	v_mbcnt_lo_u32_b32 v0, exec_lo, 0
	s_mov_b32 s1, exec_lo
	s_delay_alu instid0(VALU_DEP_1)
	v_cmpx_eq_u32_e32 0, v0
	s_cbranch_execz .LBB64_144
; %bb.143:
	v_dual_mov_b32 v0, 0 :: v_dual_mov_b32 v1, s2
	global_atomic_min_i32 v0, v1, s[10:11] scope:SCOPE_DEV
.LBB64_144:
	s_wait_xcnt 0x0
	s_or_b32 exec_lo, exec_lo, s1
	v_mov_b64_e32 v[2:3], 0
	v_mov_b64_e32 v[0:1], 1.0
.LBB64_145:
	s_or_b32 exec_lo, exec_lo, s0
	s_delay_alu instid0(SALU_CYCLE_1)
	s_mov_b32 s0, exec_lo
	v_cmpx_lt_u32_e32 5, v15
	s_cbranch_execz .LBB64_147
; %bb.146:
	s_delay_alu instid0(VALU_DEP_2) | instskip(NEXT) | instid1(VALU_DEP_1)
	v_mul_f64_e32 v[4:5], v[2:3], v[2:3]
	v_fmac_f64_e32 v[4:5], v[0:1], v[0:1]
	s_delay_alu instid0(VALU_DEP_1) | instskip(SKIP_1) | instid1(VALU_DEP_2)
	v_div_scale_f64 v[24:25], null, v[4:5], v[4:5], 1.0
	v_div_scale_f64 v[28:29], vcc_lo, 1.0, v[4:5], 1.0
	v_rcp_f64_e32 v[26:27], v[24:25]
	v_nop
	s_delay_alu instid0(TRANS32_DEP_1) | instskip(NEXT) | instid1(VALU_DEP_1)
	v_fma_f64 v[10:11], -v[24:25], v[26:27], 1.0
	v_fmac_f64_e32 v[26:27], v[26:27], v[10:11]
	s_delay_alu instid0(VALU_DEP_1) | instskip(NEXT) | instid1(VALU_DEP_1)
	v_fma_f64 v[10:11], -v[24:25], v[26:27], 1.0
	v_fmac_f64_e32 v[26:27], v[26:27], v[10:11]
	ds_load_b128 v[10:13], v7 offset:80
	ds_load_b128 v[20:23], v19 offset:80
	s_wait_dscnt 0x0
	v_add_f64_e64 v[12:13], v[12:13], -v[22:23]
	v_add_f64_e64 v[10:11], v[10:11], -v[20:21]
	v_mul_f64_e32 v[30:31], v[28:29], v[26:27]
	s_delay_alu instid0(VALU_DEP_3) | instskip(NEXT) | instid1(VALU_DEP_3)
	v_mul_f64_e32 v[20:21], v[2:3], v[12:13]
	v_mul_f64_e64 v[2:3], v[2:3], -v[10:11]
	s_delay_alu instid0(VALU_DEP_3) | instskip(NEXT) | instid1(VALU_DEP_3)
	v_fma_f64 v[22:23], -v[24:25], v[30:31], v[28:29]
	v_fmac_f64_e32 v[20:21], v[10:11], v[0:1]
	s_delay_alu instid0(VALU_DEP_3) | instskip(NEXT) | instid1(VALU_DEP_3)
	v_fmac_f64_e32 v[2:3], v[12:13], v[0:1]
	v_div_fmas_f64 v[22:23], v[22:23], v[26:27], v[30:31]
	s_delay_alu instid0(VALU_DEP_1) | instskip(NEXT) | instid1(VALU_DEP_1)
	v_div_fixup_f64 v[4:5], v[22:23], v[4:5], 1.0
	v_mul_f64_e32 v[0:1], v[4:5], v[20:21]
	s_delay_alu instid0(VALU_DEP_4)
	v_mul_f64_e32 v[2:3], v[4:5], v[2:3]
	ds_store_b128 v7, v[0:3] offset:80
	s_wait_storecnt_dscnt 0x0
	ds_load_b128 v[10:13], v9 offset:80
	ds_load_b128 v[20:23], v18
	s_wait_dscnt 0x0
	v_fmac_f64_e32 v[20:21], v[0:1], v[10:11]
	v_fmac_f64_e32 v[22:23], v[2:3], v[10:11]
	s_delay_alu instid0(VALU_DEP_2) | instskip(NEXT) | instid1(VALU_DEP_2)
	v_fmac_f64_e32 v[20:21], v[2:3], v[12:13]
	v_fma_f64 v[22:23], v[0:1], -v[12:13], v[22:23]
	ds_store_b128 v18, v[20:23]
.LBB64_147:
	s_or_b32 exec_lo, exec_lo, s0
	s_delay_alu instid0(SALU_CYCLE_1)
	s_and_not1_b32 vcc_lo, exec_lo, s3
	s_wait_storecnt_dscnt 0x0
	s_cbranch_vccnz .LBB64_149
; %bb.148:
	v_mov_b32_e32 v16, v17
.LBB64_149:
	ds_load_2addr_b64 v[0:3], v6 offset1:1
	v_add_nc_u32_e32 v4, s26, v16
	s_mov_b32 s0, 0
	s_mov_b32 s1, exec_lo
	s_wait_dscnt 0x0
	global_store_b128 v4, v[0:3], s[18:19] scale_offset
	s_wait_xcnt 0x0
	v_cmpx_eq_u32_e32 0, v8
	s_cbranch_execz .LBB64_151
; %bb.150:
	v_dual_mov_b32 v0, 0 :: v_dual_mov_b32 v1, 1
	s_add_nc_u64 s[2:3], s[6:7], s[8:9]
	global_wb scope:SCOPE_DEV
	s_wait_storecnt 0x0
	global_store_b32 v0, v1, s[2:3] scope:SCOPE_DEV
.LBB64_151:
	s_wait_xcnt 0x0
	s_or_b32 exec_lo, exec_lo, s1
	s_delay_alu instid0(SALU_CYCLE_1)
	s_and_b32 vcc_lo, exec_lo, s0
	s_cbranch_vccz .LBB64_72
.LBB64_152:
	v_or_b32_e32 v0, v14, v15
	s_mov_b32 s0, exec_lo
	s_delay_alu instid0(VALU_DEP_1)
	v_cmpx_eq_u32_e32 0, v0
	s_cbranch_execz .LBB64_72
; %bb.153:
	v_mbcnt_lo_u32_b32 v0, exec_lo, 0
	s_mov_b32 s0, exec_lo
	s_delay_alu instid0(VALU_DEP_1)
	v_cmpx_eq_u32_e32 0, v0
	s_cbranch_execz .LBB64_155
; %bb.154:
	s_add_co_i32 s1, s16, s17
	s_delay_alu instid0(SALU_CYCLE_1)
	v_dual_mov_b32 v0, 0 :: v_dual_mov_b32 v1, s1
	global_atomic_min_i32 v0, v1, s[10:11] scope:SCOPE_DEV
.LBB64_155:
	s_wait_xcnt 0x0
	s_or_b32 exec_lo, exec_lo, s0
	v_dual_mov_b32 v0, 0 :: v_dual_mov_b32 v1, 1
	s_add_nc_u64 s[0:1], s[6:7], s[8:9]
	global_wb scope:SCOPE_DEV
	s_wait_storecnt 0x0
	global_store_b32 v0, v1, s[0:1] scope:SCOPE_DEV
	s_sendmsg sendmsg(MSG_DEALLOC_VGPRS)
	s_endpgm
.LBB64_156:
	v_mov_b64_e32 v[4:5], 0
	s_cbranch_execz .LBB64_74
	s_branch .LBB64_75
.LBB64_157:
	v_mov_b64_e32 v[4:5], 0
	s_cbranch_execz .LBB64_87
	s_branch .LBB64_88
.LBB64_158:
	v_mov_b64_e32 v[4:5], 0
	s_cbranch_execz .LBB64_100
	s_branch .LBB64_101
.LBB64_159:
	v_mov_b64_e32 v[4:5], 0
	s_cbranch_execz .LBB64_113
	s_branch .LBB64_114
.LBB64_160:
	v_mov_b64_e32 v[4:5], 0
	s_cbranch_execz .LBB64_126
	s_branch .LBB64_127
.LBB64_161:
	v_mov_b64_e32 v[4:5], 0
	s_cbranch_execz .LBB64_139
	s_branch .LBB64_140
	.section	.rodata,"a",@progbits
	.p2align	6, 0x0
	.amdhsa_kernel _ZN9rocsparseL26bsric0_2_8_unrolled_kernelILi36ELi32ELi6E21rocsparse_complex_numIdEEEv20rocsparse_direction_iiPKiS5_PT2_S5_PiS5_S8_21rocsparse_index_base_
		.amdhsa_group_segment_fixed_size 3072
		.amdhsa_private_segment_fixed_size 0
		.amdhsa_kernarg_size 76
		.amdhsa_user_sgpr_count 2
		.amdhsa_user_sgpr_dispatch_ptr 0
		.amdhsa_user_sgpr_queue_ptr 0
		.amdhsa_user_sgpr_kernarg_segment_ptr 1
		.amdhsa_user_sgpr_dispatch_id 0
		.amdhsa_user_sgpr_kernarg_preload_length 0
		.amdhsa_user_sgpr_kernarg_preload_offset 0
		.amdhsa_user_sgpr_private_segment_size 0
		.amdhsa_wavefront_size32 1
		.amdhsa_uses_dynamic_stack 0
		.amdhsa_enable_private_segment 0
		.amdhsa_system_sgpr_workgroup_id_x 1
		.amdhsa_system_sgpr_workgroup_id_y 0
		.amdhsa_system_sgpr_workgroup_id_z 0
		.amdhsa_system_sgpr_workgroup_info 0
		.amdhsa_system_vgpr_workitem_id 1
		.amdhsa_next_free_vgpr 76
		.amdhsa_next_free_sgpr 37
		.amdhsa_named_barrier_count 0
		.amdhsa_reserve_vcc 1
		.amdhsa_float_round_mode_32 0
		.amdhsa_float_round_mode_16_64 0
		.amdhsa_float_denorm_mode_32 3
		.amdhsa_float_denorm_mode_16_64 3
		.amdhsa_fp16_overflow 0
		.amdhsa_memory_ordered 1
		.amdhsa_forward_progress 1
		.amdhsa_inst_pref_size 109
		.amdhsa_round_robin_scheduling 0
		.amdhsa_exception_fp_ieee_invalid_op 0
		.amdhsa_exception_fp_denorm_src 0
		.amdhsa_exception_fp_ieee_div_zero 0
		.amdhsa_exception_fp_ieee_overflow 0
		.amdhsa_exception_fp_ieee_underflow 0
		.amdhsa_exception_fp_ieee_inexact 0
		.amdhsa_exception_int_div_zero 0
	.end_amdhsa_kernel
	.section	.text._ZN9rocsparseL26bsric0_2_8_unrolled_kernelILi36ELi32ELi6E21rocsparse_complex_numIdEEEv20rocsparse_direction_iiPKiS5_PT2_S5_PiS5_S8_21rocsparse_index_base_,"axG",@progbits,_ZN9rocsparseL26bsric0_2_8_unrolled_kernelILi36ELi32ELi6E21rocsparse_complex_numIdEEEv20rocsparse_direction_iiPKiS5_PT2_S5_PiS5_S8_21rocsparse_index_base_,comdat
.Lfunc_end64:
	.size	_ZN9rocsparseL26bsric0_2_8_unrolled_kernelILi36ELi32ELi6E21rocsparse_complex_numIdEEEv20rocsparse_direction_iiPKiS5_PT2_S5_PiS5_S8_21rocsparse_index_base_, .Lfunc_end64-_ZN9rocsparseL26bsric0_2_8_unrolled_kernelILi36ELi32ELi6E21rocsparse_complex_numIdEEEv20rocsparse_direction_iiPKiS5_PT2_S5_PiS5_S8_21rocsparse_index_base_
                                        ; -- End function
	.set _ZN9rocsparseL26bsric0_2_8_unrolled_kernelILi36ELi32ELi6E21rocsparse_complex_numIdEEEv20rocsparse_direction_iiPKiS5_PT2_S5_PiS5_S8_21rocsparse_index_base_.num_vgpr, 76
	.set _ZN9rocsparseL26bsric0_2_8_unrolled_kernelILi36ELi32ELi6E21rocsparse_complex_numIdEEEv20rocsparse_direction_iiPKiS5_PT2_S5_PiS5_S8_21rocsparse_index_base_.num_agpr, 0
	.set _ZN9rocsparseL26bsric0_2_8_unrolled_kernelILi36ELi32ELi6E21rocsparse_complex_numIdEEEv20rocsparse_direction_iiPKiS5_PT2_S5_PiS5_S8_21rocsparse_index_base_.numbered_sgpr, 37
	.set _ZN9rocsparseL26bsric0_2_8_unrolled_kernelILi36ELi32ELi6E21rocsparse_complex_numIdEEEv20rocsparse_direction_iiPKiS5_PT2_S5_PiS5_S8_21rocsparse_index_base_.num_named_barrier, 0
	.set _ZN9rocsparseL26bsric0_2_8_unrolled_kernelILi36ELi32ELi6E21rocsparse_complex_numIdEEEv20rocsparse_direction_iiPKiS5_PT2_S5_PiS5_S8_21rocsparse_index_base_.private_seg_size, 0
	.set _ZN9rocsparseL26bsric0_2_8_unrolled_kernelILi36ELi32ELi6E21rocsparse_complex_numIdEEEv20rocsparse_direction_iiPKiS5_PT2_S5_PiS5_S8_21rocsparse_index_base_.uses_vcc, 1
	.set _ZN9rocsparseL26bsric0_2_8_unrolled_kernelILi36ELi32ELi6E21rocsparse_complex_numIdEEEv20rocsparse_direction_iiPKiS5_PT2_S5_PiS5_S8_21rocsparse_index_base_.uses_flat_scratch, 0
	.set _ZN9rocsparseL26bsric0_2_8_unrolled_kernelILi36ELi32ELi6E21rocsparse_complex_numIdEEEv20rocsparse_direction_iiPKiS5_PT2_S5_PiS5_S8_21rocsparse_index_base_.has_dyn_sized_stack, 0
	.set _ZN9rocsparseL26bsric0_2_8_unrolled_kernelILi36ELi32ELi6E21rocsparse_complex_numIdEEEv20rocsparse_direction_iiPKiS5_PT2_S5_PiS5_S8_21rocsparse_index_base_.has_recursion, 0
	.set _ZN9rocsparseL26bsric0_2_8_unrolled_kernelILi36ELi32ELi6E21rocsparse_complex_numIdEEEv20rocsparse_direction_iiPKiS5_PT2_S5_PiS5_S8_21rocsparse_index_base_.has_indirect_call, 0
	.section	.AMDGPU.csdata,"",@progbits
; Kernel info:
; codeLenInByte = 13868
; TotalNumSgprs: 39
; NumVgprs: 76
; ScratchSize: 0
; MemoryBound: 1
; FloatMode: 240
; IeeeMode: 1
; LDSByteSize: 3072 bytes/workgroup (compile time only)
; SGPRBlocks: 0
; VGPRBlocks: 4
; NumSGPRsForWavesPerEU: 39
; NumVGPRsForWavesPerEU: 76
; NamedBarCnt: 0
; Occupancy: 12
; WaveLimiterHint : 1
; COMPUTE_PGM_RSRC2:SCRATCH_EN: 0
; COMPUTE_PGM_RSRC2:USER_SGPR: 2
; COMPUTE_PGM_RSRC2:TRAP_HANDLER: 0
; COMPUTE_PGM_RSRC2:TGID_X_EN: 1
; COMPUTE_PGM_RSRC2:TGID_Y_EN: 0
; COMPUTE_PGM_RSRC2:TGID_Z_EN: 0
; COMPUTE_PGM_RSRC2:TIDIG_COMP_CNT: 1
	.section	.text._ZN9rocsparseL26bsric0_2_8_unrolled_kernelILi49ELi32ELi7E21rocsparse_complex_numIdEEEv20rocsparse_direction_iiPKiS5_PT2_S5_PiS5_S8_21rocsparse_index_base_,"axG",@progbits,_ZN9rocsparseL26bsric0_2_8_unrolled_kernelILi49ELi32ELi7E21rocsparse_complex_numIdEEEv20rocsparse_direction_iiPKiS5_PT2_S5_PiS5_S8_21rocsparse_index_base_,comdat
	.globl	_ZN9rocsparseL26bsric0_2_8_unrolled_kernelILi49ELi32ELi7E21rocsparse_complex_numIdEEEv20rocsparse_direction_iiPKiS5_PT2_S5_PiS5_S8_21rocsparse_index_base_ ; -- Begin function _ZN9rocsparseL26bsric0_2_8_unrolled_kernelILi49ELi32ELi7E21rocsparse_complex_numIdEEEv20rocsparse_direction_iiPKiS5_PT2_S5_PiS5_S8_21rocsparse_index_base_
	.p2align	8
	.type	_ZN9rocsparseL26bsric0_2_8_unrolled_kernelILi49ELi32ELi7E21rocsparse_complex_numIdEEEv20rocsparse_direction_iiPKiS5_PT2_S5_PiS5_S8_21rocsparse_index_base_,@function
_ZN9rocsparseL26bsric0_2_8_unrolled_kernelILi49ELi32ELi7E21rocsparse_complex_numIdEEEv20rocsparse_direction_iiPKiS5_PT2_S5_PiS5_S8_21rocsparse_index_base_: ; @_ZN9rocsparseL26bsric0_2_8_unrolled_kernelILi49ELi32ELi7E21rocsparse_complex_numIdEEEv20rocsparse_direction_iiPKiS5_PT2_S5_PiS5_S8_21rocsparse_index_base_
; %bb.0:
	s_load_b256 s[4:11], s[0:1], 0x28
	s_bfe_u32 s2, ttmp6, 0x4000c
	s_and_b32 s3, ttmp6, 15
	s_add_co_i32 s2, s2, 1
	s_getreg_b32 s12, hwreg(HW_REG_IB_STS2, 6, 4)
	s_mul_i32 s2, ttmp9, s2
	v_and_b32_e32 v16, 0x3ff, v0
	s_add_co_i32 s3, s3, s2
	s_cmp_eq_u32 s12, 0
	v_bfe_u32 v17, v0, 10, 10
	s_cselect_b32 s2, ttmp9, s3
	s_wait_kmcnt 0x0
	s_load_b32 s16, s[8:9], s2 offset:0x0 scale_offset
	s_wait_kmcnt 0x0
	s_ashr_i32 s17, s16, 31
	s_delay_alu instid0(SALU_CYCLE_1) | instskip(NEXT) | instid1(SALU_CYCLE_1)
	s_lshl_b64 s[8:9], s[16:17], 2
	s_add_nc_u64 s[2:3], s[4:5], s[8:9]
	s_load_b32 s26, s[2:3], 0x0
	s_load_b32 s17, s[0:1], 0x48
	s_wait_kmcnt 0x0
	s_cmp_lg_u32 s26, -1
	s_cbranch_scc0 .LBB65_55
; %bb.1:
	s_clause 0x1
	s_load_b128 s[12:15], s[0:1], 0x10
	s_load_b64 s[18:19], s[0:1], 0x20
	v_mad_u32_u24 v18, v17, 7, v16
	v_mul_u32_u24_e32 v23, 7, v17
	s_wait_kmcnt 0x0
	s_add_nc_u64 s[2:3], s[12:13], s[8:9]
	s_load_b32 s3, s[2:3], 0x0
	s_wait_xcnt 0x0
	s_mov_b32 s2, exec_lo
	s_wait_kmcnt 0x0
	s_sub_co_i32 s27, s3, s17
	s_delay_alu instid0(SALU_CYCLE_1) | instskip(NEXT) | instid1(VALU_DEP_1)
	v_add_nc_u32_e32 v0, s27, v18
	v_cmpx_ge_i32_e64 s26, v0
	s_cbranch_execz .LBB65_14
; %bb.2:
	v_add_nc_u32_e32 v1, s3, v16
	s_add_co_i32 s20, s26, 1
	s_mov_b32 s21, -1
	s_delay_alu instid0(VALU_DEP_1) | instskip(NEXT) | instid1(VALU_DEP_1)
	v_add_nc_u32_e32 v2, v1, v23
	v_subrev_nc_u32_e32 v2, s17, v2
	s_delay_alu instid0(VALU_DEP_1) | instskip(SKIP_1) | instid1(VALU_DEP_1)
	v_add_max_i32_e64 v2, v2, 49, s20
	s_mov_b32 s20, exec_lo
	v_add_nc_u32_e32 v2, s17, v2
	s_delay_alu instid0(VALU_DEP_1) | instskip(NEXT) | instid1(VALU_DEP_1)
	v_sub_nc_u32_e32 v1, v2, v1
	v_subrev_nc_u32_e32 v1, 49, v1
	s_delay_alu instid0(VALU_DEP_1) | instskip(SKIP_1) | instid1(VALU_DEP_1)
	v_cmp_ne_u32_e32 vcc_lo, v1, v23
	v_add_co_ci_u32_e64 v2, null, 0, v23, vcc_lo
	v_sub_nc_u32_e32 v1, v1, v2
	s_delay_alu instid0(VALU_DEP_1) | instskip(NEXT) | instid1(VALU_DEP_1)
	v_mul_hi_u32 v1, 0x5397829d, v1
	v_lshrrev_b32_e32 v1, 4, v1
	s_delay_alu instid0(VALU_DEP_1) | instskip(NEXT) | instid1(VALU_DEP_1)
	v_add_co_ci_u32_e64 v4, null, 0, v1, vcc_lo
	v_cmpx_ne_u32_e32 0, v4
	s_cbranch_execz .LBB65_11
; %bb.3:
	v_add_nc_u32_e32 v1, -1, v4
	s_mov_b32 s21, exec_lo
	s_delay_alu instid0(VALU_DEP_1) | instskip(NEXT) | instid1(VALU_DEP_1)
	v_dual_lshrrev_b32 v2, 1, v1 :: v_dual_add_nc_u32 v1, 49, v0
	v_add_nc_u32_e32 v5, 1, v2
	s_delay_alu instid0(VALU_DEP_2)
	v_mov_b64_e32 v[2:3], v[0:1]
	v_cmpx_lt_u32_e32 14, v4
	s_cbranch_execz .LBB65_7
; %bb.4:
	v_mov_b64_e32 v[2:3], v[0:1]
	v_and_b32_e32 v6, -8, v5
	s_mov_b32 s22, 0
.LBB65_5:                               ; =>This Inner Loop Header: Depth=1
	s_clause 0x1
	global_load_b32 v1, v2, s[14:15] scale_offset
	global_load_b32 v7, v3, s[14:15] scale_offset
	v_add_nc_u32_e32 v14, 0x188, v3
	v_add_nc_u32_e32 v12, 0x126, v3
	;; [unrolled: 1-line block ×14, first 2 shown]
	s_clause 0xd
	global_load_b32 v26, v14, s[14:15] scale_offset
	global_load_b32 v27, v12, s[14:15] scale_offset
	;; [unrolled: 1-line block ×14, first 2 shown]
	v_subrev_nc_u32_e32 v40, s27, v2
	v_subrev_nc_u32_e32 v41, s27, v3
	v_add_nc_u32_e32 v6, -8, v6
	s_wait_xcnt 0xa
	v_subrev_nc_u32_e32 v8, s27, v8
	s_wait_xcnt 0x9
	v_subrev_nc_u32_e32 v9, s27, v9
	v_dual_lshlrev_b32 v40, 2, v40 :: v_dual_lshlrev_b32 v41, 2, v41
	s_wait_xcnt 0x8
	v_subrev_nc_u32_e32 v11, s27, v11
	v_subrev_nc_u32_e32 v10, s27, v10
	v_cmp_eq_u32_e32 vcc_lo, 0, v6
	s_wait_xcnt 0x7
	v_subrev_nc_u32_e32 v13, s27, v13
	v_add_nc_u32_e32 v3, 0x310, v3
	v_subrev_nc_u32_e32 v12, s27, v12
	v_subrev_nc_u32_e32 v14, s27, v14
	s_wait_xcnt 0x6
	v_subrev_nc_u32_e32 v15, s27, v15
	s_wait_xcnt 0x3
	v_subrev_nc_u32_e32 v19, s27, v19
	s_wait_xcnt 0x2
	v_subrev_nc_u32_e32 v20, s27, v20
	v_subrev_nc_u32_e32 v21, s27, v21
	s_wait_xcnt 0x1
	v_subrev_nc_u32_e32 v22, s27, v22
	v_subrev_nc_u32_e32 v24, s27, v24
	s_wait_xcnt 0x0
	v_subrev_nc_u32_e32 v25, s27, v25
	v_add_nc_u32_e32 v2, 0x310, v2
	v_dual_lshlrev_b32 v9, 2, v9 :: v_dual_lshlrev_b32 v11, 2, v11
	v_dual_lshlrev_b32 v8, 2, v8 :: v_dual_lshlrev_b32 v10, 2, v10
	v_lshlrev_b32_e32 v13, 2, v13
	s_or_b32 s22, vcc_lo, s22
	v_dual_lshlrev_b32 v12, 2, v12 :: v_dual_lshlrev_b32 v15, 2, v15
	v_dual_lshlrev_b32 v14, 2, v14 :: v_dual_lshlrev_b32 v20, 2, v20
	;; [unrolled: 1-line block ×4, first 2 shown]
	v_lshlrev_b32_e32 v25, 2, v25
	s_wait_loadcnt 0xf
	v_subrev_nc_u32_e32 v1, s17, v1
	s_wait_loadcnt 0xe
	v_subrev_nc_u32_e32 v7, s17, v7
	ds_store_b32 v40, v1 offset:3840
	ds_store_b32 v41, v7 offset:3840
	s_wait_loadcnt 0xa
	v_subrev_nc_u32_e32 v1, s17, v29
	s_wait_loadcnt 0x9
	v_subrev_nc_u32_e32 v7, s17, v30
	s_wait_loadcnt 0x8
	v_subrev_nc_u32_e32 v29, s17, v31
	v_subrev_nc_u32_e32 v28, s17, v28
	s_wait_loadcnt 0x7
	v_subrev_nc_u32_e32 v30, s17, v32
	v_subrev_nc_u32_e32 v27, s17, v27
	;; [unrolled: 1-line block ×3, first 2 shown]
	s_wait_loadcnt 0x6
	v_subrev_nc_u32_e32 v31, s17, v33
	s_wait_loadcnt 0x3
	v_subrev_nc_u32_e32 v32, s17, v36
	;; [unrolled: 2-line block ×3, first 2 shown]
	v_subrev_nc_u32_e32 v35, s17, v35
	s_wait_loadcnt 0x1
	v_subrev_nc_u32_e32 v36, s17, v38
	v_subrev_nc_u32_e32 v34, s17, v34
	s_wait_loadcnt 0x0
	v_subrev_nc_u32_e32 v37, s17, v39
	ds_store_b32 v9, v7 offset:3840
	ds_store_b32 v8, v1 offset:3840
	;; [unrolled: 1-line block ×14, first 2 shown]
	s_and_not1_b32 exec_lo, exec_lo, s22
	s_cbranch_execnz .LBB65_5
; %bb.6:
	s_or_b32 exec_lo, exec_lo, s22
.LBB65_7:
	s_delay_alu instid0(SALU_CYCLE_1) | instskip(SKIP_3) | instid1(VALU_DEP_1)
	s_or_b32 exec_lo, exec_lo, s21
	v_and_b32_e32 v1, 7, v5
	s_mov_b32 s22, 0
	s_mov_b32 s21, exec_lo
	v_cmpx_ne_u32_e32 0, v1
	s_cbranch_execz .LBB65_10
; %bb.8:
	v_sub_nc_u32_e32 v1, 0, v1
.LBB65_9:                               ; =>This Inner Loop Header: Depth=1
	s_clause 0x1
	global_load_b32 v5, v3, s[14:15] scale_offset
	global_load_b32 v6, v2, s[14:15] scale_offset
	v_subrev_nc_u32_e32 v7, s27, v2
	v_subrev_nc_u32_e32 v8, s27, v3
	s_wait_xcnt 0x1
	v_add_nc_u32_e32 v3, 0x62, v3
	s_wait_xcnt 0x0
	v_add_nc_u32_e32 v2, 0x62, v2
	v_add_co_u32 v1, s23, v1, 1
	v_dual_lshlrev_b32 v7, 2, v7 :: v_dual_lshlrev_b32 v8, 2, v8
	s_or_b32 s22, s23, s22
	s_wait_loadcnt 0x1
	v_subrev_nc_u32_e32 v5, s17, v5
	s_wait_loadcnt 0x0
	v_subrev_nc_u32_e32 v6, s17, v6
	ds_store_b32 v7, v6 offset:3840
	ds_store_b32 v8, v5 offset:3840
	s_and_not1_b32 exec_lo, exec_lo, s22
	s_cbranch_execnz .LBB65_9
.LBB65_10:
	s_or_b32 exec_lo, exec_lo, s21
	v_add_nc_u32_e32 v1, 1, v4
	s_delay_alu instid0(VALU_DEP_1) | instskip(NEXT) | instid1(VALU_DEP_1)
	v_and_b32_e32 v2, 0x1ffffffe, v1
	v_mad_u32 v0, v2, 49, v0
	v_cmp_ne_u32_e32 vcc_lo, v1, v2
	s_or_not1_b32 s21, vcc_lo, exec_lo
.LBB65_11:
	s_or_b32 exec_lo, exec_lo, s20
	s_delay_alu instid0(SALU_CYCLE_1)
	s_and_b32 exec_lo, exec_lo, s21
	s_cbranch_execz .LBB65_14
; %bb.12:
	s_delay_alu instid0(VALU_DEP_2) | instskip(NEXT) | instid1(VALU_DEP_1)
	v_add_nc_u32_e32 v1, s17, v0
	v_subrev_nc_u32_e32 v2, s3, v1
	v_ashrrev_i32_e32 v1, 31, v0
	s_mov_b32 s3, 0
	s_delay_alu instid0(VALU_DEP_2) | instskip(NEXT) | instid1(VALU_DEP_2)
	v_lshl_add_u32 v4, v2, 2, 0xf00
	v_lshl_add_u64 v[2:3], v[0:1], 2, s[14:15]
.LBB65_13:                              ; =>This Inner Loop Header: Depth=1
	global_load_b32 v1, v[2:3], off
	v_add_nc_u32_e32 v0, 49, v0
	s_wait_xcnt 0x0
	v_add_nc_u64_e32 v[2:3], 0xc4, v[2:3]
	s_delay_alu instid0(VALU_DEP_2)
	v_cmp_lt_i32_e32 vcc_lo, s26, v0
	s_or_b32 s3, vcc_lo, s3
	s_wait_loadcnt 0x0
	v_subrev_nc_u32_e32 v1, s17, v1
	ds_store_b32 v4, v1
	v_add_nc_u32_e32 v4, 0xc4, v4
	s_and_not1_b32 exec_lo, exec_lo, s3
	s_cbranch_execnz .LBB65_13
.LBB65_14:
	s_or_b32 exec_lo, exec_lo, s2
	s_load_b32 s28, s[0:1], 0x0
	v_lshl_add_u32 v22, v17, 7, 0xa80
	v_mov_b32_e32 v0, 0
	v_mad_u32_u24 v19, v16, 7, v17
	v_lshl_add_u32 v21, v16, 7, 0x700
	s_cmp_ge_i32 s27, s26
	v_lshl_add_u32 v20, v16, 4, v22
	v_dual_mov_b32 v1, v0 :: v_dual_mov_b32 v2, v0
	v_mov_b32_e32 v3, v0
	ds_store_b128 v20, v[0:3]
	s_wait_dscnt 0x0
	s_cbranch_scc1 .LBB65_49
; %bb.15:
	v_dual_lshlrev_b32 v2, 7, v17 :: v_dual_lshlrev_b32 v4, 4, v16
	s_wait_kmcnt 0x0
	s_cmp_lg_u32 s28, 0
	v_mad_u32_u24 v3, v16, 7, v17
	v_or_b32_e32 v5, v16, v17
	v_add_nc_u32_e32 v24, 0x700, v2
	v_add_nc_u32_e32 v25, 0x380, v2
	s_cselect_b32 s29, -1, 0
	s_cmp_eq_u32 s28, 0
	v_mul_u32_u24_e32 v1, 7, v16
	s_cselect_b32 vcc_lo, -1, 0
	v_dual_add_nc_u32 v26, v24, v4 :: v_dual_add_nc_u32 v28, v25, v4
	v_add_nc_u32_e32 v27, v2, v4
	v_cmp_ne_u32_e64 s0, 0, v5
	v_cndmask_b32_e32 v29, v3, v18, vcc_lo
	s_mov_b32 s2, s27
	s_branch .LBB65_18
.LBB65_16:                              ;   in Loop: Header=BB65_18 Depth=1
	ds_load_2addr_b64 v[2:5], v26 offset1:1
	s_add_co_i32 s2, s2, 1
	s_delay_alu instid0(SALU_CYCLE_1)
	s_cmp_ge_i32 s2, s26
	s_cselect_b32 s23, -1, 0
	s_wait_dscnt 0x0
	global_store_b128 v[10:11], v[2:5], off
	global_wb scope:SCOPE_DEV
	s_wait_storecnt 0x0
	global_inv scope:SCOPE_DEV
.LBB65_17:                              ;   in Loop: Header=BB65_18 Depth=1
	s_and_b32 vcc_lo, exec_lo, s23
	s_cbranch_vccnz .LBB65_49
.LBB65_18:                              ; =>This Loop Header: Depth=1
                                        ;     Child Loop BB65_21 Depth 2
                                        ;     Child Loop BB65_32 Depth 2
	;; [unrolled: 1-line block ×4, first 2 shown]
                                        ;       Child Loop BB65_48 Depth 3
	s_ashr_i32 s3, s2, 31
	s_delay_alu instid0(SALU_CYCLE_1) | instskip(NEXT) | instid1(SALU_CYCLE_1)
	s_lshl_b64 s[20:21], s[2:3], 2
	s_add_nc_u64 s[20:21], s[14:15], s[20:21]
	s_load_b32 s3, s[20:21], 0x0
	s_wait_kmcnt 0x0
	s_sub_co_i32 s22, s3, s17
	s_delay_alu instid0(SALU_CYCLE_1)
	s_ashr_i32 s23, s22, 31
	s_wait_xcnt 0x0
	s_lshl_b64 s[20:21], s[22:23], 2
	s_mov_b32 s23, -1
	s_add_nc_u64 s[24:25], s[4:5], s[20:21]
	s_load_b32 s1, s[24:25], 0x0
	s_wait_kmcnt 0x0
	s_cmp_eq_u32 s1, -1
	s_cbranch_scc1 .LBB65_17
; %bb.19:                               ;   in Loop: Header=BB65_18 Depth=1
	v_mad_u32 v2, s2, 49, v29
	s_wait_xcnt 0x0
	s_add_nc_u64 s[24:25], s[12:13], s[20:21]
	ds_load_b32 v3, v0 offset:3840
	s_load_b32 s23, s[24:25], 0x0
	global_load_b128 v[4:7], v2, s[18:19] scale_offset
	s_wait_dscnt 0x0
	v_cmp_ge_i32_e32 vcc_lo, s22, v3
	s_wait_kmcnt 0x0
	s_sub_co_i32 s24, s23, s17
	s_delay_alu instid0(SALU_CYCLE_1) | instskip(SKIP_1) | instid1(SALU_CYCLE_1)
	s_cmp_le_i32 s24, s1
	s_cselect_b32 s23, -1, 0
	s_and_b32 s23, s23, vcc_lo
	s_delay_alu instid0(SALU_CYCLE_1)
	s_and_not1_b32 vcc_lo, exec_lo, s23
	s_mov_b32 s23, 0
	s_wait_loadcnt 0x0
	ds_store_2addr_b64 v26, v[4:5], v[6:7] offset1:1
	s_cbranch_vccnz .LBB65_31
; %bb.20:                               ;   in Loop: Header=BB65_18 Depth=1
	s_mov_b32 s30, 0
	s_mov_b32 s31, 0
.LBB65_21:                              ;   Parent Loop BB65_18 Depth=1
                                        ; =>  This Inner Loop Header: Depth=2
	s_ashr_i32 s25, s24, 31
	s_lshl_b32 s23, s31, 2
	s_lshl_b64 s[34:35], s[24:25], 2
	v_mov_b32_e32 v3, s23
	s_add_nc_u64 s[34:35], s[14:15], s[34:35]
                                        ; implicit-def: $sgpr33
	s_load_b32 s23, s[34:35], 0x0
	s_wait_xcnt 0x0
	s_mov_b32 s35, -1
	ds_load_b32 v3, v3 offset:3840
                                        ; implicit-def: $sgpr34
	s_wait_kmcnt 0x0
	s_sub_co_i32 s36, s23, s17
                                        ; implicit-def: $sgpr23
	s_wait_dscnt 0x0
	v_readfirstlane_b32 s25, v3
	v_cmp_ge_i32_e32 vcc_lo, s36, v3
	s_cbranch_vccz .LBB65_27
; %bb.22:                               ;   in Loop: Header=BB65_21 Depth=2
	s_cmp_le_i32 s36, s25
                                        ; implicit-def: $sgpr23
                                        ; implicit-def: $sgpr34
                                        ; implicit-def: $sgpr33
	s_cbranch_scc0 .LBB65_24
; %bb.23:                               ;   in Loop: Header=BB65_21 Depth=2
	s_add_co_i32 s23, s31, s27
	s_lshl_b32 s33, s30, 2
	s_mul_i32 s23, s23, 49
	s_mul_i32 s34, s24, 49
	s_delay_alu instid0(SALU_CYCLE_1)
	v_dual_mov_b32 v3, s23 :: v_dual_mov_b32 v4, s34
	v_add_nc_u32_e64 v5, 0xc00, s33
	s_add_co_i32 s33, s31, 1
	s_add_co_i32 s34, s24, 1
	;; [unrolled: 1-line block ×3, first 2 shown]
	s_mov_b32 s35, 0
	ds_store_2addr_b32 v5, v4, v3 offset0:128 offset1:160
.LBB65_24:                              ;   in Loop: Header=BB65_21 Depth=2
	s_and_not1_b32 vcc_lo, exec_lo, s35
	s_cbranch_vccnz .LBB65_26
; %bb.25:                               ;   in Loop: Header=BB65_21 Depth=2
	s_add_co_i32 s33, s31, 1
	s_mov_b32 s23, s30
	s_mov_b32 s34, s24
.LBB65_26:                              ;   in Loop: Header=BB65_21 Depth=2
	s_mov_b32 s35, 0
.LBB65_27:                              ;   in Loop: Header=BB65_21 Depth=2
	s_delay_alu instid0(SALU_CYCLE_1)
	s_and_not1_b32 vcc_lo, exec_lo, s35
	s_cbranch_vccnz .LBB65_29
; %bb.28:                               ;   in Loop: Header=BB65_21 Depth=2
	s_add_co_i32 s34, s24, 1
	s_mov_b32 s33, s31
	s_mov_b32 s23, s30
.LBB65_29:                              ;   in Loop: Header=BB65_21 Depth=2
	s_cmp_le_i32 s34, s1
	s_cselect_b32 s24, -1, 0
	s_cmp_le_i32 s25, s22
	s_cselect_b32 s25, -1, 0
	s_delay_alu instid0(SALU_CYCLE_1) | instskip(NEXT) | instid1(SALU_CYCLE_1)
	s_and_b32 s24, s24, s25
	s_and_b32 vcc_lo, exec_lo, s24
	s_cbranch_vccz .LBB65_31
; %bb.30:                               ;   in Loop: Header=BB65_21 Depth=2
	s_mov_b32 s30, s23
	s_mov_b32 s24, s34
	;; [unrolled: 1-line block ×3, first 2 shown]
	s_branch .LBB65_21
.LBB65_31:                              ;   in Loop: Header=BB65_18 Depth=1
	v_ashrrev_i32_e32 v3, 31, v2
	s_add_nc_u64 s[20:21], s[6:7], s[20:21]
	s_wait_dscnt 0x0
	s_delay_alu instid0(VALU_DEP_1)
	v_lshl_add_u64 v[10:11], v[2:3], 4, s[18:19]
.LBB65_32:                              ;   Parent Loop BB65_18 Depth=1
                                        ; =>  This Inner Loop Header: Depth=2
	global_load_b32 v2, v0, s[20:21] scope:SCOPE_DEV
	s_wait_loadcnt 0x0
	v_cmp_eq_u32_e32 vcc_lo, 0, v2
	s_cbranch_vccnz .LBB65_32
; %bb.33:                               ;   in Loop: Header=BB65_18 Depth=1
	v_mad_u32 v2, s1, 49, v29
	global_inv scope:SCOPE_DEV
	v_mov_b64_e32 v[4:5], 0
	s_cmp_lt_i32 s23, 2
	global_load_b128 v[6:9], v2, s[18:19] scale_offset
	s_wait_xcnt 0x0
	v_mov_b64_e32 v[2:3], 0
	s_wait_loadcnt 0x0
	ds_store_2addr_b64 v27, v[6:7], v[8:9] offset1:1
	s_wait_dscnt 0x0
	s_cbranch_scc1 .LBB65_41
; %bb.34:                               ;   in Loop: Header=BB65_18 Depth=1
	v_mov_b64_e32 v[8:9], 0
	v_mov_b64_e32 v[6:7], 0
	s_add_co_i32 s1, s23, -1
	s_movk_i32 s20, 0xe00
.LBB65_35:                              ;   Parent Loop BB65_18 Depth=1
                                        ; =>  This Inner Loop Header: Depth=2
	s_delay_alu instid0(SALU_CYCLE_1)
	v_mov_b32_e32 v2, s20
	s_and_b32 vcc_lo, exec_lo, s29
	s_mov_b32 s21, -1
	s_wait_dscnt 0x0
	ds_load_2addr_b32 v[12:13], v2 offset1:32
                                        ; implicit-def: $vgpr4_vgpr5
	s_cbranch_vccz .LBB65_38
; %bb.36:                               ;   in Loop: Header=BB65_35 Depth=2
	s_wait_dscnt 0x0
	v_dual_add_nc_u32 v14, v12, v16 :: v_dual_add_nc_u32 v15, v13, v17
	s_clause 0x1
	global_load_b128 v[30:33], v14, s[18:19] scale_offset
	global_load_b128 v[34:37], v15, s[18:19] scale_offset
	v_dual_add_nc_u32 v2, 7, v14 :: v_dual_add_nc_u32 v3, 7, v15
	s_clause 0x1
	global_load_b128 v[38:41], v2, s[18:19] scale_offset
	global_load_b128 v[42:45], v3, s[18:19] scale_offset
	s_wait_xcnt 0x0
	v_dual_add_nc_u32 v2, 14, v14 :: v_dual_add_nc_u32 v3, 14, v15
	s_clause 0x1
	global_load_b128 v[46:49], v2, s[18:19] scale_offset
	global_load_b128 v[50:53], v3, s[18:19] scale_offset
	s_wait_xcnt 0x0
	;; [unrolled: 5-line block ×4, first 2 shown]
	v_dual_add_nc_u32 v2, 35, v14 :: v_dual_add_nc_u32 v3, 35, v15
	s_clause 0x1
	global_load_b128 v[70:73], v2, s[18:19] scale_offset
	global_load_b128 v[74:77], v3, s[18:19] scale_offset
	v_add_nc_u32_e32 v14, 42, v14
	s_wait_loadcnt 0xa
	v_fma_f64 v[4:5], v[32:33], v[34:35], v[8:9]
	s_wait_xcnt 0x0
	v_fma_f64 v[2:3], v[30:31], v[34:35], v[6:7]
	s_delay_alu instid0(VALU_DEP_2) | instskip(NEXT) | instid1(VALU_DEP_2)
	v_fma_f64 v[4:5], v[30:31], -v[36:37], v[4:5]
	v_fmac_f64_e32 v[2:3], v[32:33], v[36:37]
	s_wait_loadcnt 0x8
	s_delay_alu instid0(VALU_DEP_2) | instskip(SKIP_1) | instid1(VALU_DEP_3)
	v_fmac_f64_e32 v[4:5], v[40:41], v[42:43]
	v_add_nc_u32_e32 v15, 42, v15
	v_fmac_f64_e32 v[2:3], v[38:39], v[42:43]
	s_delay_alu instid0(VALU_DEP_3)
	v_fma_f64 v[4:5], v[38:39], -v[44:45], v[4:5]
	s_clause 0x1
	global_load_b128 v[30:33], v14, s[18:19] scale_offset
	global_load_b128 v[34:37], v15, s[18:19] scale_offset
	v_fmac_f64_e32 v[2:3], v[40:41], v[44:45]
	s_wait_loadcnt 0x8
	v_fmac_f64_e32 v[4:5], v[48:49], v[50:51]
	s_delay_alu instid0(VALU_DEP_2) | instskip(NEXT) | instid1(VALU_DEP_2)
	v_fmac_f64_e32 v[2:3], v[46:47], v[50:51]
	v_fma_f64 v[4:5], v[46:47], -v[52:53], v[4:5]
	s_delay_alu instid0(VALU_DEP_2) | instskip(SKIP_1) | instid1(VALU_DEP_2)
	v_fmac_f64_e32 v[2:3], v[48:49], v[52:53]
	s_wait_loadcnt 0x6
	v_fmac_f64_e32 v[4:5], v[56:57], v[58:59]
	s_delay_alu instid0(VALU_DEP_2) | instskip(NEXT) | instid1(VALU_DEP_2)
	v_fmac_f64_e32 v[2:3], v[54:55], v[58:59]
	v_fma_f64 v[4:5], v[54:55], -v[60:61], v[4:5]
	s_delay_alu instid0(VALU_DEP_2) | instskip(SKIP_1) | instid1(VALU_DEP_2)
	;; [unrolled: 7-line block ×3, first 2 shown]
	v_fmac_f64_e32 v[2:3], v[64:65], v[68:69]
	s_wait_loadcnt 0x2
	v_fmac_f64_e32 v[4:5], v[72:73], v[74:75]
	s_delay_alu instid0(VALU_DEP_2) | instskip(NEXT) | instid1(VALU_DEP_2)
	v_fmac_f64_e32 v[2:3], v[70:71], v[74:75]
	v_fma_f64 v[4:5], v[70:71], -v[76:77], v[4:5]
	s_delay_alu instid0(VALU_DEP_2) | instskip(SKIP_1) | instid1(VALU_DEP_1)
	v_fmac_f64_e32 v[2:3], v[72:73], v[76:77]
	s_wait_loadcnt 0x0
	v_fmac_f64_e32 v[2:3], v[30:31], v[34:35]
	s_delay_alu instid0(VALU_DEP_3) | instskip(NEXT) | instid1(VALU_DEP_2)
	v_fmac_f64_e32 v[4:5], v[32:33], v[34:35]
	v_fmac_f64_e32 v[2:3], v[32:33], v[36:37]
	s_delay_alu instid0(VALU_DEP_2)
	v_fma_f64 v[4:5], v[30:31], -v[36:37], v[4:5]
	s_cbranch_execz .LBB65_39
.LBB65_37:                              ;   in Loop: Header=BB65_35 Depth=2
	s_add_co_i32 s1, s1, -1
	s_add_co_i32 s20, s20, 4
	s_cmp_eq_u32 s1, 0
	s_cbranch_scc0 .LBB65_40
	s_branch .LBB65_41
.LBB65_38:                              ;   in Loop: Header=BB65_35 Depth=2
	s_and_not1_b32 vcc_lo, exec_lo, s21
	s_cbranch_vccnz .LBB65_37
.LBB65_39:                              ;   in Loop: Header=BB65_35 Depth=2
	s_wait_dscnt 0x0
	v_dual_add_nc_u32 v74, v13, v23 :: v_dual_add_nc_u32 v70, v12, v1
	s_clause 0xc
	global_load_b128 v[2:5], v74, s[18:19] scale_offset
	global_load_b128 v[12:15], v70, s[18:19] scale_offset
	global_load_b128 v[30:33], v70, s[18:19] offset:16 scale_offset
	global_load_b128 v[34:37], v74, s[18:19] offset:16 scale_offset
	;; [unrolled: 1-line block ×11, first 2 shown]
	s_wait_loadcnt 0xb
	v_fmac_f64_e32 v[6:7], v[12:13], v[2:3]
	v_fmac_f64_e32 v[8:9], v[14:15], v[2:3]
	s_delay_alu instid0(VALU_DEP_2) | instskip(NEXT) | instid1(VALU_DEP_2)
	v_fmac_f64_e32 v[6:7], v[14:15], v[4:5]
	v_fma_f64 v[8:9], v[12:13], -v[4:5], v[8:9]
	global_load_b128 v[2:5], v74, s[18:19] offset:96 scale_offset
	s_wait_loadcnt 0xa
	v_fmac_f64_e32 v[6:7], v[30:31], v[34:35]
	v_fmac_f64_e32 v[8:9], v[32:33], v[34:35]
	s_delay_alu instid0(VALU_DEP_2) | instskip(NEXT) | instid1(VALU_DEP_2)
	v_fmac_f64_e32 v[6:7], v[32:33], v[36:37]
	v_fma_f64 v[8:9], v[30:31], -v[36:37], v[8:9]
	s_wait_loadcnt 0x8
	s_delay_alu instid0(VALU_DEP_2) | instskip(NEXT) | instid1(VALU_DEP_2)
	v_fmac_f64_e32 v[6:7], v[42:43], v[38:39]
	v_fmac_f64_e32 v[8:9], v[44:45], v[38:39]
	s_delay_alu instid0(VALU_DEP_2) | instskip(NEXT) | instid1(VALU_DEP_2)
	v_fmac_f64_e32 v[6:7], v[44:45], v[40:41]
	v_fma_f64 v[8:9], v[42:43], -v[40:41], v[8:9]
	s_wait_loadcnt 0x6
	s_delay_alu instid0(VALU_DEP_2) | instskip(NEXT) | instid1(VALU_DEP_2)
	;; [unrolled: 7-line block ×5, first 2 shown]
	v_fmac_f64_e32 v[6:7], v[66:67], v[2:3]
	v_fmac_f64_e32 v[8:9], v[68:69], v[2:3]
	s_delay_alu instid0(VALU_DEP_2) | instskip(NEXT) | instid1(VALU_DEP_2)
	v_fmac_f64_e32 v[6:7], v[68:69], v[4:5]
	v_fma_f64 v[4:5], v[66:67], -v[4:5], v[8:9]
	s_delay_alu instid0(VALU_DEP_2)
	v_mov_b64_e32 v[2:3], v[6:7]
	s_add_co_i32 s1, s1, -1
	s_add_co_i32 s20, s20, 4
	s_cmp_eq_u32 s1, 0
	s_cbranch_scc1 .LBB65_41
.LBB65_40:                              ;   in Loop: Header=BB65_35 Depth=2
	s_delay_alu instid0(VALU_DEP_1) | instskip(NEXT) | instid1(VALU_DEP_2)
	v_mov_b64_e32 v[8:9], v[4:5]
	v_mov_b64_e32 v[6:7], v[2:3]
	s_branch .LBB65_35
.LBB65_41:                              ;   in Loop: Header=BB65_18 Depth=1
	s_mov_b32 s20, 0
	s_mov_b32 s21, 0
	ds_store_b128 v28, v[2:5]
	s_wait_dscnt 0x0
	s_branch .LBB65_43
.LBB65_42:                              ;   in Loop: Header=BB65_43 Depth=2
	v_mul_f64_e32 v[32:33], v[14:15], v[14:15]
	s_wait_dscnt 0x0
	s_delay_alu instid0(VALU_DEP_2) | instskip(NEXT) | instid1(VALU_DEP_4)
	v_add_f64_e64 v[4:5], v[4:5], -v[8:9]
	v_add_f64_e64 v[2:3], v[2:3], -v[6:7]
	s_addk_co_i32 s20, 0x80
	s_delay_alu instid0(VALU_DEP_3) | instskip(NEXT) | instid1(VALU_DEP_3)
	v_fmac_f64_e32 v[32:33], v[12:13], v[12:13]
	v_mul_f64_e32 v[6:7], v[14:15], v[4:5]
	s_delay_alu instid0(VALU_DEP_3) | instskip(NEXT) | instid1(VALU_DEP_3)
	v_mul_f64_e64 v[14:15], v[14:15], -v[2:3]
	v_div_scale_f64 v[34:35], null, v[32:33], v[32:33], 1.0
	v_div_scale_f64 v[40:41], vcc_lo, 1.0, v[32:33], 1.0
	s_delay_alu instid0(VALU_DEP_4) | instskip(NEXT) | instid1(VALU_DEP_4)
	v_fmac_f64_e32 v[6:7], v[2:3], v[12:13]
	v_fmac_f64_e32 v[14:15], v[4:5], v[12:13]
	s_delay_alu instid0(VALU_DEP_4) | instskip(SKIP_1) | instid1(TRANS32_DEP_1)
	v_rcp_f64_e32 v[36:37], v[34:35]
	v_nop
	v_fma_f64 v[38:39], -v[34:35], v[36:37], 1.0
	s_delay_alu instid0(VALU_DEP_1) | instskip(NEXT) | instid1(VALU_DEP_1)
	v_fmac_f64_e32 v[36:37], v[36:37], v[38:39]
	v_fma_f64 v[38:39], -v[34:35], v[36:37], 1.0
	s_delay_alu instid0(VALU_DEP_1) | instskip(NEXT) | instid1(VALU_DEP_1)
	v_fmac_f64_e32 v[36:37], v[36:37], v[38:39]
	v_mul_f64_e32 v[38:39], v[40:41], v[36:37]
	s_delay_alu instid0(VALU_DEP_1) | instskip(NEXT) | instid1(VALU_DEP_1)
	v_fma_f64 v[8:9], -v[34:35], v[38:39], v[40:41]
	v_div_fmas_f64 v[8:9], v[8:9], v[36:37], v[38:39]
	s_delay_alu instid0(VALU_DEP_1) | instskip(NEXT) | instid1(VALU_DEP_1)
	v_div_fixup_f64 v[8:9], v[8:9], v[32:33], 1.0
	v_mul_f64_e32 v[2:3], v[8:9], v[6:7]
	v_mul_f64_e32 v[4:5], v[8:9], v[14:15]
	v_lshl_add_u32 v6, s21, 4, v21
	s_add_co_i32 s21, s21, 1
	s_delay_alu instid0(SALU_CYCLE_1)
	s_cmp_eq_u32 s21, 7
	ds_store_b128 v30, v[2:5]
	s_wait_storecnt_dscnt 0x0
	ds_load_b128 v[6:9], v6
	ds_load_b128 v[12:15], v20
	s_wait_dscnt 0x0
	v_fmac_f64_e32 v[12:13], v[2:3], v[6:7]
	v_fmac_f64_e32 v[14:15], v[4:5], v[6:7]
	s_delay_alu instid0(VALU_DEP_2) | instskip(NEXT) | instid1(VALU_DEP_2)
	v_fmac_f64_e32 v[12:13], v[4:5], v[8:9]
	v_fma_f64 v[14:15], v[2:3], -v[8:9], v[14:15]
	ds_store_b128 v20, v[12:15]
	s_wait_dscnt 0x0
	s_cbranch_scc1 .LBB65_16
.LBB65_43:                              ;   Parent Loop BB65_18 Depth=1
                                        ; =>  This Loop Header: Depth=2
                                        ;       Child Loop BB65_48 Depth 3
	s_lshl_b32 s22, s21, 4
	s_lshl_b32 s1, s21, 7
	v_add_nc_u32_e32 v30, s22, v24
	s_add_co_i32 s1, s1, s22
	s_delay_alu instid0(SALU_CYCLE_1)
	v_mov_b32_e32 v2, s1
	ds_load_b128 v[6:9], v2
	ds_load_b128 v[2:5], v30
	s_wait_dscnt 0x1
	v_cmp_neq_f64_e32 vcc_lo, 0, v[6:7]
	v_cmp_neq_f64_e64 s1, 0, v[8:9]
	s_or_b32 vcc_lo, vcc_lo, s1
	v_cndmask_b32_e32 v13, 0x3ff00000, v7, vcc_lo
	v_dual_cndmask_b32 v12, 0, v6 :: v_dual_cndmask_b32 v15, 0, v9
	v_cndmask_b32_e32 v14, 0, v8, vcc_lo
	s_nor_b32 s22, vcc_lo, s0
	s_delay_alu instid0(SALU_CYCLE_1)
	s_and_saveexec_b32 s1, s22
	s_cbranch_execz .LBB65_47
; %bb.44:                               ;   in Loop: Header=BB65_43 Depth=2
	v_mbcnt_lo_u32_b32 v6, exec_lo, 0
	s_mov_b32 s22, exec_lo
	s_delay_alu instid0(VALU_DEP_1)
	v_cmpx_eq_u32_e32 0, v6
	s_cbranch_execz .LBB65_46
; %bb.45:                               ;   in Loop: Header=BB65_43 Depth=2
	v_mov_b32_e32 v6, s3
	global_atomic_min_i32 v0, v6, s[10:11] scope:SCOPE_DEV
.LBB65_46:                              ;   in Loop: Header=BB65_43 Depth=2
	s_wait_xcnt 0x0
	s_or_b32 exec_lo, exec_lo, s22
	v_mov_b64_e32 v[14:15], 0
	v_mov_b64_e32 v[12:13], 1.0
.LBB65_47:                              ;   in Loop: Header=BB65_43 Depth=2
	s_or_b32 exec_lo, exec_lo, s1
	v_lshl_add_u32 v6, s21, 4, v25
	v_mov_b32_e32 v31, v24
	s_cmp_eq_u32 s21, 0
	s_mov_b32 s1, s20
	s_mov_b32 s22, s21
	ds_load_b128 v[6:9], v6
	s_cbranch_scc1 .LBB65_42
.LBB65_48:                              ;   Parent Loop BB65_18 Depth=1
                                        ;     Parent Loop BB65_43 Depth=2
                                        ; =>    This Inner Loop Header: Depth=3
	v_mov_b32_e32 v36, s1
	s_add_co_i32 s22, s22, -1
	s_add_co_i32 s1, s1, 16
	s_cmp_eq_u32 s22, 0
	ds_load_b128 v[32:35], v31
	ds_load_b128 v[36:39], v36
	v_add_nc_u32_e32 v31, 16, v31
	s_wait_dscnt 0x0
	v_fmac_f64_e32 v[6:7], v[36:37], v[32:33]
	v_fmac_f64_e32 v[8:9], v[38:39], v[32:33]
	s_delay_alu instid0(VALU_DEP_2) | instskip(NEXT) | instid1(VALU_DEP_2)
	v_fmac_f64_e32 v[6:7], v[38:39], v[34:35]
	v_fma_f64 v[8:9], v[36:37], -v[34:35], v[8:9]
	s_cbranch_scc0 .LBB65_48
	s_branch .LBB65_42
.LBB65_49:
	v_mov_b32_e32 v0, v18
	s_wait_kmcnt 0x0
	s_cmp_lg_u32 s28, 0
	s_cselect_b32 s4, -1, 0
	s_cmp_eq_u32 s28, 0
	s_cbranch_scc1 .LBB65_51
; %bb.50:
	v_mad_u32_u24 v0, v16, 7, v17
.LBB65_51:
	s_mul_i32 s3, s26, 49
	v_lshl_add_u32 v7, v17, 7, 0x700
	s_delay_alu instid0(VALU_DEP_2)
	v_add_nc_u32_e32 v0, s3, v0
	s_wait_xcnt 0x0
	v_cmp_ne_u32_e64 s1, 0, v17
	s_mov_b32 s0, exec_lo
	v_lshl_add_u32 v6, v16, 4, v7
	global_load_b128 v[0:3], v0, s[18:19] scale_offset
	s_wait_loadcnt 0x0
	ds_store_2addr_b64 v6, v[0:1], v[2:3] offset1:1
	s_wait_dscnt 0x0
	s_wait_xcnt 0x0
	v_cmpx_eq_u32_e32 0, v17
	s_cbranch_execz .LBB65_60
; %bb.52:
	v_mov_b32_e32 v4, 0
	ds_load_b128 v[0:3], v4 offset:2688
	ds_load_b128 v[8:11], v4 offset:1792
	s_wait_dscnt 0x0
	v_add_f64_e64 v[0:1], v[8:9], -v[0:1]
	v_add_f64_e64 v[4:5], v[10:11], -v[2:3]
	s_delay_alu instid0(VALU_DEP_2) | instskip(SKIP_1) | instid1(VALU_DEP_3)
	v_cmp_gt_f64_e32 vcc_lo, 0, v[0:1]
	v_xor_b32_e32 v2, 0x80000000, v1
	v_xor_b32_e32 v3, 0x80000000, v5
	s_delay_alu instid0(VALU_DEP_2) | instskip(SKIP_1) | instid1(VALU_DEP_3)
	v_dual_cndmask_b32 v1, v1, v2 :: v_dual_mov_b32 v2, v4
	v_cmp_gt_f64_e32 vcc_lo, 0, v[4:5]
	v_cndmask_b32_e32 v3, v5, v3, vcc_lo
	s_delay_alu instid0(VALU_DEP_1)
	v_cmp_ngt_f64_e32 vcc_lo, v[0:1], v[2:3]
	s_cbranch_vccz .LBB65_57
; %bb.53:
	v_cmp_eq_f64_e32 vcc_lo, 0, v[4:5]
	s_cbranch_vccnz .LBB65_153
; %bb.54:
	v_div_scale_f64 v[4:5], null, v[2:3], v[2:3], v[0:1]
	v_div_scale_f64 v[12:13], vcc_lo, v[0:1], v[2:3], v[0:1]
	s_delay_alu instid0(VALU_DEP_2) | instskip(SKIP_1) | instid1(TRANS32_DEP_1)
	v_rcp_f64_e32 v[8:9], v[4:5]
	v_nop
	v_fma_f64 v[10:11], -v[4:5], v[8:9], 1.0
	s_delay_alu instid0(VALU_DEP_1) | instskip(NEXT) | instid1(VALU_DEP_1)
	v_fmac_f64_e32 v[8:9], v[8:9], v[10:11]
	v_fma_f64 v[10:11], -v[4:5], v[8:9], 1.0
	s_delay_alu instid0(VALU_DEP_1) | instskip(NEXT) | instid1(VALU_DEP_1)
	v_fmac_f64_e32 v[8:9], v[8:9], v[10:11]
	v_mul_f64_e32 v[10:11], v[12:13], v[8:9]
	s_delay_alu instid0(VALU_DEP_1) | instskip(NEXT) | instid1(VALU_DEP_1)
	v_fma_f64 v[4:5], -v[4:5], v[10:11], v[12:13]
	v_div_fmas_f64 v[4:5], v[4:5], v[8:9], v[10:11]
	s_delay_alu instid0(VALU_DEP_1) | instskip(NEXT) | instid1(VALU_DEP_1)
	v_div_fixup_f64 v[4:5], v[4:5], v[2:3], v[0:1]
	v_fma_f64 v[4:5], v[4:5], v[4:5], 1.0
	s_delay_alu instid0(VALU_DEP_1) | instskip(SKIP_2) | instid1(SALU_CYCLE_1)
	v_cmp_gt_f64_e32 vcc_lo, 0x10000000, v[4:5]
	s_and_b32 s2, vcc_lo, exec_lo
	s_cselect_b32 s2, 0x100, 0
	v_ldexp_f64 v[4:5], v[4:5], s2
	s_cselect_b32 s2, 0xffffff80, 0
	s_delay_alu instid0(VALU_DEP_1) | instskip(SKIP_1) | instid1(TRANS32_DEP_1)
	v_rsq_f64_e32 v[8:9], v[4:5]
	v_cmp_class_f64_e64 vcc_lo, v[4:5], 0x260
	v_mul_f64_e32 v[10:11], v[4:5], v[8:9]
	v_mul_f64_e32 v[8:9], 0.5, v[8:9]
	s_delay_alu instid0(VALU_DEP_1) | instskip(NEXT) | instid1(VALU_DEP_1)
	v_fma_f64 v[12:13], -v[8:9], v[10:11], 0.5
	v_fmac_f64_e32 v[10:11], v[10:11], v[12:13]
	v_fmac_f64_e32 v[8:9], v[8:9], v[12:13]
	s_delay_alu instid0(VALU_DEP_2) | instskip(NEXT) | instid1(VALU_DEP_1)
	v_fma_f64 v[12:13], -v[10:11], v[10:11], v[4:5]
	v_fmac_f64_e32 v[10:11], v[12:13], v[8:9]
	s_delay_alu instid0(VALU_DEP_1) | instskip(NEXT) | instid1(VALU_DEP_1)
	v_fma_f64 v[12:13], -v[10:11], v[10:11], v[4:5]
	v_fmac_f64_e32 v[10:11], v[12:13], v[8:9]
	s_delay_alu instid0(VALU_DEP_1) | instskip(NEXT) | instid1(VALU_DEP_1)
	v_ldexp_f64 v[8:9], v[10:11], s2
	v_dual_cndmask_b32 v5, v9, v5 :: v_dual_cndmask_b32 v4, v8, v4
	s_delay_alu instid0(VALU_DEP_1)
	v_mul_f64_e32 v[4:5], v[2:3], v[4:5]
	s_cbranch_execz .LBB65_58
	s_branch .LBB65_59
.LBB65_55:
	s_cbranch_execnz .LBB65_149
.LBB65_56:
	s_sendmsg sendmsg(MSG_DEALLOC_VGPRS)
	s_endpgm
.LBB65_57:
                                        ; implicit-def: $vgpr4_vgpr5
.LBB65_58:
	v_div_scale_f64 v[4:5], null, v[0:1], v[0:1], v[2:3]
	v_div_scale_f64 v[12:13], vcc_lo, v[2:3], v[0:1], v[2:3]
	s_delay_alu instid0(VALU_DEP_2) | instskip(SKIP_1) | instid1(TRANS32_DEP_1)
	v_rcp_f64_e32 v[8:9], v[4:5]
	v_nop
	v_fma_f64 v[10:11], -v[4:5], v[8:9], 1.0
	s_delay_alu instid0(VALU_DEP_1) | instskip(NEXT) | instid1(VALU_DEP_1)
	v_fmac_f64_e32 v[8:9], v[8:9], v[10:11]
	v_fma_f64 v[10:11], -v[4:5], v[8:9], 1.0
	s_delay_alu instid0(VALU_DEP_1) | instskip(NEXT) | instid1(VALU_DEP_1)
	v_fmac_f64_e32 v[8:9], v[8:9], v[10:11]
	v_mul_f64_e32 v[10:11], v[12:13], v[8:9]
	s_delay_alu instid0(VALU_DEP_1) | instskip(NEXT) | instid1(VALU_DEP_1)
	v_fma_f64 v[4:5], -v[4:5], v[10:11], v[12:13]
	v_div_fmas_f64 v[4:5], v[4:5], v[8:9], v[10:11]
	s_delay_alu instid0(VALU_DEP_1) | instskip(NEXT) | instid1(VALU_DEP_1)
	v_div_fixup_f64 v[2:3], v[4:5], v[0:1], v[2:3]
	v_fma_f64 v[2:3], v[2:3], v[2:3], 1.0
	s_delay_alu instid0(VALU_DEP_1) | instskip(SKIP_2) | instid1(SALU_CYCLE_1)
	v_cmp_gt_f64_e32 vcc_lo, 0x10000000, v[2:3]
	s_and_b32 s2, vcc_lo, exec_lo
	s_cselect_b32 s2, 0x100, 0
	v_ldexp_f64 v[2:3], v[2:3], s2
	s_cselect_b32 s2, 0xffffff80, 0
	s_delay_alu instid0(VALU_DEP_1) | instskip(SKIP_1) | instid1(TRANS32_DEP_1)
	v_rsq_f64_e32 v[4:5], v[2:3]
	v_cmp_class_f64_e64 vcc_lo, v[2:3], 0x260
	v_mul_f64_e32 v[8:9], v[2:3], v[4:5]
	v_mul_f64_e32 v[4:5], 0.5, v[4:5]
	s_delay_alu instid0(VALU_DEP_1) | instskip(NEXT) | instid1(VALU_DEP_1)
	v_fma_f64 v[10:11], -v[4:5], v[8:9], 0.5
	v_fmac_f64_e32 v[8:9], v[8:9], v[10:11]
	v_fmac_f64_e32 v[4:5], v[4:5], v[10:11]
	s_delay_alu instid0(VALU_DEP_2) | instskip(NEXT) | instid1(VALU_DEP_1)
	v_fma_f64 v[10:11], -v[8:9], v[8:9], v[2:3]
	v_fmac_f64_e32 v[8:9], v[10:11], v[4:5]
	s_delay_alu instid0(VALU_DEP_1) | instskip(NEXT) | instid1(VALU_DEP_1)
	v_fma_f64 v[10:11], -v[8:9], v[8:9], v[2:3]
	v_fmac_f64_e32 v[8:9], v[10:11], v[4:5]
	s_delay_alu instid0(VALU_DEP_1) | instskip(NEXT) | instid1(VALU_DEP_1)
	v_ldexp_f64 v[4:5], v[8:9], s2
	v_dual_cndmask_b32 v3, v5, v3 :: v_dual_cndmask_b32 v2, v4, v2
	s_delay_alu instid0(VALU_DEP_1)
	v_mul_f64_e32 v[4:5], v[0:1], v[2:3]
.LBB65_59:
	s_delay_alu instid0(VALU_DEP_1) | instskip(SKIP_2) | instid1(SALU_CYCLE_1)
	v_cmp_gt_f64_e32 vcc_lo, 0x10000000, v[4:5]
	s_and_b32 s2, vcc_lo, exec_lo
	s_cselect_b32 s2, 0x100, 0
	v_ldexp_f64 v[0:1], v[4:5], s2
	s_cselect_b32 s2, 0xffffff80, 0
	s_delay_alu instid0(VALU_DEP_1) | instskip(SKIP_1) | instid1(TRANS32_DEP_1)
	v_rsq_f64_e32 v[2:3], v[0:1]
	v_cmp_class_f64_e64 vcc_lo, v[0:1], 0x260
	v_mul_f64_e32 v[4:5], v[0:1], v[2:3]
	v_mul_f64_e32 v[2:3], 0.5, v[2:3]
	s_delay_alu instid0(VALU_DEP_1) | instskip(NEXT) | instid1(VALU_DEP_1)
	v_fma_f64 v[8:9], -v[2:3], v[4:5], 0.5
	v_fmac_f64_e32 v[4:5], v[4:5], v[8:9]
	v_fmac_f64_e32 v[2:3], v[2:3], v[8:9]
	s_delay_alu instid0(VALU_DEP_2) | instskip(NEXT) | instid1(VALU_DEP_1)
	v_fma_f64 v[8:9], -v[4:5], v[4:5], v[0:1]
	v_fmac_f64_e32 v[4:5], v[8:9], v[2:3]
	s_delay_alu instid0(VALU_DEP_1) | instskip(NEXT) | instid1(VALU_DEP_1)
	v_fma_f64 v[8:9], -v[4:5], v[4:5], v[0:1]
	v_fmac_f64_e32 v[4:5], v[8:9], v[2:3]
	v_mov_b32_e32 v2, 0
	s_delay_alu instid0(VALU_DEP_1) | instskip(NEXT) | instid1(VALU_DEP_3)
	v_mov_b32_e32 v3, v2
	v_ldexp_f64 v[4:5], v[4:5], s2
	s_delay_alu instid0(VALU_DEP_1)
	v_dual_cndmask_b32 v1, v5, v1 :: v_dual_cndmask_b32 v0, v4, v0
	ds_store_b128 v2, v[0:3] offset:1792
.LBB65_60:
	s_or_b32 exec_lo, exec_lo, s0
	v_dual_mov_b32 v0, 0 :: v_dual_bitop2_b32 v8, v16, v17 bitop3:0x54
	s_wait_dscnt 0x0
	ds_load_b128 v[0:3], v0 offset:1792
	v_cmp_ne_u32_e64 s0, 0, v8
	s_wait_dscnt 0x0
	v_cmp_neq_f64_e32 vcc_lo, 0, v[0:1]
	v_cmp_neq_f64_e64 s2, 0, v[2:3]
	s_or_b32 vcc_lo, vcc_lo, s2
	s_add_co_i32 s2, s16, s17
	v_cndmask_b32_e32 v1, 0x3ff00000, v1, vcc_lo
	v_dual_cndmask_b32 v0, 0, v0 :: v_dual_cndmask_b32 v3, 0, v3
	v_cndmask_b32_e32 v2, 0, v2, vcc_lo
	s_nor_b32 s12, vcc_lo, s0
	s_delay_alu instid0(SALU_CYCLE_1)
	s_and_saveexec_b32 s5, s12
	s_cbranch_execz .LBB65_64
; %bb.61:
	v_mbcnt_lo_u32_b32 v0, exec_lo, 0
	s_mov_b32 s12, exec_lo
	s_delay_alu instid0(VALU_DEP_1)
	v_cmpx_eq_u32_e32 0, v0
	s_cbranch_execz .LBB65_63
; %bb.62:
	v_dual_mov_b32 v0, 0 :: v_dual_mov_b32 v1, s2
	global_atomic_min_i32 v0, v1, s[10:11] scope:SCOPE_DEV
.LBB65_63:
	s_wait_xcnt 0x0
	s_or_b32 exec_lo, exec_lo, s12
	v_mov_b64_e32 v[2:3], 0
	v_mov_b64_e32 v[0:1], 1.0
.LBB65_64:
	s_or_b32 exec_lo, exec_lo, s5
	s_and_saveexec_b32 s5, s1
	s_cbranch_execz .LBB65_66
; %bb.65:
	s_delay_alu instid0(VALU_DEP_1) | instskip(NEXT) | instid1(VALU_DEP_1)
	v_mul_f64_e32 v[4:5], v[2:3], v[2:3]
	v_fmac_f64_e32 v[4:5], v[0:1], v[0:1]
	s_delay_alu instid0(VALU_DEP_1) | instskip(SKIP_1) | instid1(VALU_DEP_2)
	v_div_scale_f64 v[14:15], null, v[4:5], v[4:5], 1.0
	v_div_scale_f64 v[30:31], vcc_lo, 1.0, v[4:5], 1.0
	v_rcp_f64_e32 v[28:29], v[14:15]
	v_nop
	s_delay_alu instid0(TRANS32_DEP_1) | instskip(NEXT) | instid1(VALU_DEP_1)
	v_fma_f64 v[10:11], -v[14:15], v[28:29], 1.0
	v_fmac_f64_e32 v[28:29], v[28:29], v[10:11]
	s_delay_alu instid0(VALU_DEP_1) | instskip(NEXT) | instid1(VALU_DEP_1)
	v_fma_f64 v[10:11], -v[14:15], v[28:29], 1.0
	v_fmac_f64_e32 v[28:29], v[28:29], v[10:11]
	ds_load_b128 v[10:13], v7
	ds_load_b128 v[24:27], v22
	s_wait_dscnt 0x0
	v_add_f64_e64 v[12:13], v[12:13], -v[26:27]
	v_add_f64_e64 v[10:11], v[10:11], -v[24:25]
	v_mul_f64_e32 v[32:33], v[30:31], v[28:29]
	s_delay_alu instid0(VALU_DEP_3) | instskip(NEXT) | instid1(VALU_DEP_3)
	v_mul_f64_e32 v[24:25], v[2:3], v[12:13]
	v_mul_f64_e64 v[2:3], v[2:3], -v[10:11]
	s_delay_alu instid0(VALU_DEP_3) | instskip(NEXT) | instid1(VALU_DEP_3)
	v_fma_f64 v[14:15], -v[14:15], v[32:33], v[30:31]
	v_fmac_f64_e32 v[24:25], v[10:11], v[0:1]
	s_delay_alu instid0(VALU_DEP_3) | instskip(NEXT) | instid1(VALU_DEP_3)
	v_fmac_f64_e32 v[2:3], v[12:13], v[0:1]
	v_div_fmas_f64 v[14:15], v[14:15], v[28:29], v[32:33]
	s_delay_alu instid0(VALU_DEP_1) | instskip(NEXT) | instid1(VALU_DEP_1)
	v_div_fixup_f64 v[4:5], v[14:15], v[4:5], 1.0
	v_mul_f64_e32 v[0:1], v[4:5], v[24:25]
	s_delay_alu instid0(VALU_DEP_4)
	v_mul_f64_e32 v[2:3], v[4:5], v[2:3]
	ds_store_b128 v7, v[0:3]
	s_wait_storecnt_dscnt 0x0
	ds_load_b128 v[10:13], v21
	ds_load_b128 v[24:27], v20
	s_wait_dscnt 0x0
	v_fmac_f64_e32 v[24:25], v[0:1], v[10:11]
	v_fmac_f64_e32 v[26:27], v[2:3], v[10:11]
	s_delay_alu instid0(VALU_DEP_2) | instskip(NEXT) | instid1(VALU_DEP_2)
	v_fmac_f64_e32 v[24:25], v[2:3], v[12:13]
	v_fma_f64 v[26:27], v[0:1], -v[12:13], v[26:27]
	ds_store_b128 v20, v[24:27]
.LBB65_66:
	s_or_b32 exec_lo, exec_lo, s5
	s_delay_alu instid0(SALU_CYCLE_1)
	s_mov_b32 s1, exec_lo
	s_wait_storecnt_dscnt 0x0
	v_cmpx_eq_u32_e32 1, v17
	s_cbranch_execz .LBB65_73
; %bb.67:
	v_mov_b32_e32 v4, 0
	ds_load_b128 v[0:3], v4 offset:2832
	ds_load_b128 v[10:13], v4 offset:1936
	s_wait_dscnt 0x0
	v_add_f64_e64 v[0:1], v[10:11], -v[0:1]
	v_add_f64_e64 v[4:5], v[12:13], -v[2:3]
	s_delay_alu instid0(VALU_DEP_2) | instskip(SKIP_1) | instid1(VALU_DEP_3)
	v_cmp_gt_f64_e32 vcc_lo, 0, v[0:1]
	v_xor_b32_e32 v2, 0x80000000, v1
	v_xor_b32_e32 v3, 0x80000000, v5
	s_delay_alu instid0(VALU_DEP_2) | instskip(SKIP_1) | instid1(VALU_DEP_3)
	v_dual_cndmask_b32 v1, v1, v2 :: v_dual_mov_b32 v2, v4
	v_cmp_gt_f64_e32 vcc_lo, 0, v[4:5]
	v_cndmask_b32_e32 v3, v5, v3, vcc_lo
	s_delay_alu instid0(VALU_DEP_1)
	v_cmp_gt_f64_e32 vcc_lo, v[0:1], v[2:3]
	s_cbranch_vccnz .LBB65_70
; %bb.68:
	v_cmp_eq_f64_e32 vcc_lo, 0, v[4:5]
	s_cbranch_vccnz .LBB65_154
; %bb.69:
	v_div_scale_f64 v[4:5], null, v[2:3], v[2:3], v[0:1]
	v_div_scale_f64 v[14:15], vcc_lo, v[0:1], v[2:3], v[0:1]
	s_delay_alu instid0(VALU_DEP_2) | instskip(SKIP_1) | instid1(TRANS32_DEP_1)
	v_rcp_f64_e32 v[10:11], v[4:5]
	v_nop
	v_fma_f64 v[12:13], -v[4:5], v[10:11], 1.0
	s_delay_alu instid0(VALU_DEP_1) | instskip(NEXT) | instid1(VALU_DEP_1)
	v_fmac_f64_e32 v[10:11], v[10:11], v[12:13]
	v_fma_f64 v[12:13], -v[4:5], v[10:11], 1.0
	s_delay_alu instid0(VALU_DEP_1) | instskip(NEXT) | instid1(VALU_DEP_1)
	v_fmac_f64_e32 v[10:11], v[10:11], v[12:13]
	v_mul_f64_e32 v[12:13], v[14:15], v[10:11]
	s_delay_alu instid0(VALU_DEP_1) | instskip(NEXT) | instid1(VALU_DEP_1)
	v_fma_f64 v[4:5], -v[4:5], v[12:13], v[14:15]
	v_div_fmas_f64 v[4:5], v[4:5], v[10:11], v[12:13]
	s_delay_alu instid0(VALU_DEP_1) | instskip(NEXT) | instid1(VALU_DEP_1)
	v_div_fixup_f64 v[4:5], v[4:5], v[2:3], v[0:1]
	v_fma_f64 v[4:5], v[4:5], v[4:5], 1.0
	s_delay_alu instid0(VALU_DEP_1) | instskip(SKIP_2) | instid1(SALU_CYCLE_1)
	v_cmp_gt_f64_e32 vcc_lo, 0x10000000, v[4:5]
	s_and_b32 s5, vcc_lo, exec_lo
	s_cselect_b32 s5, 0x100, 0
	v_ldexp_f64 v[4:5], v[4:5], s5
	s_cselect_b32 s5, 0xffffff80, 0
	s_delay_alu instid0(VALU_DEP_1) | instskip(SKIP_1) | instid1(TRANS32_DEP_1)
	v_rsq_f64_e32 v[10:11], v[4:5]
	v_cmp_class_f64_e64 vcc_lo, v[4:5], 0x260
	v_mul_f64_e32 v[12:13], v[4:5], v[10:11]
	v_mul_f64_e32 v[10:11], 0.5, v[10:11]
	s_delay_alu instid0(VALU_DEP_1) | instskip(NEXT) | instid1(VALU_DEP_1)
	v_fma_f64 v[14:15], -v[10:11], v[12:13], 0.5
	v_fmac_f64_e32 v[12:13], v[12:13], v[14:15]
	v_fmac_f64_e32 v[10:11], v[10:11], v[14:15]
	s_delay_alu instid0(VALU_DEP_2) | instskip(NEXT) | instid1(VALU_DEP_1)
	v_fma_f64 v[14:15], -v[12:13], v[12:13], v[4:5]
	v_fmac_f64_e32 v[12:13], v[14:15], v[10:11]
	s_delay_alu instid0(VALU_DEP_1) | instskip(NEXT) | instid1(VALU_DEP_1)
	v_fma_f64 v[14:15], -v[12:13], v[12:13], v[4:5]
	v_fmac_f64_e32 v[12:13], v[14:15], v[10:11]
	s_delay_alu instid0(VALU_DEP_1) | instskip(NEXT) | instid1(VALU_DEP_1)
	v_ldexp_f64 v[10:11], v[12:13], s5
	v_dual_cndmask_b32 v5, v11, v5 :: v_dual_cndmask_b32 v4, v10, v4
	s_delay_alu instid0(VALU_DEP_1)
	v_mul_f64_e32 v[4:5], v[2:3], v[4:5]
	s_cbranch_execz .LBB65_71
	s_branch .LBB65_72
.LBB65_70:
                                        ; implicit-def: $vgpr4_vgpr5
.LBB65_71:
	v_div_scale_f64 v[4:5], null, v[0:1], v[0:1], v[2:3]
	v_div_scale_f64 v[14:15], vcc_lo, v[2:3], v[0:1], v[2:3]
	s_delay_alu instid0(VALU_DEP_2) | instskip(SKIP_1) | instid1(TRANS32_DEP_1)
	v_rcp_f64_e32 v[10:11], v[4:5]
	v_nop
	v_fma_f64 v[12:13], -v[4:5], v[10:11], 1.0
	s_delay_alu instid0(VALU_DEP_1) | instskip(NEXT) | instid1(VALU_DEP_1)
	v_fmac_f64_e32 v[10:11], v[10:11], v[12:13]
	v_fma_f64 v[12:13], -v[4:5], v[10:11], 1.0
	s_delay_alu instid0(VALU_DEP_1) | instskip(NEXT) | instid1(VALU_DEP_1)
	v_fmac_f64_e32 v[10:11], v[10:11], v[12:13]
	v_mul_f64_e32 v[12:13], v[14:15], v[10:11]
	s_delay_alu instid0(VALU_DEP_1) | instskip(NEXT) | instid1(VALU_DEP_1)
	v_fma_f64 v[4:5], -v[4:5], v[12:13], v[14:15]
	v_div_fmas_f64 v[4:5], v[4:5], v[10:11], v[12:13]
	s_delay_alu instid0(VALU_DEP_1) | instskip(NEXT) | instid1(VALU_DEP_1)
	v_div_fixup_f64 v[2:3], v[4:5], v[0:1], v[2:3]
	v_fma_f64 v[2:3], v[2:3], v[2:3], 1.0
	s_delay_alu instid0(VALU_DEP_1) | instskip(SKIP_2) | instid1(SALU_CYCLE_1)
	v_cmp_gt_f64_e32 vcc_lo, 0x10000000, v[2:3]
	s_and_b32 s5, vcc_lo, exec_lo
	s_cselect_b32 s5, 0x100, 0
	v_ldexp_f64 v[2:3], v[2:3], s5
	s_cselect_b32 s5, 0xffffff80, 0
	s_delay_alu instid0(VALU_DEP_1) | instskip(SKIP_1) | instid1(TRANS32_DEP_1)
	v_rsq_f64_e32 v[4:5], v[2:3]
	v_cmp_class_f64_e64 vcc_lo, v[2:3], 0x260
	v_mul_f64_e32 v[10:11], v[2:3], v[4:5]
	v_mul_f64_e32 v[4:5], 0.5, v[4:5]
	s_delay_alu instid0(VALU_DEP_1) | instskip(NEXT) | instid1(VALU_DEP_1)
	v_fma_f64 v[12:13], -v[4:5], v[10:11], 0.5
	v_fmac_f64_e32 v[10:11], v[10:11], v[12:13]
	v_fmac_f64_e32 v[4:5], v[4:5], v[12:13]
	s_delay_alu instid0(VALU_DEP_2) | instskip(NEXT) | instid1(VALU_DEP_1)
	v_fma_f64 v[12:13], -v[10:11], v[10:11], v[2:3]
	v_fmac_f64_e32 v[10:11], v[12:13], v[4:5]
	s_delay_alu instid0(VALU_DEP_1) | instskip(NEXT) | instid1(VALU_DEP_1)
	v_fma_f64 v[12:13], -v[10:11], v[10:11], v[2:3]
	v_fmac_f64_e32 v[10:11], v[12:13], v[4:5]
	s_delay_alu instid0(VALU_DEP_1) | instskip(NEXT) | instid1(VALU_DEP_1)
	v_ldexp_f64 v[4:5], v[10:11], s5
	v_dual_cndmask_b32 v3, v5, v3 :: v_dual_cndmask_b32 v2, v4, v2
	s_delay_alu instid0(VALU_DEP_1)
	v_mul_f64_e32 v[4:5], v[0:1], v[2:3]
.LBB65_72:
	s_delay_alu instid0(VALU_DEP_1) | instskip(SKIP_2) | instid1(SALU_CYCLE_1)
	v_cmp_gt_f64_e32 vcc_lo, 0x10000000, v[4:5]
	s_and_b32 s5, vcc_lo, exec_lo
	s_cselect_b32 s5, 0x100, 0
	v_ldexp_f64 v[0:1], v[4:5], s5
	s_cselect_b32 s5, 0xffffff80, 0
	s_delay_alu instid0(VALU_DEP_1) | instskip(SKIP_1) | instid1(TRANS32_DEP_1)
	v_rsq_f64_e32 v[2:3], v[0:1]
	v_cmp_class_f64_e64 vcc_lo, v[0:1], 0x260
	v_mul_f64_e32 v[4:5], v[0:1], v[2:3]
	v_mul_f64_e32 v[2:3], 0.5, v[2:3]
	s_delay_alu instid0(VALU_DEP_1) | instskip(NEXT) | instid1(VALU_DEP_1)
	v_fma_f64 v[10:11], -v[2:3], v[4:5], 0.5
	v_fmac_f64_e32 v[4:5], v[4:5], v[10:11]
	v_fmac_f64_e32 v[2:3], v[2:3], v[10:11]
	s_delay_alu instid0(VALU_DEP_2) | instskip(NEXT) | instid1(VALU_DEP_1)
	v_fma_f64 v[10:11], -v[4:5], v[4:5], v[0:1]
	v_fmac_f64_e32 v[4:5], v[10:11], v[2:3]
	s_delay_alu instid0(VALU_DEP_1) | instskip(NEXT) | instid1(VALU_DEP_1)
	v_fma_f64 v[10:11], -v[4:5], v[4:5], v[0:1]
	v_fmac_f64_e32 v[4:5], v[10:11], v[2:3]
	v_mov_b32_e32 v2, 0
	s_delay_alu instid0(VALU_DEP_1) | instskip(NEXT) | instid1(VALU_DEP_3)
	v_mov_b32_e32 v3, v2
	v_ldexp_f64 v[4:5], v[4:5], s5
	s_delay_alu instid0(VALU_DEP_1)
	v_dual_cndmask_b32 v1, v5, v1 :: v_dual_cndmask_b32 v0, v4, v0
	ds_store_b128 v2, v[0:3] offset:1936
.LBB65_73:
	s_or_b32 exec_lo, exec_lo, s1
	v_mov_b32_e32 v0, 0
	s_wait_dscnt 0x0
	ds_load_b128 v[0:3], v0 offset:1936
	s_wait_dscnt 0x0
	v_cmp_neq_f64_e32 vcc_lo, 0, v[0:1]
	v_cmp_neq_f64_e64 s1, 0, v[2:3]
	s_or_b32 vcc_lo, vcc_lo, s1
	v_cndmask_b32_e32 v1, 0x3ff00000, v1, vcc_lo
	v_dual_cndmask_b32 v0, 0, v0 :: v_dual_cndmask_b32 v3, 0, v3
	v_cndmask_b32_e32 v2, 0, v2, vcc_lo
	s_nor_b32 s5, vcc_lo, s0
	s_delay_alu instid0(SALU_CYCLE_1)
	s_and_saveexec_b32 s1, s5
	s_cbranch_execz .LBB65_77
; %bb.74:
	v_mbcnt_lo_u32_b32 v0, exec_lo, 0
	s_mov_b32 s5, exec_lo
	s_delay_alu instid0(VALU_DEP_1)
	v_cmpx_eq_u32_e32 0, v0
	s_cbranch_execz .LBB65_76
; %bb.75:
	v_dual_mov_b32 v0, 0 :: v_dual_mov_b32 v1, s2
	global_atomic_min_i32 v0, v1, s[10:11] scope:SCOPE_DEV
.LBB65_76:
	s_wait_xcnt 0x0
	s_or_b32 exec_lo, exec_lo, s5
	v_mov_b64_e32 v[2:3], 0
	v_mov_b64_e32 v[0:1], 1.0
.LBB65_77:
	s_or_b32 exec_lo, exec_lo, s1
	s_delay_alu instid0(SALU_CYCLE_1)
	s_mov_b32 s1, exec_lo
	v_cmpx_lt_u32_e32 1, v17
	s_cbranch_execz .LBB65_79
; %bb.78:
	s_delay_alu instid0(VALU_DEP_2) | instskip(NEXT) | instid1(VALU_DEP_1)
	v_mul_f64_e32 v[4:5], v[2:3], v[2:3]
	v_fmac_f64_e32 v[4:5], v[0:1], v[0:1]
	s_delay_alu instid0(VALU_DEP_1) | instskip(SKIP_1) | instid1(VALU_DEP_2)
	v_div_scale_f64 v[14:15], null, v[4:5], v[4:5], 1.0
	v_div_scale_f64 v[30:31], vcc_lo, 1.0, v[4:5], 1.0
	v_rcp_f64_e32 v[28:29], v[14:15]
	v_nop
	s_delay_alu instid0(TRANS32_DEP_1) | instskip(NEXT) | instid1(VALU_DEP_1)
	v_fma_f64 v[10:11], -v[14:15], v[28:29], 1.0
	v_fmac_f64_e32 v[28:29], v[28:29], v[10:11]
	s_delay_alu instid0(VALU_DEP_1) | instskip(NEXT) | instid1(VALU_DEP_1)
	v_fma_f64 v[10:11], -v[14:15], v[28:29], 1.0
	v_fmac_f64_e32 v[28:29], v[28:29], v[10:11]
	ds_load_b128 v[10:13], v7 offset:16
	ds_load_b128 v[24:27], v22 offset:16
	s_wait_dscnt 0x0
	v_add_f64_e64 v[12:13], v[12:13], -v[26:27]
	v_add_f64_e64 v[10:11], v[10:11], -v[24:25]
	v_mul_f64_e32 v[32:33], v[30:31], v[28:29]
	s_delay_alu instid0(VALU_DEP_3) | instskip(NEXT) | instid1(VALU_DEP_3)
	v_mul_f64_e32 v[24:25], v[2:3], v[12:13]
	v_mul_f64_e64 v[2:3], v[2:3], -v[10:11]
	s_delay_alu instid0(VALU_DEP_3) | instskip(NEXT) | instid1(VALU_DEP_3)
	v_fma_f64 v[14:15], -v[14:15], v[32:33], v[30:31]
	v_fmac_f64_e32 v[24:25], v[10:11], v[0:1]
	s_delay_alu instid0(VALU_DEP_3) | instskip(NEXT) | instid1(VALU_DEP_3)
	v_fmac_f64_e32 v[2:3], v[12:13], v[0:1]
	v_div_fmas_f64 v[14:15], v[14:15], v[28:29], v[32:33]
	s_delay_alu instid0(VALU_DEP_1) | instskip(NEXT) | instid1(VALU_DEP_1)
	v_div_fixup_f64 v[4:5], v[14:15], v[4:5], 1.0
	v_mul_f64_e32 v[0:1], v[4:5], v[24:25]
	s_delay_alu instid0(VALU_DEP_4)
	v_mul_f64_e32 v[2:3], v[4:5], v[2:3]
	ds_store_b128 v7, v[0:3] offset:16
	s_wait_storecnt_dscnt 0x0
	ds_load_b128 v[10:13], v21 offset:16
	ds_load_b128 v[24:27], v20
	s_wait_dscnt 0x0
	v_fmac_f64_e32 v[24:25], v[0:1], v[10:11]
	v_fmac_f64_e32 v[26:27], v[2:3], v[10:11]
	s_delay_alu instid0(VALU_DEP_2) | instskip(NEXT) | instid1(VALU_DEP_2)
	v_fmac_f64_e32 v[24:25], v[2:3], v[12:13]
	v_fma_f64 v[26:27], v[0:1], -v[12:13], v[26:27]
	ds_store_b128 v20, v[24:27]
.LBB65_79:
	s_or_b32 exec_lo, exec_lo, s1
	s_delay_alu instid0(SALU_CYCLE_1)
	s_mov_b32 s1, exec_lo
	s_wait_storecnt_dscnt 0x0
	v_cmpx_eq_u32_e32 2, v17
	s_cbranch_execz .LBB65_86
; %bb.80:
	v_mov_b32_e32 v4, 0
	ds_load_b128 v[0:3], v4 offset:2976
	ds_load_b128 v[10:13], v4 offset:2080
	s_wait_dscnt 0x0
	v_add_f64_e64 v[0:1], v[10:11], -v[0:1]
	v_add_f64_e64 v[4:5], v[12:13], -v[2:3]
	s_delay_alu instid0(VALU_DEP_2) | instskip(SKIP_1) | instid1(VALU_DEP_3)
	v_cmp_gt_f64_e32 vcc_lo, 0, v[0:1]
	v_xor_b32_e32 v2, 0x80000000, v1
	v_xor_b32_e32 v3, 0x80000000, v5
	s_delay_alu instid0(VALU_DEP_2) | instskip(SKIP_1) | instid1(VALU_DEP_3)
	v_dual_cndmask_b32 v1, v1, v2 :: v_dual_mov_b32 v2, v4
	v_cmp_gt_f64_e32 vcc_lo, 0, v[4:5]
	v_cndmask_b32_e32 v3, v5, v3, vcc_lo
	s_delay_alu instid0(VALU_DEP_1)
	v_cmp_gt_f64_e32 vcc_lo, v[0:1], v[2:3]
	s_cbranch_vccnz .LBB65_83
; %bb.81:
	v_cmp_eq_f64_e32 vcc_lo, 0, v[4:5]
	s_cbranch_vccnz .LBB65_155
; %bb.82:
	v_div_scale_f64 v[4:5], null, v[2:3], v[2:3], v[0:1]
	v_div_scale_f64 v[14:15], vcc_lo, v[0:1], v[2:3], v[0:1]
	s_delay_alu instid0(VALU_DEP_2) | instskip(SKIP_1) | instid1(TRANS32_DEP_1)
	v_rcp_f64_e32 v[10:11], v[4:5]
	v_nop
	v_fma_f64 v[12:13], -v[4:5], v[10:11], 1.0
	s_delay_alu instid0(VALU_DEP_1) | instskip(NEXT) | instid1(VALU_DEP_1)
	v_fmac_f64_e32 v[10:11], v[10:11], v[12:13]
	v_fma_f64 v[12:13], -v[4:5], v[10:11], 1.0
	s_delay_alu instid0(VALU_DEP_1) | instskip(NEXT) | instid1(VALU_DEP_1)
	v_fmac_f64_e32 v[10:11], v[10:11], v[12:13]
	v_mul_f64_e32 v[12:13], v[14:15], v[10:11]
	s_delay_alu instid0(VALU_DEP_1) | instskip(NEXT) | instid1(VALU_DEP_1)
	v_fma_f64 v[4:5], -v[4:5], v[12:13], v[14:15]
	v_div_fmas_f64 v[4:5], v[4:5], v[10:11], v[12:13]
	s_delay_alu instid0(VALU_DEP_1) | instskip(NEXT) | instid1(VALU_DEP_1)
	v_div_fixup_f64 v[4:5], v[4:5], v[2:3], v[0:1]
	v_fma_f64 v[4:5], v[4:5], v[4:5], 1.0
	s_delay_alu instid0(VALU_DEP_1) | instskip(SKIP_2) | instid1(SALU_CYCLE_1)
	v_cmp_gt_f64_e32 vcc_lo, 0x10000000, v[4:5]
	s_and_b32 s5, vcc_lo, exec_lo
	s_cselect_b32 s5, 0x100, 0
	v_ldexp_f64 v[4:5], v[4:5], s5
	s_cselect_b32 s5, 0xffffff80, 0
	s_delay_alu instid0(VALU_DEP_1) | instskip(SKIP_1) | instid1(TRANS32_DEP_1)
	v_rsq_f64_e32 v[10:11], v[4:5]
	v_cmp_class_f64_e64 vcc_lo, v[4:5], 0x260
	v_mul_f64_e32 v[12:13], v[4:5], v[10:11]
	v_mul_f64_e32 v[10:11], 0.5, v[10:11]
	s_delay_alu instid0(VALU_DEP_1) | instskip(NEXT) | instid1(VALU_DEP_1)
	v_fma_f64 v[14:15], -v[10:11], v[12:13], 0.5
	v_fmac_f64_e32 v[12:13], v[12:13], v[14:15]
	v_fmac_f64_e32 v[10:11], v[10:11], v[14:15]
	s_delay_alu instid0(VALU_DEP_2) | instskip(NEXT) | instid1(VALU_DEP_1)
	v_fma_f64 v[14:15], -v[12:13], v[12:13], v[4:5]
	v_fmac_f64_e32 v[12:13], v[14:15], v[10:11]
	s_delay_alu instid0(VALU_DEP_1) | instskip(NEXT) | instid1(VALU_DEP_1)
	v_fma_f64 v[14:15], -v[12:13], v[12:13], v[4:5]
	v_fmac_f64_e32 v[12:13], v[14:15], v[10:11]
	s_delay_alu instid0(VALU_DEP_1) | instskip(NEXT) | instid1(VALU_DEP_1)
	v_ldexp_f64 v[10:11], v[12:13], s5
	v_dual_cndmask_b32 v5, v11, v5 :: v_dual_cndmask_b32 v4, v10, v4
	s_delay_alu instid0(VALU_DEP_1)
	v_mul_f64_e32 v[4:5], v[2:3], v[4:5]
	s_cbranch_execz .LBB65_84
	s_branch .LBB65_85
.LBB65_83:
                                        ; implicit-def: $vgpr4_vgpr5
.LBB65_84:
	v_div_scale_f64 v[4:5], null, v[0:1], v[0:1], v[2:3]
	v_div_scale_f64 v[14:15], vcc_lo, v[2:3], v[0:1], v[2:3]
	s_delay_alu instid0(VALU_DEP_2) | instskip(SKIP_1) | instid1(TRANS32_DEP_1)
	v_rcp_f64_e32 v[10:11], v[4:5]
	v_nop
	v_fma_f64 v[12:13], -v[4:5], v[10:11], 1.0
	s_delay_alu instid0(VALU_DEP_1) | instskip(NEXT) | instid1(VALU_DEP_1)
	v_fmac_f64_e32 v[10:11], v[10:11], v[12:13]
	v_fma_f64 v[12:13], -v[4:5], v[10:11], 1.0
	s_delay_alu instid0(VALU_DEP_1) | instskip(NEXT) | instid1(VALU_DEP_1)
	v_fmac_f64_e32 v[10:11], v[10:11], v[12:13]
	v_mul_f64_e32 v[12:13], v[14:15], v[10:11]
	s_delay_alu instid0(VALU_DEP_1) | instskip(NEXT) | instid1(VALU_DEP_1)
	v_fma_f64 v[4:5], -v[4:5], v[12:13], v[14:15]
	v_div_fmas_f64 v[4:5], v[4:5], v[10:11], v[12:13]
	s_delay_alu instid0(VALU_DEP_1) | instskip(NEXT) | instid1(VALU_DEP_1)
	v_div_fixup_f64 v[2:3], v[4:5], v[0:1], v[2:3]
	v_fma_f64 v[2:3], v[2:3], v[2:3], 1.0
	s_delay_alu instid0(VALU_DEP_1) | instskip(SKIP_2) | instid1(SALU_CYCLE_1)
	v_cmp_gt_f64_e32 vcc_lo, 0x10000000, v[2:3]
	s_and_b32 s5, vcc_lo, exec_lo
	s_cselect_b32 s5, 0x100, 0
	v_ldexp_f64 v[2:3], v[2:3], s5
	s_cselect_b32 s5, 0xffffff80, 0
	s_delay_alu instid0(VALU_DEP_1) | instskip(SKIP_1) | instid1(TRANS32_DEP_1)
	v_rsq_f64_e32 v[4:5], v[2:3]
	v_cmp_class_f64_e64 vcc_lo, v[2:3], 0x260
	v_mul_f64_e32 v[10:11], v[2:3], v[4:5]
	v_mul_f64_e32 v[4:5], 0.5, v[4:5]
	s_delay_alu instid0(VALU_DEP_1) | instskip(NEXT) | instid1(VALU_DEP_1)
	v_fma_f64 v[12:13], -v[4:5], v[10:11], 0.5
	v_fmac_f64_e32 v[10:11], v[10:11], v[12:13]
	v_fmac_f64_e32 v[4:5], v[4:5], v[12:13]
	s_delay_alu instid0(VALU_DEP_2) | instskip(NEXT) | instid1(VALU_DEP_1)
	v_fma_f64 v[12:13], -v[10:11], v[10:11], v[2:3]
	v_fmac_f64_e32 v[10:11], v[12:13], v[4:5]
	s_delay_alu instid0(VALU_DEP_1) | instskip(NEXT) | instid1(VALU_DEP_1)
	v_fma_f64 v[12:13], -v[10:11], v[10:11], v[2:3]
	v_fmac_f64_e32 v[10:11], v[12:13], v[4:5]
	s_delay_alu instid0(VALU_DEP_1) | instskip(NEXT) | instid1(VALU_DEP_1)
	v_ldexp_f64 v[4:5], v[10:11], s5
	v_dual_cndmask_b32 v3, v5, v3 :: v_dual_cndmask_b32 v2, v4, v2
	s_delay_alu instid0(VALU_DEP_1)
	v_mul_f64_e32 v[4:5], v[0:1], v[2:3]
.LBB65_85:
	s_delay_alu instid0(VALU_DEP_1) | instskip(SKIP_2) | instid1(SALU_CYCLE_1)
	v_cmp_gt_f64_e32 vcc_lo, 0x10000000, v[4:5]
	s_and_b32 s5, vcc_lo, exec_lo
	s_cselect_b32 s5, 0x100, 0
	v_ldexp_f64 v[0:1], v[4:5], s5
	s_cselect_b32 s5, 0xffffff80, 0
	s_delay_alu instid0(VALU_DEP_1) | instskip(SKIP_1) | instid1(TRANS32_DEP_1)
	v_rsq_f64_e32 v[2:3], v[0:1]
	v_cmp_class_f64_e64 vcc_lo, v[0:1], 0x260
	v_mul_f64_e32 v[4:5], v[0:1], v[2:3]
	v_mul_f64_e32 v[2:3], 0.5, v[2:3]
	s_delay_alu instid0(VALU_DEP_1) | instskip(NEXT) | instid1(VALU_DEP_1)
	v_fma_f64 v[10:11], -v[2:3], v[4:5], 0.5
	v_fmac_f64_e32 v[4:5], v[4:5], v[10:11]
	v_fmac_f64_e32 v[2:3], v[2:3], v[10:11]
	s_delay_alu instid0(VALU_DEP_2) | instskip(NEXT) | instid1(VALU_DEP_1)
	v_fma_f64 v[10:11], -v[4:5], v[4:5], v[0:1]
	v_fmac_f64_e32 v[4:5], v[10:11], v[2:3]
	s_delay_alu instid0(VALU_DEP_1) | instskip(NEXT) | instid1(VALU_DEP_1)
	v_fma_f64 v[10:11], -v[4:5], v[4:5], v[0:1]
	v_fmac_f64_e32 v[4:5], v[10:11], v[2:3]
	v_mov_b32_e32 v2, 0
	s_delay_alu instid0(VALU_DEP_1) | instskip(NEXT) | instid1(VALU_DEP_3)
	v_mov_b32_e32 v3, v2
	v_ldexp_f64 v[4:5], v[4:5], s5
	s_delay_alu instid0(VALU_DEP_1)
	v_dual_cndmask_b32 v1, v5, v1 :: v_dual_cndmask_b32 v0, v4, v0
	ds_store_b128 v2, v[0:3] offset:2080
.LBB65_86:
	s_or_b32 exec_lo, exec_lo, s1
	v_mov_b32_e32 v0, 0
	s_wait_dscnt 0x0
	ds_load_b128 v[0:3], v0 offset:2080
	s_wait_dscnt 0x0
	v_cmp_neq_f64_e32 vcc_lo, 0, v[0:1]
	v_cmp_neq_f64_e64 s1, 0, v[2:3]
	s_or_b32 vcc_lo, vcc_lo, s1
	v_cndmask_b32_e32 v1, 0x3ff00000, v1, vcc_lo
	v_dual_cndmask_b32 v0, 0, v0 :: v_dual_cndmask_b32 v3, 0, v3
	v_cndmask_b32_e32 v2, 0, v2, vcc_lo
	s_nor_b32 s5, vcc_lo, s0
	s_delay_alu instid0(SALU_CYCLE_1)
	s_and_saveexec_b32 s1, s5
	s_cbranch_execz .LBB65_90
; %bb.87:
	v_mbcnt_lo_u32_b32 v0, exec_lo, 0
	s_mov_b32 s5, exec_lo
	s_delay_alu instid0(VALU_DEP_1)
	v_cmpx_eq_u32_e32 0, v0
	s_cbranch_execz .LBB65_89
; %bb.88:
	v_dual_mov_b32 v0, 0 :: v_dual_mov_b32 v1, s2
	global_atomic_min_i32 v0, v1, s[10:11] scope:SCOPE_DEV
.LBB65_89:
	s_wait_xcnt 0x0
	s_or_b32 exec_lo, exec_lo, s5
	v_mov_b64_e32 v[2:3], 0
	v_mov_b64_e32 v[0:1], 1.0
.LBB65_90:
	s_or_b32 exec_lo, exec_lo, s1
	s_delay_alu instid0(SALU_CYCLE_1)
	s_mov_b32 s1, exec_lo
	v_cmpx_lt_u32_e32 2, v17
	s_cbranch_execz .LBB65_92
; %bb.91:
	s_delay_alu instid0(VALU_DEP_2) | instskip(NEXT) | instid1(VALU_DEP_1)
	v_mul_f64_e32 v[4:5], v[2:3], v[2:3]
	v_fmac_f64_e32 v[4:5], v[0:1], v[0:1]
	s_delay_alu instid0(VALU_DEP_1) | instskip(SKIP_1) | instid1(VALU_DEP_2)
	v_div_scale_f64 v[14:15], null, v[4:5], v[4:5], 1.0
	v_div_scale_f64 v[30:31], vcc_lo, 1.0, v[4:5], 1.0
	v_rcp_f64_e32 v[28:29], v[14:15]
	v_nop
	s_delay_alu instid0(TRANS32_DEP_1) | instskip(NEXT) | instid1(VALU_DEP_1)
	v_fma_f64 v[10:11], -v[14:15], v[28:29], 1.0
	v_fmac_f64_e32 v[28:29], v[28:29], v[10:11]
	s_delay_alu instid0(VALU_DEP_1) | instskip(NEXT) | instid1(VALU_DEP_1)
	v_fma_f64 v[10:11], -v[14:15], v[28:29], 1.0
	v_fmac_f64_e32 v[28:29], v[28:29], v[10:11]
	ds_load_b128 v[10:13], v7 offset:32
	ds_load_b128 v[24:27], v22 offset:32
	s_wait_dscnt 0x0
	v_add_f64_e64 v[12:13], v[12:13], -v[26:27]
	v_add_f64_e64 v[10:11], v[10:11], -v[24:25]
	v_mul_f64_e32 v[32:33], v[30:31], v[28:29]
	s_delay_alu instid0(VALU_DEP_3) | instskip(NEXT) | instid1(VALU_DEP_3)
	v_mul_f64_e32 v[24:25], v[2:3], v[12:13]
	v_mul_f64_e64 v[2:3], v[2:3], -v[10:11]
	s_delay_alu instid0(VALU_DEP_3) | instskip(NEXT) | instid1(VALU_DEP_3)
	v_fma_f64 v[14:15], -v[14:15], v[32:33], v[30:31]
	v_fmac_f64_e32 v[24:25], v[10:11], v[0:1]
	s_delay_alu instid0(VALU_DEP_3) | instskip(NEXT) | instid1(VALU_DEP_3)
	v_fmac_f64_e32 v[2:3], v[12:13], v[0:1]
	v_div_fmas_f64 v[14:15], v[14:15], v[28:29], v[32:33]
	s_delay_alu instid0(VALU_DEP_1) | instskip(NEXT) | instid1(VALU_DEP_1)
	v_div_fixup_f64 v[4:5], v[14:15], v[4:5], 1.0
	v_mul_f64_e32 v[0:1], v[4:5], v[24:25]
	s_delay_alu instid0(VALU_DEP_4)
	v_mul_f64_e32 v[2:3], v[4:5], v[2:3]
	ds_store_b128 v7, v[0:3] offset:32
	s_wait_storecnt_dscnt 0x0
	ds_load_b128 v[10:13], v21 offset:32
	ds_load_b128 v[24:27], v20
	s_wait_dscnt 0x0
	v_fmac_f64_e32 v[24:25], v[0:1], v[10:11]
	v_fmac_f64_e32 v[26:27], v[2:3], v[10:11]
	s_delay_alu instid0(VALU_DEP_2) | instskip(NEXT) | instid1(VALU_DEP_2)
	v_fmac_f64_e32 v[24:25], v[2:3], v[12:13]
	v_fma_f64 v[26:27], v[0:1], -v[12:13], v[26:27]
	ds_store_b128 v20, v[24:27]
.LBB65_92:
	s_or_b32 exec_lo, exec_lo, s1
	s_delay_alu instid0(SALU_CYCLE_1)
	s_mov_b32 s1, exec_lo
	s_wait_storecnt_dscnt 0x0
	v_cmpx_eq_u32_e32 3, v17
	s_cbranch_execz .LBB65_99
; %bb.93:
	v_mov_b32_e32 v4, 0
	ds_load_b128 v[0:3], v4 offset:3120
	ds_load_b128 v[10:13], v4 offset:2224
	s_wait_dscnt 0x0
	v_add_f64_e64 v[0:1], v[10:11], -v[0:1]
	v_add_f64_e64 v[4:5], v[12:13], -v[2:3]
	s_delay_alu instid0(VALU_DEP_2) | instskip(SKIP_1) | instid1(VALU_DEP_3)
	v_cmp_gt_f64_e32 vcc_lo, 0, v[0:1]
	v_xor_b32_e32 v2, 0x80000000, v1
	v_xor_b32_e32 v3, 0x80000000, v5
	s_delay_alu instid0(VALU_DEP_2) | instskip(SKIP_1) | instid1(VALU_DEP_3)
	v_dual_cndmask_b32 v1, v1, v2 :: v_dual_mov_b32 v2, v4
	v_cmp_gt_f64_e32 vcc_lo, 0, v[4:5]
	v_cndmask_b32_e32 v3, v5, v3, vcc_lo
	s_delay_alu instid0(VALU_DEP_1)
	v_cmp_gt_f64_e32 vcc_lo, v[0:1], v[2:3]
	s_cbranch_vccnz .LBB65_96
; %bb.94:
	v_cmp_eq_f64_e32 vcc_lo, 0, v[4:5]
	s_cbranch_vccnz .LBB65_156
; %bb.95:
	v_div_scale_f64 v[4:5], null, v[2:3], v[2:3], v[0:1]
	v_div_scale_f64 v[14:15], vcc_lo, v[0:1], v[2:3], v[0:1]
	s_delay_alu instid0(VALU_DEP_2) | instskip(SKIP_1) | instid1(TRANS32_DEP_1)
	v_rcp_f64_e32 v[10:11], v[4:5]
	v_nop
	v_fma_f64 v[12:13], -v[4:5], v[10:11], 1.0
	s_delay_alu instid0(VALU_DEP_1) | instskip(NEXT) | instid1(VALU_DEP_1)
	v_fmac_f64_e32 v[10:11], v[10:11], v[12:13]
	v_fma_f64 v[12:13], -v[4:5], v[10:11], 1.0
	s_delay_alu instid0(VALU_DEP_1) | instskip(NEXT) | instid1(VALU_DEP_1)
	v_fmac_f64_e32 v[10:11], v[10:11], v[12:13]
	v_mul_f64_e32 v[12:13], v[14:15], v[10:11]
	s_delay_alu instid0(VALU_DEP_1) | instskip(NEXT) | instid1(VALU_DEP_1)
	v_fma_f64 v[4:5], -v[4:5], v[12:13], v[14:15]
	v_div_fmas_f64 v[4:5], v[4:5], v[10:11], v[12:13]
	s_delay_alu instid0(VALU_DEP_1) | instskip(NEXT) | instid1(VALU_DEP_1)
	v_div_fixup_f64 v[4:5], v[4:5], v[2:3], v[0:1]
	v_fma_f64 v[4:5], v[4:5], v[4:5], 1.0
	s_delay_alu instid0(VALU_DEP_1) | instskip(SKIP_2) | instid1(SALU_CYCLE_1)
	v_cmp_gt_f64_e32 vcc_lo, 0x10000000, v[4:5]
	s_and_b32 s5, vcc_lo, exec_lo
	s_cselect_b32 s5, 0x100, 0
	v_ldexp_f64 v[4:5], v[4:5], s5
	s_cselect_b32 s5, 0xffffff80, 0
	s_delay_alu instid0(VALU_DEP_1) | instskip(SKIP_1) | instid1(TRANS32_DEP_1)
	v_rsq_f64_e32 v[10:11], v[4:5]
	v_cmp_class_f64_e64 vcc_lo, v[4:5], 0x260
	v_mul_f64_e32 v[12:13], v[4:5], v[10:11]
	v_mul_f64_e32 v[10:11], 0.5, v[10:11]
	s_delay_alu instid0(VALU_DEP_1) | instskip(NEXT) | instid1(VALU_DEP_1)
	v_fma_f64 v[14:15], -v[10:11], v[12:13], 0.5
	v_fmac_f64_e32 v[12:13], v[12:13], v[14:15]
	v_fmac_f64_e32 v[10:11], v[10:11], v[14:15]
	s_delay_alu instid0(VALU_DEP_2) | instskip(NEXT) | instid1(VALU_DEP_1)
	v_fma_f64 v[14:15], -v[12:13], v[12:13], v[4:5]
	v_fmac_f64_e32 v[12:13], v[14:15], v[10:11]
	s_delay_alu instid0(VALU_DEP_1) | instskip(NEXT) | instid1(VALU_DEP_1)
	v_fma_f64 v[14:15], -v[12:13], v[12:13], v[4:5]
	v_fmac_f64_e32 v[12:13], v[14:15], v[10:11]
	s_delay_alu instid0(VALU_DEP_1) | instskip(NEXT) | instid1(VALU_DEP_1)
	v_ldexp_f64 v[10:11], v[12:13], s5
	v_dual_cndmask_b32 v5, v11, v5 :: v_dual_cndmask_b32 v4, v10, v4
	s_delay_alu instid0(VALU_DEP_1)
	v_mul_f64_e32 v[4:5], v[2:3], v[4:5]
	s_cbranch_execz .LBB65_97
	s_branch .LBB65_98
.LBB65_96:
                                        ; implicit-def: $vgpr4_vgpr5
.LBB65_97:
	v_div_scale_f64 v[4:5], null, v[0:1], v[0:1], v[2:3]
	v_div_scale_f64 v[14:15], vcc_lo, v[2:3], v[0:1], v[2:3]
	s_delay_alu instid0(VALU_DEP_2) | instskip(SKIP_1) | instid1(TRANS32_DEP_1)
	v_rcp_f64_e32 v[10:11], v[4:5]
	v_nop
	v_fma_f64 v[12:13], -v[4:5], v[10:11], 1.0
	s_delay_alu instid0(VALU_DEP_1) | instskip(NEXT) | instid1(VALU_DEP_1)
	v_fmac_f64_e32 v[10:11], v[10:11], v[12:13]
	v_fma_f64 v[12:13], -v[4:5], v[10:11], 1.0
	s_delay_alu instid0(VALU_DEP_1) | instskip(NEXT) | instid1(VALU_DEP_1)
	v_fmac_f64_e32 v[10:11], v[10:11], v[12:13]
	v_mul_f64_e32 v[12:13], v[14:15], v[10:11]
	s_delay_alu instid0(VALU_DEP_1) | instskip(NEXT) | instid1(VALU_DEP_1)
	v_fma_f64 v[4:5], -v[4:5], v[12:13], v[14:15]
	v_div_fmas_f64 v[4:5], v[4:5], v[10:11], v[12:13]
	s_delay_alu instid0(VALU_DEP_1) | instskip(NEXT) | instid1(VALU_DEP_1)
	v_div_fixup_f64 v[2:3], v[4:5], v[0:1], v[2:3]
	v_fma_f64 v[2:3], v[2:3], v[2:3], 1.0
	s_delay_alu instid0(VALU_DEP_1) | instskip(SKIP_2) | instid1(SALU_CYCLE_1)
	v_cmp_gt_f64_e32 vcc_lo, 0x10000000, v[2:3]
	s_and_b32 s5, vcc_lo, exec_lo
	s_cselect_b32 s5, 0x100, 0
	v_ldexp_f64 v[2:3], v[2:3], s5
	s_cselect_b32 s5, 0xffffff80, 0
	s_delay_alu instid0(VALU_DEP_1) | instskip(SKIP_1) | instid1(TRANS32_DEP_1)
	v_rsq_f64_e32 v[4:5], v[2:3]
	v_cmp_class_f64_e64 vcc_lo, v[2:3], 0x260
	v_mul_f64_e32 v[10:11], v[2:3], v[4:5]
	v_mul_f64_e32 v[4:5], 0.5, v[4:5]
	s_delay_alu instid0(VALU_DEP_1) | instskip(NEXT) | instid1(VALU_DEP_1)
	v_fma_f64 v[12:13], -v[4:5], v[10:11], 0.5
	v_fmac_f64_e32 v[10:11], v[10:11], v[12:13]
	v_fmac_f64_e32 v[4:5], v[4:5], v[12:13]
	s_delay_alu instid0(VALU_DEP_2) | instskip(NEXT) | instid1(VALU_DEP_1)
	v_fma_f64 v[12:13], -v[10:11], v[10:11], v[2:3]
	v_fmac_f64_e32 v[10:11], v[12:13], v[4:5]
	s_delay_alu instid0(VALU_DEP_1) | instskip(NEXT) | instid1(VALU_DEP_1)
	v_fma_f64 v[12:13], -v[10:11], v[10:11], v[2:3]
	v_fmac_f64_e32 v[10:11], v[12:13], v[4:5]
	s_delay_alu instid0(VALU_DEP_1) | instskip(NEXT) | instid1(VALU_DEP_1)
	v_ldexp_f64 v[4:5], v[10:11], s5
	v_dual_cndmask_b32 v3, v5, v3 :: v_dual_cndmask_b32 v2, v4, v2
	s_delay_alu instid0(VALU_DEP_1)
	v_mul_f64_e32 v[4:5], v[0:1], v[2:3]
.LBB65_98:
	s_delay_alu instid0(VALU_DEP_1) | instskip(SKIP_2) | instid1(SALU_CYCLE_1)
	v_cmp_gt_f64_e32 vcc_lo, 0x10000000, v[4:5]
	s_and_b32 s5, vcc_lo, exec_lo
	s_cselect_b32 s5, 0x100, 0
	v_ldexp_f64 v[0:1], v[4:5], s5
	s_cselect_b32 s5, 0xffffff80, 0
	s_delay_alu instid0(VALU_DEP_1) | instskip(SKIP_1) | instid1(TRANS32_DEP_1)
	v_rsq_f64_e32 v[2:3], v[0:1]
	v_cmp_class_f64_e64 vcc_lo, v[0:1], 0x260
	v_mul_f64_e32 v[4:5], v[0:1], v[2:3]
	v_mul_f64_e32 v[2:3], 0.5, v[2:3]
	s_delay_alu instid0(VALU_DEP_1) | instskip(NEXT) | instid1(VALU_DEP_1)
	v_fma_f64 v[10:11], -v[2:3], v[4:5], 0.5
	v_fmac_f64_e32 v[4:5], v[4:5], v[10:11]
	v_fmac_f64_e32 v[2:3], v[2:3], v[10:11]
	s_delay_alu instid0(VALU_DEP_2) | instskip(NEXT) | instid1(VALU_DEP_1)
	v_fma_f64 v[10:11], -v[4:5], v[4:5], v[0:1]
	v_fmac_f64_e32 v[4:5], v[10:11], v[2:3]
	s_delay_alu instid0(VALU_DEP_1) | instskip(NEXT) | instid1(VALU_DEP_1)
	v_fma_f64 v[10:11], -v[4:5], v[4:5], v[0:1]
	v_fmac_f64_e32 v[4:5], v[10:11], v[2:3]
	v_mov_b32_e32 v2, 0
	s_delay_alu instid0(VALU_DEP_1) | instskip(NEXT) | instid1(VALU_DEP_3)
	v_mov_b32_e32 v3, v2
	v_ldexp_f64 v[4:5], v[4:5], s5
	s_delay_alu instid0(VALU_DEP_1)
	v_dual_cndmask_b32 v1, v5, v1 :: v_dual_cndmask_b32 v0, v4, v0
	ds_store_b128 v2, v[0:3] offset:2224
.LBB65_99:
	s_or_b32 exec_lo, exec_lo, s1
	v_mov_b32_e32 v0, 0
	s_wait_dscnt 0x0
	ds_load_b128 v[0:3], v0 offset:2224
	s_wait_dscnt 0x0
	v_cmp_neq_f64_e32 vcc_lo, 0, v[0:1]
	v_cmp_neq_f64_e64 s1, 0, v[2:3]
	s_or_b32 vcc_lo, vcc_lo, s1
	v_cndmask_b32_e32 v1, 0x3ff00000, v1, vcc_lo
	v_dual_cndmask_b32 v0, 0, v0 :: v_dual_cndmask_b32 v3, 0, v3
	v_cndmask_b32_e32 v2, 0, v2, vcc_lo
	s_nor_b32 s5, vcc_lo, s0
	s_delay_alu instid0(SALU_CYCLE_1)
	s_and_saveexec_b32 s1, s5
	s_cbranch_execz .LBB65_103
; %bb.100:
	v_mbcnt_lo_u32_b32 v0, exec_lo, 0
	s_mov_b32 s5, exec_lo
	s_delay_alu instid0(VALU_DEP_1)
	v_cmpx_eq_u32_e32 0, v0
	s_cbranch_execz .LBB65_102
; %bb.101:
	v_dual_mov_b32 v0, 0 :: v_dual_mov_b32 v1, s2
	global_atomic_min_i32 v0, v1, s[10:11] scope:SCOPE_DEV
.LBB65_102:
	s_wait_xcnt 0x0
	s_or_b32 exec_lo, exec_lo, s5
	v_mov_b64_e32 v[2:3], 0
	v_mov_b64_e32 v[0:1], 1.0
.LBB65_103:
	s_or_b32 exec_lo, exec_lo, s1
	s_delay_alu instid0(SALU_CYCLE_1)
	s_mov_b32 s1, exec_lo
	v_cmpx_lt_u32_e32 3, v17
	s_cbranch_execz .LBB65_105
; %bb.104:
	s_delay_alu instid0(VALU_DEP_2) | instskip(NEXT) | instid1(VALU_DEP_1)
	v_mul_f64_e32 v[4:5], v[2:3], v[2:3]
	v_fmac_f64_e32 v[4:5], v[0:1], v[0:1]
	s_delay_alu instid0(VALU_DEP_1) | instskip(SKIP_1) | instid1(VALU_DEP_2)
	v_div_scale_f64 v[14:15], null, v[4:5], v[4:5], 1.0
	v_div_scale_f64 v[30:31], vcc_lo, 1.0, v[4:5], 1.0
	v_rcp_f64_e32 v[28:29], v[14:15]
	v_nop
	s_delay_alu instid0(TRANS32_DEP_1) | instskip(NEXT) | instid1(VALU_DEP_1)
	v_fma_f64 v[10:11], -v[14:15], v[28:29], 1.0
	v_fmac_f64_e32 v[28:29], v[28:29], v[10:11]
	s_delay_alu instid0(VALU_DEP_1) | instskip(NEXT) | instid1(VALU_DEP_1)
	v_fma_f64 v[10:11], -v[14:15], v[28:29], 1.0
	v_fmac_f64_e32 v[28:29], v[28:29], v[10:11]
	ds_load_b128 v[10:13], v7 offset:48
	ds_load_b128 v[24:27], v22 offset:48
	s_wait_dscnt 0x0
	v_add_f64_e64 v[12:13], v[12:13], -v[26:27]
	v_add_f64_e64 v[10:11], v[10:11], -v[24:25]
	v_mul_f64_e32 v[32:33], v[30:31], v[28:29]
	s_delay_alu instid0(VALU_DEP_3) | instskip(NEXT) | instid1(VALU_DEP_3)
	v_mul_f64_e32 v[24:25], v[2:3], v[12:13]
	v_mul_f64_e64 v[2:3], v[2:3], -v[10:11]
	s_delay_alu instid0(VALU_DEP_3) | instskip(NEXT) | instid1(VALU_DEP_3)
	v_fma_f64 v[14:15], -v[14:15], v[32:33], v[30:31]
	v_fmac_f64_e32 v[24:25], v[10:11], v[0:1]
	s_delay_alu instid0(VALU_DEP_3) | instskip(NEXT) | instid1(VALU_DEP_3)
	v_fmac_f64_e32 v[2:3], v[12:13], v[0:1]
	v_div_fmas_f64 v[14:15], v[14:15], v[28:29], v[32:33]
	s_delay_alu instid0(VALU_DEP_1) | instskip(NEXT) | instid1(VALU_DEP_1)
	v_div_fixup_f64 v[4:5], v[14:15], v[4:5], 1.0
	v_mul_f64_e32 v[0:1], v[4:5], v[24:25]
	s_delay_alu instid0(VALU_DEP_4)
	v_mul_f64_e32 v[2:3], v[4:5], v[2:3]
	ds_store_b128 v7, v[0:3] offset:48
	s_wait_storecnt_dscnt 0x0
	ds_load_b128 v[10:13], v21 offset:48
	ds_load_b128 v[24:27], v20
	s_wait_dscnt 0x0
	v_fmac_f64_e32 v[24:25], v[0:1], v[10:11]
	v_fmac_f64_e32 v[26:27], v[2:3], v[10:11]
	s_delay_alu instid0(VALU_DEP_2) | instskip(NEXT) | instid1(VALU_DEP_2)
	v_fmac_f64_e32 v[24:25], v[2:3], v[12:13]
	v_fma_f64 v[26:27], v[0:1], -v[12:13], v[26:27]
	ds_store_b128 v20, v[24:27]
.LBB65_105:
	s_or_b32 exec_lo, exec_lo, s1
	s_delay_alu instid0(SALU_CYCLE_1)
	s_mov_b32 s1, exec_lo
	s_wait_storecnt_dscnt 0x0
	v_cmpx_eq_u32_e32 4, v17
	s_cbranch_execz .LBB65_112
; %bb.106:
	v_mov_b32_e32 v4, 0
	ds_load_b128 v[0:3], v4 offset:3264
	ds_load_b128 v[10:13], v4 offset:2368
	s_wait_dscnt 0x0
	v_add_f64_e64 v[0:1], v[10:11], -v[0:1]
	v_add_f64_e64 v[4:5], v[12:13], -v[2:3]
	s_delay_alu instid0(VALU_DEP_2) | instskip(SKIP_1) | instid1(VALU_DEP_3)
	v_cmp_gt_f64_e32 vcc_lo, 0, v[0:1]
	v_xor_b32_e32 v2, 0x80000000, v1
	v_xor_b32_e32 v3, 0x80000000, v5
	s_delay_alu instid0(VALU_DEP_2) | instskip(SKIP_1) | instid1(VALU_DEP_3)
	v_dual_cndmask_b32 v1, v1, v2 :: v_dual_mov_b32 v2, v4
	v_cmp_gt_f64_e32 vcc_lo, 0, v[4:5]
	v_cndmask_b32_e32 v3, v5, v3, vcc_lo
	s_delay_alu instid0(VALU_DEP_1)
	v_cmp_gt_f64_e32 vcc_lo, v[0:1], v[2:3]
	s_cbranch_vccnz .LBB65_109
; %bb.107:
	v_cmp_eq_f64_e32 vcc_lo, 0, v[4:5]
	s_cbranch_vccnz .LBB65_157
; %bb.108:
	v_div_scale_f64 v[4:5], null, v[2:3], v[2:3], v[0:1]
	v_div_scale_f64 v[14:15], vcc_lo, v[0:1], v[2:3], v[0:1]
	s_delay_alu instid0(VALU_DEP_2) | instskip(SKIP_1) | instid1(TRANS32_DEP_1)
	v_rcp_f64_e32 v[10:11], v[4:5]
	v_nop
	v_fma_f64 v[12:13], -v[4:5], v[10:11], 1.0
	s_delay_alu instid0(VALU_DEP_1) | instskip(NEXT) | instid1(VALU_DEP_1)
	v_fmac_f64_e32 v[10:11], v[10:11], v[12:13]
	v_fma_f64 v[12:13], -v[4:5], v[10:11], 1.0
	s_delay_alu instid0(VALU_DEP_1) | instskip(NEXT) | instid1(VALU_DEP_1)
	v_fmac_f64_e32 v[10:11], v[10:11], v[12:13]
	v_mul_f64_e32 v[12:13], v[14:15], v[10:11]
	s_delay_alu instid0(VALU_DEP_1) | instskip(NEXT) | instid1(VALU_DEP_1)
	v_fma_f64 v[4:5], -v[4:5], v[12:13], v[14:15]
	v_div_fmas_f64 v[4:5], v[4:5], v[10:11], v[12:13]
	s_delay_alu instid0(VALU_DEP_1) | instskip(NEXT) | instid1(VALU_DEP_1)
	v_div_fixup_f64 v[4:5], v[4:5], v[2:3], v[0:1]
	v_fma_f64 v[4:5], v[4:5], v[4:5], 1.0
	s_delay_alu instid0(VALU_DEP_1) | instskip(SKIP_2) | instid1(SALU_CYCLE_1)
	v_cmp_gt_f64_e32 vcc_lo, 0x10000000, v[4:5]
	s_and_b32 s5, vcc_lo, exec_lo
	s_cselect_b32 s5, 0x100, 0
	v_ldexp_f64 v[4:5], v[4:5], s5
	s_cselect_b32 s5, 0xffffff80, 0
	s_delay_alu instid0(VALU_DEP_1) | instskip(SKIP_1) | instid1(TRANS32_DEP_1)
	v_rsq_f64_e32 v[10:11], v[4:5]
	v_cmp_class_f64_e64 vcc_lo, v[4:5], 0x260
	v_mul_f64_e32 v[12:13], v[4:5], v[10:11]
	v_mul_f64_e32 v[10:11], 0.5, v[10:11]
	s_delay_alu instid0(VALU_DEP_1) | instskip(NEXT) | instid1(VALU_DEP_1)
	v_fma_f64 v[14:15], -v[10:11], v[12:13], 0.5
	v_fmac_f64_e32 v[12:13], v[12:13], v[14:15]
	v_fmac_f64_e32 v[10:11], v[10:11], v[14:15]
	s_delay_alu instid0(VALU_DEP_2) | instskip(NEXT) | instid1(VALU_DEP_1)
	v_fma_f64 v[14:15], -v[12:13], v[12:13], v[4:5]
	v_fmac_f64_e32 v[12:13], v[14:15], v[10:11]
	s_delay_alu instid0(VALU_DEP_1) | instskip(NEXT) | instid1(VALU_DEP_1)
	v_fma_f64 v[14:15], -v[12:13], v[12:13], v[4:5]
	v_fmac_f64_e32 v[12:13], v[14:15], v[10:11]
	s_delay_alu instid0(VALU_DEP_1) | instskip(NEXT) | instid1(VALU_DEP_1)
	v_ldexp_f64 v[10:11], v[12:13], s5
	v_dual_cndmask_b32 v5, v11, v5 :: v_dual_cndmask_b32 v4, v10, v4
	s_delay_alu instid0(VALU_DEP_1)
	v_mul_f64_e32 v[4:5], v[2:3], v[4:5]
	s_cbranch_execz .LBB65_110
	s_branch .LBB65_111
.LBB65_109:
                                        ; implicit-def: $vgpr4_vgpr5
.LBB65_110:
	v_div_scale_f64 v[4:5], null, v[0:1], v[0:1], v[2:3]
	v_div_scale_f64 v[14:15], vcc_lo, v[2:3], v[0:1], v[2:3]
	s_delay_alu instid0(VALU_DEP_2) | instskip(SKIP_1) | instid1(TRANS32_DEP_1)
	v_rcp_f64_e32 v[10:11], v[4:5]
	v_nop
	v_fma_f64 v[12:13], -v[4:5], v[10:11], 1.0
	s_delay_alu instid0(VALU_DEP_1) | instskip(NEXT) | instid1(VALU_DEP_1)
	v_fmac_f64_e32 v[10:11], v[10:11], v[12:13]
	v_fma_f64 v[12:13], -v[4:5], v[10:11], 1.0
	s_delay_alu instid0(VALU_DEP_1) | instskip(NEXT) | instid1(VALU_DEP_1)
	v_fmac_f64_e32 v[10:11], v[10:11], v[12:13]
	v_mul_f64_e32 v[12:13], v[14:15], v[10:11]
	s_delay_alu instid0(VALU_DEP_1) | instskip(NEXT) | instid1(VALU_DEP_1)
	v_fma_f64 v[4:5], -v[4:5], v[12:13], v[14:15]
	v_div_fmas_f64 v[4:5], v[4:5], v[10:11], v[12:13]
	s_delay_alu instid0(VALU_DEP_1) | instskip(NEXT) | instid1(VALU_DEP_1)
	v_div_fixup_f64 v[2:3], v[4:5], v[0:1], v[2:3]
	v_fma_f64 v[2:3], v[2:3], v[2:3], 1.0
	s_delay_alu instid0(VALU_DEP_1) | instskip(SKIP_2) | instid1(SALU_CYCLE_1)
	v_cmp_gt_f64_e32 vcc_lo, 0x10000000, v[2:3]
	s_and_b32 s5, vcc_lo, exec_lo
	s_cselect_b32 s5, 0x100, 0
	v_ldexp_f64 v[2:3], v[2:3], s5
	s_cselect_b32 s5, 0xffffff80, 0
	s_delay_alu instid0(VALU_DEP_1) | instskip(SKIP_1) | instid1(TRANS32_DEP_1)
	v_rsq_f64_e32 v[4:5], v[2:3]
	v_cmp_class_f64_e64 vcc_lo, v[2:3], 0x260
	v_mul_f64_e32 v[10:11], v[2:3], v[4:5]
	v_mul_f64_e32 v[4:5], 0.5, v[4:5]
	s_delay_alu instid0(VALU_DEP_1) | instskip(NEXT) | instid1(VALU_DEP_1)
	v_fma_f64 v[12:13], -v[4:5], v[10:11], 0.5
	v_fmac_f64_e32 v[10:11], v[10:11], v[12:13]
	v_fmac_f64_e32 v[4:5], v[4:5], v[12:13]
	s_delay_alu instid0(VALU_DEP_2) | instskip(NEXT) | instid1(VALU_DEP_1)
	v_fma_f64 v[12:13], -v[10:11], v[10:11], v[2:3]
	v_fmac_f64_e32 v[10:11], v[12:13], v[4:5]
	s_delay_alu instid0(VALU_DEP_1) | instskip(NEXT) | instid1(VALU_DEP_1)
	v_fma_f64 v[12:13], -v[10:11], v[10:11], v[2:3]
	v_fmac_f64_e32 v[10:11], v[12:13], v[4:5]
	s_delay_alu instid0(VALU_DEP_1) | instskip(NEXT) | instid1(VALU_DEP_1)
	v_ldexp_f64 v[4:5], v[10:11], s5
	v_dual_cndmask_b32 v3, v5, v3 :: v_dual_cndmask_b32 v2, v4, v2
	s_delay_alu instid0(VALU_DEP_1)
	v_mul_f64_e32 v[4:5], v[0:1], v[2:3]
.LBB65_111:
	s_delay_alu instid0(VALU_DEP_1) | instskip(SKIP_2) | instid1(SALU_CYCLE_1)
	v_cmp_gt_f64_e32 vcc_lo, 0x10000000, v[4:5]
	s_and_b32 s5, vcc_lo, exec_lo
	s_cselect_b32 s5, 0x100, 0
	v_ldexp_f64 v[0:1], v[4:5], s5
	s_cselect_b32 s5, 0xffffff80, 0
	s_delay_alu instid0(VALU_DEP_1) | instskip(SKIP_1) | instid1(TRANS32_DEP_1)
	v_rsq_f64_e32 v[2:3], v[0:1]
	v_cmp_class_f64_e64 vcc_lo, v[0:1], 0x260
	v_mul_f64_e32 v[4:5], v[0:1], v[2:3]
	v_mul_f64_e32 v[2:3], 0.5, v[2:3]
	s_delay_alu instid0(VALU_DEP_1) | instskip(NEXT) | instid1(VALU_DEP_1)
	v_fma_f64 v[10:11], -v[2:3], v[4:5], 0.5
	v_fmac_f64_e32 v[4:5], v[4:5], v[10:11]
	v_fmac_f64_e32 v[2:3], v[2:3], v[10:11]
	s_delay_alu instid0(VALU_DEP_2) | instskip(NEXT) | instid1(VALU_DEP_1)
	v_fma_f64 v[10:11], -v[4:5], v[4:5], v[0:1]
	v_fmac_f64_e32 v[4:5], v[10:11], v[2:3]
	s_delay_alu instid0(VALU_DEP_1) | instskip(NEXT) | instid1(VALU_DEP_1)
	v_fma_f64 v[10:11], -v[4:5], v[4:5], v[0:1]
	v_fmac_f64_e32 v[4:5], v[10:11], v[2:3]
	v_mov_b32_e32 v2, 0
	s_delay_alu instid0(VALU_DEP_1) | instskip(NEXT) | instid1(VALU_DEP_3)
	v_mov_b32_e32 v3, v2
	v_ldexp_f64 v[4:5], v[4:5], s5
	s_delay_alu instid0(VALU_DEP_1)
	v_dual_cndmask_b32 v1, v5, v1 :: v_dual_cndmask_b32 v0, v4, v0
	ds_store_b128 v2, v[0:3] offset:2368
.LBB65_112:
	s_or_b32 exec_lo, exec_lo, s1
	v_mov_b32_e32 v0, 0
	s_wait_dscnt 0x0
	ds_load_b128 v[0:3], v0 offset:2368
	s_wait_dscnt 0x0
	v_cmp_neq_f64_e32 vcc_lo, 0, v[0:1]
	v_cmp_neq_f64_e64 s1, 0, v[2:3]
	s_or_b32 vcc_lo, vcc_lo, s1
	v_cndmask_b32_e32 v1, 0x3ff00000, v1, vcc_lo
	v_dual_cndmask_b32 v0, 0, v0 :: v_dual_cndmask_b32 v3, 0, v3
	v_cndmask_b32_e32 v2, 0, v2, vcc_lo
	s_nor_b32 s5, vcc_lo, s0
	s_delay_alu instid0(SALU_CYCLE_1)
	s_and_saveexec_b32 s1, s5
	s_cbranch_execz .LBB65_116
; %bb.113:
	v_mbcnt_lo_u32_b32 v0, exec_lo, 0
	s_mov_b32 s5, exec_lo
	s_delay_alu instid0(VALU_DEP_1)
	v_cmpx_eq_u32_e32 0, v0
	s_cbranch_execz .LBB65_115
; %bb.114:
	v_dual_mov_b32 v0, 0 :: v_dual_mov_b32 v1, s2
	global_atomic_min_i32 v0, v1, s[10:11] scope:SCOPE_DEV
.LBB65_115:
	s_wait_xcnt 0x0
	s_or_b32 exec_lo, exec_lo, s5
	v_mov_b64_e32 v[2:3], 0
	v_mov_b64_e32 v[0:1], 1.0
.LBB65_116:
	s_or_b32 exec_lo, exec_lo, s1
	s_delay_alu instid0(SALU_CYCLE_1)
	s_mov_b32 s1, exec_lo
	v_cmpx_lt_u32_e32 4, v17
	s_cbranch_execz .LBB65_118
; %bb.117:
	s_delay_alu instid0(VALU_DEP_2) | instskip(NEXT) | instid1(VALU_DEP_1)
	v_mul_f64_e32 v[4:5], v[2:3], v[2:3]
	v_fmac_f64_e32 v[4:5], v[0:1], v[0:1]
	s_delay_alu instid0(VALU_DEP_1) | instskip(SKIP_1) | instid1(VALU_DEP_2)
	v_div_scale_f64 v[14:15], null, v[4:5], v[4:5], 1.0
	v_div_scale_f64 v[30:31], vcc_lo, 1.0, v[4:5], 1.0
	v_rcp_f64_e32 v[28:29], v[14:15]
	v_nop
	s_delay_alu instid0(TRANS32_DEP_1) | instskip(NEXT) | instid1(VALU_DEP_1)
	v_fma_f64 v[10:11], -v[14:15], v[28:29], 1.0
	v_fmac_f64_e32 v[28:29], v[28:29], v[10:11]
	s_delay_alu instid0(VALU_DEP_1) | instskip(NEXT) | instid1(VALU_DEP_1)
	v_fma_f64 v[10:11], -v[14:15], v[28:29], 1.0
	v_fmac_f64_e32 v[28:29], v[28:29], v[10:11]
	ds_load_b128 v[10:13], v7 offset:64
	ds_load_b128 v[24:27], v22 offset:64
	s_wait_dscnt 0x0
	v_add_f64_e64 v[12:13], v[12:13], -v[26:27]
	v_add_f64_e64 v[10:11], v[10:11], -v[24:25]
	v_mul_f64_e32 v[32:33], v[30:31], v[28:29]
	s_delay_alu instid0(VALU_DEP_3) | instskip(NEXT) | instid1(VALU_DEP_3)
	v_mul_f64_e32 v[24:25], v[2:3], v[12:13]
	v_mul_f64_e64 v[2:3], v[2:3], -v[10:11]
	s_delay_alu instid0(VALU_DEP_3) | instskip(NEXT) | instid1(VALU_DEP_3)
	v_fma_f64 v[14:15], -v[14:15], v[32:33], v[30:31]
	v_fmac_f64_e32 v[24:25], v[10:11], v[0:1]
	s_delay_alu instid0(VALU_DEP_3) | instskip(NEXT) | instid1(VALU_DEP_3)
	v_fmac_f64_e32 v[2:3], v[12:13], v[0:1]
	v_div_fmas_f64 v[14:15], v[14:15], v[28:29], v[32:33]
	s_delay_alu instid0(VALU_DEP_1) | instskip(NEXT) | instid1(VALU_DEP_1)
	v_div_fixup_f64 v[4:5], v[14:15], v[4:5], 1.0
	v_mul_f64_e32 v[0:1], v[4:5], v[24:25]
	s_delay_alu instid0(VALU_DEP_4)
	v_mul_f64_e32 v[2:3], v[4:5], v[2:3]
	ds_store_b128 v7, v[0:3] offset:64
	s_wait_storecnt_dscnt 0x0
	ds_load_b128 v[10:13], v21 offset:64
	ds_load_b128 v[24:27], v20
	s_wait_dscnt 0x0
	v_fmac_f64_e32 v[24:25], v[0:1], v[10:11]
	v_fmac_f64_e32 v[26:27], v[2:3], v[10:11]
	s_delay_alu instid0(VALU_DEP_2) | instskip(NEXT) | instid1(VALU_DEP_2)
	v_fmac_f64_e32 v[24:25], v[2:3], v[12:13]
	v_fma_f64 v[26:27], v[0:1], -v[12:13], v[26:27]
	ds_store_b128 v20, v[24:27]
.LBB65_118:
	s_or_b32 exec_lo, exec_lo, s1
	s_delay_alu instid0(SALU_CYCLE_1)
	s_mov_b32 s1, exec_lo
	s_wait_storecnt_dscnt 0x0
	v_cmpx_eq_u32_e32 5, v17
	s_cbranch_execz .LBB65_125
; %bb.119:
	v_mov_b32_e32 v4, 0
	ds_load_b128 v[0:3], v4 offset:3408
	ds_load_b128 v[10:13], v4 offset:2512
	s_wait_dscnt 0x0
	v_add_f64_e64 v[0:1], v[10:11], -v[0:1]
	v_add_f64_e64 v[4:5], v[12:13], -v[2:3]
	s_delay_alu instid0(VALU_DEP_2) | instskip(SKIP_1) | instid1(VALU_DEP_3)
	v_cmp_gt_f64_e32 vcc_lo, 0, v[0:1]
	v_xor_b32_e32 v2, 0x80000000, v1
	v_xor_b32_e32 v3, 0x80000000, v5
	s_delay_alu instid0(VALU_DEP_2) | instskip(SKIP_1) | instid1(VALU_DEP_3)
	v_dual_cndmask_b32 v1, v1, v2 :: v_dual_mov_b32 v2, v4
	v_cmp_gt_f64_e32 vcc_lo, 0, v[4:5]
	v_cndmask_b32_e32 v3, v5, v3, vcc_lo
	s_delay_alu instid0(VALU_DEP_1)
	v_cmp_gt_f64_e32 vcc_lo, v[0:1], v[2:3]
	s_cbranch_vccnz .LBB65_122
; %bb.120:
	v_cmp_eq_f64_e32 vcc_lo, 0, v[4:5]
	s_cbranch_vccnz .LBB65_158
; %bb.121:
	v_div_scale_f64 v[4:5], null, v[2:3], v[2:3], v[0:1]
	v_div_scale_f64 v[14:15], vcc_lo, v[0:1], v[2:3], v[0:1]
	s_delay_alu instid0(VALU_DEP_2) | instskip(SKIP_1) | instid1(TRANS32_DEP_1)
	v_rcp_f64_e32 v[10:11], v[4:5]
	v_nop
	v_fma_f64 v[12:13], -v[4:5], v[10:11], 1.0
	s_delay_alu instid0(VALU_DEP_1) | instskip(NEXT) | instid1(VALU_DEP_1)
	v_fmac_f64_e32 v[10:11], v[10:11], v[12:13]
	v_fma_f64 v[12:13], -v[4:5], v[10:11], 1.0
	s_delay_alu instid0(VALU_DEP_1) | instskip(NEXT) | instid1(VALU_DEP_1)
	v_fmac_f64_e32 v[10:11], v[10:11], v[12:13]
	v_mul_f64_e32 v[12:13], v[14:15], v[10:11]
	s_delay_alu instid0(VALU_DEP_1) | instskip(NEXT) | instid1(VALU_DEP_1)
	v_fma_f64 v[4:5], -v[4:5], v[12:13], v[14:15]
	v_div_fmas_f64 v[4:5], v[4:5], v[10:11], v[12:13]
	s_delay_alu instid0(VALU_DEP_1) | instskip(NEXT) | instid1(VALU_DEP_1)
	v_div_fixup_f64 v[4:5], v[4:5], v[2:3], v[0:1]
	v_fma_f64 v[4:5], v[4:5], v[4:5], 1.0
	s_delay_alu instid0(VALU_DEP_1) | instskip(SKIP_2) | instid1(SALU_CYCLE_1)
	v_cmp_gt_f64_e32 vcc_lo, 0x10000000, v[4:5]
	s_and_b32 s5, vcc_lo, exec_lo
	s_cselect_b32 s5, 0x100, 0
	v_ldexp_f64 v[4:5], v[4:5], s5
	s_cselect_b32 s5, 0xffffff80, 0
	s_delay_alu instid0(VALU_DEP_1) | instskip(SKIP_1) | instid1(TRANS32_DEP_1)
	v_rsq_f64_e32 v[10:11], v[4:5]
	v_cmp_class_f64_e64 vcc_lo, v[4:5], 0x260
	v_mul_f64_e32 v[12:13], v[4:5], v[10:11]
	v_mul_f64_e32 v[10:11], 0.5, v[10:11]
	s_delay_alu instid0(VALU_DEP_1) | instskip(NEXT) | instid1(VALU_DEP_1)
	v_fma_f64 v[14:15], -v[10:11], v[12:13], 0.5
	v_fmac_f64_e32 v[12:13], v[12:13], v[14:15]
	v_fmac_f64_e32 v[10:11], v[10:11], v[14:15]
	s_delay_alu instid0(VALU_DEP_2) | instskip(NEXT) | instid1(VALU_DEP_1)
	v_fma_f64 v[14:15], -v[12:13], v[12:13], v[4:5]
	v_fmac_f64_e32 v[12:13], v[14:15], v[10:11]
	s_delay_alu instid0(VALU_DEP_1) | instskip(NEXT) | instid1(VALU_DEP_1)
	v_fma_f64 v[14:15], -v[12:13], v[12:13], v[4:5]
	v_fmac_f64_e32 v[12:13], v[14:15], v[10:11]
	s_delay_alu instid0(VALU_DEP_1) | instskip(NEXT) | instid1(VALU_DEP_1)
	v_ldexp_f64 v[10:11], v[12:13], s5
	v_dual_cndmask_b32 v5, v11, v5 :: v_dual_cndmask_b32 v4, v10, v4
	s_delay_alu instid0(VALU_DEP_1)
	v_mul_f64_e32 v[4:5], v[2:3], v[4:5]
	s_cbranch_execz .LBB65_123
	s_branch .LBB65_124
.LBB65_122:
                                        ; implicit-def: $vgpr4_vgpr5
.LBB65_123:
	v_div_scale_f64 v[4:5], null, v[0:1], v[0:1], v[2:3]
	v_div_scale_f64 v[14:15], vcc_lo, v[2:3], v[0:1], v[2:3]
	s_delay_alu instid0(VALU_DEP_2) | instskip(SKIP_1) | instid1(TRANS32_DEP_1)
	v_rcp_f64_e32 v[10:11], v[4:5]
	v_nop
	v_fma_f64 v[12:13], -v[4:5], v[10:11], 1.0
	s_delay_alu instid0(VALU_DEP_1) | instskip(NEXT) | instid1(VALU_DEP_1)
	v_fmac_f64_e32 v[10:11], v[10:11], v[12:13]
	v_fma_f64 v[12:13], -v[4:5], v[10:11], 1.0
	s_delay_alu instid0(VALU_DEP_1) | instskip(NEXT) | instid1(VALU_DEP_1)
	v_fmac_f64_e32 v[10:11], v[10:11], v[12:13]
	v_mul_f64_e32 v[12:13], v[14:15], v[10:11]
	s_delay_alu instid0(VALU_DEP_1) | instskip(NEXT) | instid1(VALU_DEP_1)
	v_fma_f64 v[4:5], -v[4:5], v[12:13], v[14:15]
	v_div_fmas_f64 v[4:5], v[4:5], v[10:11], v[12:13]
	s_delay_alu instid0(VALU_DEP_1) | instskip(NEXT) | instid1(VALU_DEP_1)
	v_div_fixup_f64 v[2:3], v[4:5], v[0:1], v[2:3]
	v_fma_f64 v[2:3], v[2:3], v[2:3], 1.0
	s_delay_alu instid0(VALU_DEP_1) | instskip(SKIP_2) | instid1(SALU_CYCLE_1)
	v_cmp_gt_f64_e32 vcc_lo, 0x10000000, v[2:3]
	s_and_b32 s5, vcc_lo, exec_lo
	s_cselect_b32 s5, 0x100, 0
	v_ldexp_f64 v[2:3], v[2:3], s5
	s_cselect_b32 s5, 0xffffff80, 0
	s_delay_alu instid0(VALU_DEP_1) | instskip(SKIP_1) | instid1(TRANS32_DEP_1)
	v_rsq_f64_e32 v[4:5], v[2:3]
	v_cmp_class_f64_e64 vcc_lo, v[2:3], 0x260
	v_mul_f64_e32 v[10:11], v[2:3], v[4:5]
	v_mul_f64_e32 v[4:5], 0.5, v[4:5]
	s_delay_alu instid0(VALU_DEP_1) | instskip(NEXT) | instid1(VALU_DEP_1)
	v_fma_f64 v[12:13], -v[4:5], v[10:11], 0.5
	v_fmac_f64_e32 v[10:11], v[10:11], v[12:13]
	v_fmac_f64_e32 v[4:5], v[4:5], v[12:13]
	s_delay_alu instid0(VALU_DEP_2) | instskip(NEXT) | instid1(VALU_DEP_1)
	v_fma_f64 v[12:13], -v[10:11], v[10:11], v[2:3]
	v_fmac_f64_e32 v[10:11], v[12:13], v[4:5]
	s_delay_alu instid0(VALU_DEP_1) | instskip(NEXT) | instid1(VALU_DEP_1)
	v_fma_f64 v[12:13], -v[10:11], v[10:11], v[2:3]
	v_fmac_f64_e32 v[10:11], v[12:13], v[4:5]
	s_delay_alu instid0(VALU_DEP_1) | instskip(NEXT) | instid1(VALU_DEP_1)
	v_ldexp_f64 v[4:5], v[10:11], s5
	v_dual_cndmask_b32 v3, v5, v3 :: v_dual_cndmask_b32 v2, v4, v2
	s_delay_alu instid0(VALU_DEP_1)
	v_mul_f64_e32 v[4:5], v[0:1], v[2:3]
.LBB65_124:
	s_delay_alu instid0(VALU_DEP_1) | instskip(SKIP_2) | instid1(SALU_CYCLE_1)
	v_cmp_gt_f64_e32 vcc_lo, 0x10000000, v[4:5]
	s_and_b32 s5, vcc_lo, exec_lo
	s_cselect_b32 s5, 0x100, 0
	v_ldexp_f64 v[0:1], v[4:5], s5
	s_cselect_b32 s5, 0xffffff80, 0
	s_delay_alu instid0(VALU_DEP_1) | instskip(SKIP_1) | instid1(TRANS32_DEP_1)
	v_rsq_f64_e32 v[2:3], v[0:1]
	v_cmp_class_f64_e64 vcc_lo, v[0:1], 0x260
	v_mul_f64_e32 v[4:5], v[0:1], v[2:3]
	v_mul_f64_e32 v[2:3], 0.5, v[2:3]
	s_delay_alu instid0(VALU_DEP_1) | instskip(NEXT) | instid1(VALU_DEP_1)
	v_fma_f64 v[10:11], -v[2:3], v[4:5], 0.5
	v_fmac_f64_e32 v[4:5], v[4:5], v[10:11]
	v_fmac_f64_e32 v[2:3], v[2:3], v[10:11]
	s_delay_alu instid0(VALU_DEP_2) | instskip(NEXT) | instid1(VALU_DEP_1)
	v_fma_f64 v[10:11], -v[4:5], v[4:5], v[0:1]
	v_fmac_f64_e32 v[4:5], v[10:11], v[2:3]
	s_delay_alu instid0(VALU_DEP_1) | instskip(NEXT) | instid1(VALU_DEP_1)
	v_fma_f64 v[10:11], -v[4:5], v[4:5], v[0:1]
	v_fmac_f64_e32 v[4:5], v[10:11], v[2:3]
	v_mov_b32_e32 v2, 0
	s_delay_alu instid0(VALU_DEP_1) | instskip(NEXT) | instid1(VALU_DEP_3)
	v_mov_b32_e32 v3, v2
	v_ldexp_f64 v[4:5], v[4:5], s5
	s_delay_alu instid0(VALU_DEP_1)
	v_dual_cndmask_b32 v1, v5, v1 :: v_dual_cndmask_b32 v0, v4, v0
	ds_store_b128 v2, v[0:3] offset:2512
.LBB65_125:
	s_or_b32 exec_lo, exec_lo, s1
	v_mov_b32_e32 v0, 0
	s_wait_dscnt 0x0
	ds_load_b128 v[0:3], v0 offset:2512
	s_wait_dscnt 0x0
	v_cmp_neq_f64_e32 vcc_lo, 0, v[0:1]
	v_cmp_neq_f64_e64 s1, 0, v[2:3]
	s_or_b32 vcc_lo, vcc_lo, s1
	v_cndmask_b32_e32 v1, 0x3ff00000, v1, vcc_lo
	v_dual_cndmask_b32 v0, 0, v0 :: v_dual_cndmask_b32 v3, 0, v3
	v_cndmask_b32_e32 v2, 0, v2, vcc_lo
	s_nor_b32 s5, vcc_lo, s0
	s_delay_alu instid0(SALU_CYCLE_1)
	s_and_saveexec_b32 s1, s5
	s_cbranch_execz .LBB65_129
; %bb.126:
	v_mbcnt_lo_u32_b32 v0, exec_lo, 0
	s_mov_b32 s5, exec_lo
	s_delay_alu instid0(VALU_DEP_1)
	v_cmpx_eq_u32_e32 0, v0
	s_cbranch_execz .LBB65_128
; %bb.127:
	v_dual_mov_b32 v0, 0 :: v_dual_mov_b32 v1, s2
	global_atomic_min_i32 v0, v1, s[10:11] scope:SCOPE_DEV
.LBB65_128:
	s_wait_xcnt 0x0
	s_or_b32 exec_lo, exec_lo, s5
	v_mov_b64_e32 v[2:3], 0
	v_mov_b64_e32 v[0:1], 1.0
.LBB65_129:
	s_or_b32 exec_lo, exec_lo, s1
	s_delay_alu instid0(SALU_CYCLE_1)
	s_mov_b32 s1, exec_lo
	v_cmpx_lt_u32_e32 5, v17
	s_cbranch_execz .LBB65_131
; %bb.130:
	s_delay_alu instid0(VALU_DEP_2) | instskip(NEXT) | instid1(VALU_DEP_1)
	v_mul_f64_e32 v[4:5], v[2:3], v[2:3]
	v_fmac_f64_e32 v[4:5], v[0:1], v[0:1]
	s_delay_alu instid0(VALU_DEP_1) | instskip(SKIP_1) | instid1(VALU_DEP_2)
	v_div_scale_f64 v[14:15], null, v[4:5], v[4:5], 1.0
	v_div_scale_f64 v[30:31], vcc_lo, 1.0, v[4:5], 1.0
	v_rcp_f64_e32 v[28:29], v[14:15]
	v_nop
	s_delay_alu instid0(TRANS32_DEP_1) | instskip(NEXT) | instid1(VALU_DEP_1)
	v_fma_f64 v[10:11], -v[14:15], v[28:29], 1.0
	v_fmac_f64_e32 v[28:29], v[28:29], v[10:11]
	s_delay_alu instid0(VALU_DEP_1) | instskip(NEXT) | instid1(VALU_DEP_1)
	v_fma_f64 v[10:11], -v[14:15], v[28:29], 1.0
	v_fmac_f64_e32 v[28:29], v[28:29], v[10:11]
	ds_load_b128 v[10:13], v7 offset:80
	ds_load_b128 v[24:27], v22 offset:80
	s_wait_dscnt 0x0
	v_add_f64_e64 v[12:13], v[12:13], -v[26:27]
	v_add_f64_e64 v[10:11], v[10:11], -v[24:25]
	v_mul_f64_e32 v[32:33], v[30:31], v[28:29]
	s_delay_alu instid0(VALU_DEP_3) | instskip(NEXT) | instid1(VALU_DEP_3)
	v_mul_f64_e32 v[24:25], v[2:3], v[12:13]
	v_mul_f64_e64 v[2:3], v[2:3], -v[10:11]
	s_delay_alu instid0(VALU_DEP_3) | instskip(NEXT) | instid1(VALU_DEP_3)
	v_fma_f64 v[14:15], -v[14:15], v[32:33], v[30:31]
	v_fmac_f64_e32 v[24:25], v[10:11], v[0:1]
	s_delay_alu instid0(VALU_DEP_3) | instskip(NEXT) | instid1(VALU_DEP_3)
	v_fmac_f64_e32 v[2:3], v[12:13], v[0:1]
	v_div_fmas_f64 v[14:15], v[14:15], v[28:29], v[32:33]
	s_delay_alu instid0(VALU_DEP_1) | instskip(NEXT) | instid1(VALU_DEP_1)
	v_div_fixup_f64 v[4:5], v[14:15], v[4:5], 1.0
	v_mul_f64_e32 v[0:1], v[4:5], v[24:25]
	s_delay_alu instid0(VALU_DEP_4)
	v_mul_f64_e32 v[2:3], v[4:5], v[2:3]
	ds_store_b128 v7, v[0:3] offset:80
	s_wait_storecnt_dscnt 0x0
	ds_load_b128 v[10:13], v21 offset:80
	ds_load_b128 v[24:27], v20
	s_wait_dscnt 0x0
	v_fmac_f64_e32 v[24:25], v[0:1], v[10:11]
	v_fmac_f64_e32 v[26:27], v[2:3], v[10:11]
	s_delay_alu instid0(VALU_DEP_2) | instskip(NEXT) | instid1(VALU_DEP_2)
	v_fmac_f64_e32 v[24:25], v[2:3], v[12:13]
	v_fma_f64 v[26:27], v[0:1], -v[12:13], v[26:27]
	ds_store_b128 v20, v[24:27]
.LBB65_131:
	s_or_b32 exec_lo, exec_lo, s1
	s_delay_alu instid0(SALU_CYCLE_1)
	s_mov_b32 s1, exec_lo
	s_wait_storecnt_dscnt 0x0
	v_cmpx_eq_u32_e32 6, v17
	s_cbranch_execz .LBB65_138
; %bb.132:
	v_mov_b32_e32 v4, 0
	ds_load_b128 v[0:3], v4 offset:3552
	ds_load_b128 v[10:13], v4 offset:2656
	s_wait_dscnt 0x0
	v_add_f64_e64 v[0:1], v[10:11], -v[0:1]
	v_add_f64_e64 v[4:5], v[12:13], -v[2:3]
	s_delay_alu instid0(VALU_DEP_2) | instskip(SKIP_1) | instid1(VALU_DEP_3)
	v_cmp_gt_f64_e32 vcc_lo, 0, v[0:1]
	v_xor_b32_e32 v2, 0x80000000, v1
	v_xor_b32_e32 v3, 0x80000000, v5
	s_delay_alu instid0(VALU_DEP_2) | instskip(SKIP_1) | instid1(VALU_DEP_3)
	v_dual_cndmask_b32 v1, v1, v2 :: v_dual_mov_b32 v2, v4
	v_cmp_gt_f64_e32 vcc_lo, 0, v[4:5]
	v_cndmask_b32_e32 v3, v5, v3, vcc_lo
	s_delay_alu instid0(VALU_DEP_1)
	v_cmp_gt_f64_e32 vcc_lo, v[0:1], v[2:3]
	s_cbranch_vccnz .LBB65_135
; %bb.133:
	v_cmp_eq_f64_e32 vcc_lo, 0, v[4:5]
	s_cbranch_vccnz .LBB65_159
; %bb.134:
	v_div_scale_f64 v[4:5], null, v[2:3], v[2:3], v[0:1]
	v_div_scale_f64 v[14:15], vcc_lo, v[0:1], v[2:3], v[0:1]
	s_delay_alu instid0(VALU_DEP_2) | instskip(SKIP_1) | instid1(TRANS32_DEP_1)
	v_rcp_f64_e32 v[10:11], v[4:5]
	v_nop
	v_fma_f64 v[12:13], -v[4:5], v[10:11], 1.0
	s_delay_alu instid0(VALU_DEP_1) | instskip(NEXT) | instid1(VALU_DEP_1)
	v_fmac_f64_e32 v[10:11], v[10:11], v[12:13]
	v_fma_f64 v[12:13], -v[4:5], v[10:11], 1.0
	s_delay_alu instid0(VALU_DEP_1) | instskip(NEXT) | instid1(VALU_DEP_1)
	v_fmac_f64_e32 v[10:11], v[10:11], v[12:13]
	v_mul_f64_e32 v[12:13], v[14:15], v[10:11]
	s_delay_alu instid0(VALU_DEP_1) | instskip(NEXT) | instid1(VALU_DEP_1)
	v_fma_f64 v[4:5], -v[4:5], v[12:13], v[14:15]
	v_div_fmas_f64 v[4:5], v[4:5], v[10:11], v[12:13]
	s_delay_alu instid0(VALU_DEP_1) | instskip(NEXT) | instid1(VALU_DEP_1)
	v_div_fixup_f64 v[4:5], v[4:5], v[2:3], v[0:1]
	v_fma_f64 v[4:5], v[4:5], v[4:5], 1.0
	s_delay_alu instid0(VALU_DEP_1) | instskip(SKIP_2) | instid1(SALU_CYCLE_1)
	v_cmp_gt_f64_e32 vcc_lo, 0x10000000, v[4:5]
	s_and_b32 s5, vcc_lo, exec_lo
	s_cselect_b32 s5, 0x100, 0
	v_ldexp_f64 v[4:5], v[4:5], s5
	s_cselect_b32 s5, 0xffffff80, 0
	s_delay_alu instid0(VALU_DEP_1) | instskip(SKIP_1) | instid1(TRANS32_DEP_1)
	v_rsq_f64_e32 v[10:11], v[4:5]
	v_cmp_class_f64_e64 vcc_lo, v[4:5], 0x260
	v_mul_f64_e32 v[12:13], v[4:5], v[10:11]
	v_mul_f64_e32 v[10:11], 0.5, v[10:11]
	s_delay_alu instid0(VALU_DEP_1) | instskip(NEXT) | instid1(VALU_DEP_1)
	v_fma_f64 v[14:15], -v[10:11], v[12:13], 0.5
	v_fmac_f64_e32 v[12:13], v[12:13], v[14:15]
	v_fmac_f64_e32 v[10:11], v[10:11], v[14:15]
	s_delay_alu instid0(VALU_DEP_2) | instskip(NEXT) | instid1(VALU_DEP_1)
	v_fma_f64 v[14:15], -v[12:13], v[12:13], v[4:5]
	v_fmac_f64_e32 v[12:13], v[14:15], v[10:11]
	s_delay_alu instid0(VALU_DEP_1) | instskip(NEXT) | instid1(VALU_DEP_1)
	v_fma_f64 v[14:15], -v[12:13], v[12:13], v[4:5]
	v_fmac_f64_e32 v[12:13], v[14:15], v[10:11]
	s_delay_alu instid0(VALU_DEP_1) | instskip(NEXT) | instid1(VALU_DEP_1)
	v_ldexp_f64 v[10:11], v[12:13], s5
	v_dual_cndmask_b32 v5, v11, v5 :: v_dual_cndmask_b32 v4, v10, v4
	s_delay_alu instid0(VALU_DEP_1)
	v_mul_f64_e32 v[4:5], v[2:3], v[4:5]
	s_cbranch_execz .LBB65_136
	s_branch .LBB65_137
.LBB65_135:
                                        ; implicit-def: $vgpr4_vgpr5
.LBB65_136:
	v_div_scale_f64 v[4:5], null, v[0:1], v[0:1], v[2:3]
	v_div_scale_f64 v[14:15], vcc_lo, v[2:3], v[0:1], v[2:3]
	s_delay_alu instid0(VALU_DEP_2) | instskip(SKIP_1) | instid1(TRANS32_DEP_1)
	v_rcp_f64_e32 v[10:11], v[4:5]
	v_nop
	v_fma_f64 v[12:13], -v[4:5], v[10:11], 1.0
	s_delay_alu instid0(VALU_DEP_1) | instskip(NEXT) | instid1(VALU_DEP_1)
	v_fmac_f64_e32 v[10:11], v[10:11], v[12:13]
	v_fma_f64 v[12:13], -v[4:5], v[10:11], 1.0
	s_delay_alu instid0(VALU_DEP_1) | instskip(NEXT) | instid1(VALU_DEP_1)
	v_fmac_f64_e32 v[10:11], v[10:11], v[12:13]
	v_mul_f64_e32 v[12:13], v[14:15], v[10:11]
	s_delay_alu instid0(VALU_DEP_1) | instskip(NEXT) | instid1(VALU_DEP_1)
	v_fma_f64 v[4:5], -v[4:5], v[12:13], v[14:15]
	v_div_fmas_f64 v[4:5], v[4:5], v[10:11], v[12:13]
	s_delay_alu instid0(VALU_DEP_1) | instskip(NEXT) | instid1(VALU_DEP_1)
	v_div_fixup_f64 v[2:3], v[4:5], v[0:1], v[2:3]
	v_fma_f64 v[2:3], v[2:3], v[2:3], 1.0
	s_delay_alu instid0(VALU_DEP_1) | instskip(SKIP_2) | instid1(SALU_CYCLE_1)
	v_cmp_gt_f64_e32 vcc_lo, 0x10000000, v[2:3]
	s_and_b32 s5, vcc_lo, exec_lo
	s_cselect_b32 s5, 0x100, 0
	v_ldexp_f64 v[2:3], v[2:3], s5
	s_cselect_b32 s5, 0xffffff80, 0
	s_delay_alu instid0(VALU_DEP_1) | instskip(SKIP_1) | instid1(TRANS32_DEP_1)
	v_rsq_f64_e32 v[4:5], v[2:3]
	v_cmp_class_f64_e64 vcc_lo, v[2:3], 0x260
	v_mul_f64_e32 v[10:11], v[2:3], v[4:5]
	v_mul_f64_e32 v[4:5], 0.5, v[4:5]
	s_delay_alu instid0(VALU_DEP_1) | instskip(NEXT) | instid1(VALU_DEP_1)
	v_fma_f64 v[12:13], -v[4:5], v[10:11], 0.5
	v_fmac_f64_e32 v[10:11], v[10:11], v[12:13]
	v_fmac_f64_e32 v[4:5], v[4:5], v[12:13]
	s_delay_alu instid0(VALU_DEP_2) | instskip(NEXT) | instid1(VALU_DEP_1)
	v_fma_f64 v[12:13], -v[10:11], v[10:11], v[2:3]
	v_fmac_f64_e32 v[10:11], v[12:13], v[4:5]
	s_delay_alu instid0(VALU_DEP_1) | instskip(NEXT) | instid1(VALU_DEP_1)
	v_fma_f64 v[12:13], -v[10:11], v[10:11], v[2:3]
	v_fmac_f64_e32 v[10:11], v[12:13], v[4:5]
	s_delay_alu instid0(VALU_DEP_1) | instskip(NEXT) | instid1(VALU_DEP_1)
	v_ldexp_f64 v[4:5], v[10:11], s5
	v_dual_cndmask_b32 v3, v5, v3 :: v_dual_cndmask_b32 v2, v4, v2
	s_delay_alu instid0(VALU_DEP_1)
	v_mul_f64_e32 v[4:5], v[0:1], v[2:3]
.LBB65_137:
	s_delay_alu instid0(VALU_DEP_1) | instskip(SKIP_2) | instid1(SALU_CYCLE_1)
	v_cmp_gt_f64_e32 vcc_lo, 0x10000000, v[4:5]
	s_and_b32 s5, vcc_lo, exec_lo
	s_cselect_b32 s5, 0x100, 0
	v_ldexp_f64 v[0:1], v[4:5], s5
	s_cselect_b32 s5, 0xffffff80, 0
	s_delay_alu instid0(VALU_DEP_1) | instskip(SKIP_1) | instid1(TRANS32_DEP_1)
	v_rsq_f64_e32 v[2:3], v[0:1]
	v_cmp_class_f64_e64 vcc_lo, v[0:1], 0x260
	v_mul_f64_e32 v[4:5], v[0:1], v[2:3]
	v_mul_f64_e32 v[2:3], 0.5, v[2:3]
	s_delay_alu instid0(VALU_DEP_1) | instskip(NEXT) | instid1(VALU_DEP_1)
	v_fma_f64 v[10:11], -v[2:3], v[4:5], 0.5
	v_fmac_f64_e32 v[4:5], v[4:5], v[10:11]
	v_fmac_f64_e32 v[2:3], v[2:3], v[10:11]
	s_delay_alu instid0(VALU_DEP_2) | instskip(NEXT) | instid1(VALU_DEP_1)
	v_fma_f64 v[10:11], -v[4:5], v[4:5], v[0:1]
	v_fmac_f64_e32 v[4:5], v[10:11], v[2:3]
	s_delay_alu instid0(VALU_DEP_1) | instskip(NEXT) | instid1(VALU_DEP_1)
	v_fma_f64 v[10:11], -v[4:5], v[4:5], v[0:1]
	v_fmac_f64_e32 v[4:5], v[10:11], v[2:3]
	v_mov_b32_e32 v2, 0
	s_delay_alu instid0(VALU_DEP_1) | instskip(NEXT) | instid1(VALU_DEP_3)
	v_mov_b32_e32 v3, v2
	v_ldexp_f64 v[4:5], v[4:5], s5
	s_delay_alu instid0(VALU_DEP_1)
	v_dual_cndmask_b32 v1, v5, v1 :: v_dual_cndmask_b32 v0, v4, v0
	ds_store_b128 v2, v[0:3] offset:2656
.LBB65_138:
	s_or_b32 exec_lo, exec_lo, s1
	v_mov_b32_e32 v0, 0
	s_wait_dscnt 0x0
	ds_load_b128 v[0:3], v0 offset:2656
	s_wait_dscnt 0x0
	v_cmp_neq_f64_e32 vcc_lo, 0, v[0:1]
	v_cmp_neq_f64_e64 s1, 0, v[2:3]
	s_or_b32 vcc_lo, vcc_lo, s1
	v_cndmask_b32_e32 v1, 0x3ff00000, v1, vcc_lo
	v_dual_cndmask_b32 v0, 0, v0 :: v_dual_cndmask_b32 v3, 0, v3
	v_cndmask_b32_e32 v2, 0, v2, vcc_lo
	s_nor_b32 s1, vcc_lo, s0
	s_delay_alu instid0(SALU_CYCLE_1)
	s_and_saveexec_b32 s0, s1
	s_cbranch_execz .LBB65_142
; %bb.139:
	v_mbcnt_lo_u32_b32 v0, exec_lo, 0
	s_mov_b32 s1, exec_lo
	s_delay_alu instid0(VALU_DEP_1)
	v_cmpx_eq_u32_e32 0, v0
	s_cbranch_execz .LBB65_141
; %bb.140:
	v_dual_mov_b32 v0, 0 :: v_dual_mov_b32 v1, s2
	global_atomic_min_i32 v0, v1, s[10:11] scope:SCOPE_DEV
.LBB65_141:
	s_wait_xcnt 0x0
	s_or_b32 exec_lo, exec_lo, s1
	v_mov_b64_e32 v[2:3], 0
	v_mov_b64_e32 v[0:1], 1.0
.LBB65_142:
	s_or_b32 exec_lo, exec_lo, s0
	s_delay_alu instid0(SALU_CYCLE_1)
	s_mov_b32 s0, exec_lo
	v_cmpx_lt_u32_e32 6, v17
	s_cbranch_execz .LBB65_144
; %bb.143:
	s_delay_alu instid0(VALU_DEP_2) | instskip(NEXT) | instid1(VALU_DEP_1)
	v_mul_f64_e32 v[4:5], v[2:3], v[2:3]
	v_fmac_f64_e32 v[4:5], v[0:1], v[0:1]
	s_delay_alu instid0(VALU_DEP_1) | instskip(SKIP_1) | instid1(VALU_DEP_2)
	v_div_scale_f64 v[14:15], null, v[4:5], v[4:5], 1.0
	v_div_scale_f64 v[28:29], vcc_lo, 1.0, v[4:5], 1.0
	v_rcp_f64_e32 v[26:27], v[14:15]
	v_nop
	s_delay_alu instid0(TRANS32_DEP_1) | instskip(NEXT) | instid1(VALU_DEP_1)
	v_fma_f64 v[10:11], -v[14:15], v[26:27], 1.0
	v_fmac_f64_e32 v[26:27], v[26:27], v[10:11]
	s_delay_alu instid0(VALU_DEP_1) | instskip(NEXT) | instid1(VALU_DEP_1)
	v_fma_f64 v[10:11], -v[14:15], v[26:27], 1.0
	v_fmac_f64_e32 v[26:27], v[26:27], v[10:11]
	ds_load_b128 v[10:13], v7 offset:96
	ds_load_b128 v[22:25], v22 offset:96
	s_wait_dscnt 0x0
	v_add_f64_e64 v[12:13], v[12:13], -v[24:25]
	v_add_f64_e64 v[10:11], v[10:11], -v[22:23]
	v_mul_f64_e32 v[30:31], v[28:29], v[26:27]
	s_delay_alu instid0(VALU_DEP_3) | instskip(NEXT) | instid1(VALU_DEP_3)
	v_mul_f64_e32 v[22:23], v[2:3], v[12:13]
	v_mul_f64_e64 v[2:3], v[2:3], -v[10:11]
	s_delay_alu instid0(VALU_DEP_3) | instskip(NEXT) | instid1(VALU_DEP_3)
	v_fma_f64 v[14:15], -v[14:15], v[30:31], v[28:29]
	v_fmac_f64_e32 v[22:23], v[10:11], v[0:1]
	s_delay_alu instid0(VALU_DEP_3) | instskip(NEXT) | instid1(VALU_DEP_3)
	v_fmac_f64_e32 v[2:3], v[12:13], v[0:1]
	v_div_fmas_f64 v[14:15], v[14:15], v[26:27], v[30:31]
	s_delay_alu instid0(VALU_DEP_1) | instskip(NEXT) | instid1(VALU_DEP_1)
	v_div_fixup_f64 v[4:5], v[14:15], v[4:5], 1.0
	v_mul_f64_e32 v[0:1], v[4:5], v[22:23]
	s_delay_alu instid0(VALU_DEP_4)
	v_mul_f64_e32 v[2:3], v[4:5], v[2:3]
	ds_store_b128 v7, v[0:3] offset:96
	s_wait_storecnt_dscnt 0x0
	ds_load_b128 v[10:13], v21 offset:96
	ds_load_b128 v[22:25], v20
	s_wait_dscnt 0x0
	v_fmac_f64_e32 v[22:23], v[0:1], v[10:11]
	v_fmac_f64_e32 v[24:25], v[2:3], v[10:11]
	s_delay_alu instid0(VALU_DEP_2) | instskip(NEXT) | instid1(VALU_DEP_2)
	v_fmac_f64_e32 v[22:23], v[2:3], v[12:13]
	v_fma_f64 v[24:25], v[0:1], -v[12:13], v[24:25]
	ds_store_b128 v20, v[22:25]
.LBB65_144:
	s_or_b32 exec_lo, exec_lo, s0
	s_delay_alu instid0(SALU_CYCLE_1)
	s_and_not1_b32 vcc_lo, exec_lo, s4
	s_wait_storecnt_dscnt 0x0
	s_cbranch_vccnz .LBB65_146
; %bb.145:
	v_mov_b32_e32 v18, v19
.LBB65_146:
	ds_load_2addr_b64 v[0:3], v6 offset1:1
	v_add_nc_u32_e32 v4, s3, v18
	s_mov_b32 s0, 0
	s_mov_b32 s1, exec_lo
	s_wait_dscnt 0x0
	global_store_b128 v4, v[0:3], s[18:19] scale_offset
	s_wait_xcnt 0x0
	v_cmpx_eq_u32_e32 0, v8
	s_cbranch_execz .LBB65_148
; %bb.147:
	v_dual_mov_b32 v0, 0 :: v_dual_mov_b32 v1, 1
	s_add_nc_u64 s[2:3], s[6:7], s[8:9]
	global_wb scope:SCOPE_DEV
	s_wait_storecnt 0x0
	global_store_b32 v0, v1, s[2:3] scope:SCOPE_DEV
.LBB65_148:
	s_wait_xcnt 0x0
	s_or_b32 exec_lo, exec_lo, s1
	s_delay_alu instid0(SALU_CYCLE_1)
	s_and_b32 vcc_lo, exec_lo, s0
	s_cbranch_vccz .LBB65_56
.LBB65_149:
	v_or_b32_e32 v0, v16, v17
	s_mov_b32 s0, exec_lo
	s_delay_alu instid0(VALU_DEP_1)
	v_cmpx_eq_u32_e32 0, v0
	s_cbranch_execz .LBB65_56
; %bb.150:
	v_mbcnt_lo_u32_b32 v0, exec_lo, 0
	s_mov_b32 s0, exec_lo
	s_delay_alu instid0(VALU_DEP_1)
	v_cmpx_eq_u32_e32 0, v0
	s_cbranch_execz .LBB65_152
; %bb.151:
	s_add_co_i32 s1, s16, s17
	s_delay_alu instid0(SALU_CYCLE_1)
	v_dual_mov_b32 v0, 0 :: v_dual_mov_b32 v1, s1
	global_atomic_min_i32 v0, v1, s[10:11] scope:SCOPE_DEV
.LBB65_152:
	s_wait_xcnt 0x0
	s_or_b32 exec_lo, exec_lo, s0
	v_dual_mov_b32 v0, 0 :: v_dual_mov_b32 v1, 1
	s_add_nc_u64 s[0:1], s[6:7], s[8:9]
	global_wb scope:SCOPE_DEV
	s_wait_storecnt 0x0
	global_store_b32 v0, v1, s[0:1] scope:SCOPE_DEV
	s_sendmsg sendmsg(MSG_DEALLOC_VGPRS)
	s_endpgm
.LBB65_153:
	v_mov_b64_e32 v[4:5], 0
	s_cbranch_execz .LBB65_58
	s_branch .LBB65_59
.LBB65_154:
	v_mov_b64_e32 v[4:5], 0
	s_cbranch_execz .LBB65_71
	s_branch .LBB65_72
.LBB65_155:
	v_mov_b64_e32 v[4:5], 0
	s_cbranch_execz .LBB65_84
	s_branch .LBB65_85
.LBB65_156:
	v_mov_b64_e32 v[4:5], 0
	s_cbranch_execz .LBB65_97
	s_branch .LBB65_98
.LBB65_157:
	v_mov_b64_e32 v[4:5], 0
	s_cbranch_execz .LBB65_110
	s_branch .LBB65_111
.LBB65_158:
	v_mov_b64_e32 v[4:5], 0
	s_cbranch_execz .LBB65_123
	s_branch .LBB65_124
.LBB65_159:
	v_mov_b64_e32 v[4:5], 0
	s_cbranch_execz .LBB65_136
	s_branch .LBB65_137
	.section	.rodata,"a",@progbits
	.p2align	6, 0x0
	.amdhsa_kernel _ZN9rocsparseL26bsric0_2_8_unrolled_kernelILi49ELi32ELi7E21rocsparse_complex_numIdEEEv20rocsparse_direction_iiPKiS5_PT2_S5_PiS5_S8_21rocsparse_index_base_
		.amdhsa_group_segment_fixed_size 3968
		.amdhsa_private_segment_fixed_size 0
		.amdhsa_kernarg_size 76
		.amdhsa_user_sgpr_count 2
		.amdhsa_user_sgpr_dispatch_ptr 0
		.amdhsa_user_sgpr_queue_ptr 0
		.amdhsa_user_sgpr_kernarg_segment_ptr 1
		.amdhsa_user_sgpr_dispatch_id 0
		.amdhsa_user_sgpr_kernarg_preload_length 0
		.amdhsa_user_sgpr_kernarg_preload_offset 0
		.amdhsa_user_sgpr_private_segment_size 0
		.amdhsa_wavefront_size32 1
		.amdhsa_uses_dynamic_stack 0
		.amdhsa_enable_private_segment 0
		.amdhsa_system_sgpr_workgroup_id_x 1
		.amdhsa_system_sgpr_workgroup_id_y 0
		.amdhsa_system_sgpr_workgroup_id_z 0
		.amdhsa_system_sgpr_workgroup_info 0
		.amdhsa_system_vgpr_workitem_id 1
		.amdhsa_next_free_vgpr 78
		.amdhsa_next_free_sgpr 37
		.amdhsa_named_barrier_count 0
		.amdhsa_reserve_vcc 1
		.amdhsa_float_round_mode_32 0
		.amdhsa_float_round_mode_16_64 0
		.amdhsa_float_denorm_mode_32 3
		.amdhsa_float_denorm_mode_16_64 3
		.amdhsa_fp16_overflow 0
		.amdhsa_memory_ordered 1
		.amdhsa_forward_progress 1
		.amdhsa_inst_pref_size 100
		.amdhsa_round_robin_scheduling 0
		.amdhsa_exception_fp_ieee_invalid_op 0
		.amdhsa_exception_fp_denorm_src 0
		.amdhsa_exception_fp_ieee_div_zero 0
		.amdhsa_exception_fp_ieee_overflow 0
		.amdhsa_exception_fp_ieee_underflow 0
		.amdhsa_exception_fp_ieee_inexact 0
		.amdhsa_exception_int_div_zero 0
	.end_amdhsa_kernel
	.section	.text._ZN9rocsparseL26bsric0_2_8_unrolled_kernelILi49ELi32ELi7E21rocsparse_complex_numIdEEEv20rocsparse_direction_iiPKiS5_PT2_S5_PiS5_S8_21rocsparse_index_base_,"axG",@progbits,_ZN9rocsparseL26bsric0_2_8_unrolled_kernelILi49ELi32ELi7E21rocsparse_complex_numIdEEEv20rocsparse_direction_iiPKiS5_PT2_S5_PiS5_S8_21rocsparse_index_base_,comdat
.Lfunc_end65:
	.size	_ZN9rocsparseL26bsric0_2_8_unrolled_kernelILi49ELi32ELi7E21rocsparse_complex_numIdEEEv20rocsparse_direction_iiPKiS5_PT2_S5_PiS5_S8_21rocsparse_index_base_, .Lfunc_end65-_ZN9rocsparseL26bsric0_2_8_unrolled_kernelILi49ELi32ELi7E21rocsparse_complex_numIdEEEv20rocsparse_direction_iiPKiS5_PT2_S5_PiS5_S8_21rocsparse_index_base_
                                        ; -- End function
	.set _ZN9rocsparseL26bsric0_2_8_unrolled_kernelILi49ELi32ELi7E21rocsparse_complex_numIdEEEv20rocsparse_direction_iiPKiS5_PT2_S5_PiS5_S8_21rocsparse_index_base_.num_vgpr, 78
	.set _ZN9rocsparseL26bsric0_2_8_unrolled_kernelILi49ELi32ELi7E21rocsparse_complex_numIdEEEv20rocsparse_direction_iiPKiS5_PT2_S5_PiS5_S8_21rocsparse_index_base_.num_agpr, 0
	.set _ZN9rocsparseL26bsric0_2_8_unrolled_kernelILi49ELi32ELi7E21rocsparse_complex_numIdEEEv20rocsparse_direction_iiPKiS5_PT2_S5_PiS5_S8_21rocsparse_index_base_.numbered_sgpr, 37
	.set _ZN9rocsparseL26bsric0_2_8_unrolled_kernelILi49ELi32ELi7E21rocsparse_complex_numIdEEEv20rocsparse_direction_iiPKiS5_PT2_S5_PiS5_S8_21rocsparse_index_base_.num_named_barrier, 0
	.set _ZN9rocsparseL26bsric0_2_8_unrolled_kernelILi49ELi32ELi7E21rocsparse_complex_numIdEEEv20rocsparse_direction_iiPKiS5_PT2_S5_PiS5_S8_21rocsparse_index_base_.private_seg_size, 0
	.set _ZN9rocsparseL26bsric0_2_8_unrolled_kernelILi49ELi32ELi7E21rocsparse_complex_numIdEEEv20rocsparse_direction_iiPKiS5_PT2_S5_PiS5_S8_21rocsparse_index_base_.uses_vcc, 1
	.set _ZN9rocsparseL26bsric0_2_8_unrolled_kernelILi49ELi32ELi7E21rocsparse_complex_numIdEEEv20rocsparse_direction_iiPKiS5_PT2_S5_PiS5_S8_21rocsparse_index_base_.uses_flat_scratch, 0
	.set _ZN9rocsparseL26bsric0_2_8_unrolled_kernelILi49ELi32ELi7E21rocsparse_complex_numIdEEEv20rocsparse_direction_iiPKiS5_PT2_S5_PiS5_S8_21rocsparse_index_base_.has_dyn_sized_stack, 0
	.set _ZN9rocsparseL26bsric0_2_8_unrolled_kernelILi49ELi32ELi7E21rocsparse_complex_numIdEEEv20rocsparse_direction_iiPKiS5_PT2_S5_PiS5_S8_21rocsparse_index_base_.has_recursion, 0
	.set _ZN9rocsparseL26bsric0_2_8_unrolled_kernelILi49ELi32ELi7E21rocsparse_complex_numIdEEEv20rocsparse_direction_iiPKiS5_PT2_S5_PiS5_S8_21rocsparse_index_base_.has_indirect_call, 0
	.section	.AMDGPU.csdata,"",@progbits
; Kernel info:
; codeLenInByte = 12780
; TotalNumSgprs: 39
; NumVgprs: 78
; ScratchSize: 0
; MemoryBound: 1
; FloatMode: 240
; IeeeMode: 1
; LDSByteSize: 3968 bytes/workgroup (compile time only)
; SGPRBlocks: 0
; VGPRBlocks: 4
; NumSGPRsForWavesPerEU: 39
; NumVGPRsForWavesPerEU: 78
; NamedBarCnt: 0
; Occupancy: 12
; WaveLimiterHint : 1
; COMPUTE_PGM_RSRC2:SCRATCH_EN: 0
; COMPUTE_PGM_RSRC2:USER_SGPR: 2
; COMPUTE_PGM_RSRC2:TRAP_HANDLER: 0
; COMPUTE_PGM_RSRC2:TGID_X_EN: 1
; COMPUTE_PGM_RSRC2:TGID_Y_EN: 0
; COMPUTE_PGM_RSRC2:TGID_Z_EN: 0
; COMPUTE_PGM_RSRC2:TIDIG_COMP_CNT: 1
	.section	.text._ZN9rocsparseL26bsric0_2_8_unrolled_kernelILi64ELi32ELi8E21rocsparse_complex_numIdEEEv20rocsparse_direction_iiPKiS5_PT2_S5_PiS5_S8_21rocsparse_index_base_,"axG",@progbits,_ZN9rocsparseL26bsric0_2_8_unrolled_kernelILi64ELi32ELi8E21rocsparse_complex_numIdEEEv20rocsparse_direction_iiPKiS5_PT2_S5_PiS5_S8_21rocsparse_index_base_,comdat
	.globl	_ZN9rocsparseL26bsric0_2_8_unrolled_kernelILi64ELi32ELi8E21rocsparse_complex_numIdEEEv20rocsparse_direction_iiPKiS5_PT2_S5_PiS5_S8_21rocsparse_index_base_ ; -- Begin function _ZN9rocsparseL26bsric0_2_8_unrolled_kernelILi64ELi32ELi8E21rocsparse_complex_numIdEEEv20rocsparse_direction_iiPKiS5_PT2_S5_PiS5_S8_21rocsparse_index_base_
	.p2align	8
	.type	_ZN9rocsparseL26bsric0_2_8_unrolled_kernelILi64ELi32ELi8E21rocsparse_complex_numIdEEEv20rocsparse_direction_iiPKiS5_PT2_S5_PiS5_S8_21rocsparse_index_base_,@function
_ZN9rocsparseL26bsric0_2_8_unrolled_kernelILi64ELi32ELi8E21rocsparse_complex_numIdEEEv20rocsparse_direction_iiPKiS5_PT2_S5_PiS5_S8_21rocsparse_index_base_: ; @_ZN9rocsparseL26bsric0_2_8_unrolled_kernelILi64ELi32ELi8E21rocsparse_complex_numIdEEEv20rocsparse_direction_iiPKiS5_PT2_S5_PiS5_S8_21rocsparse_index_base_
; %bb.0:
	s_load_b256 s[4:11], s[0:1], 0x28
	s_bfe_u32 s2, ttmp6, 0x4000c
	s_and_b32 s3, ttmp6, 15
	s_add_co_i32 s2, s2, 1
	s_getreg_b32 s12, hwreg(HW_REG_IB_STS2, 6, 4)
	s_mul_i32 s2, ttmp9, s2
	v_and_b32_e32 v14, 0x3ff, v0
	s_add_co_i32 s3, s3, s2
	s_cmp_eq_u32 s12, 0
	v_bfe_u32 v15, v0, 10, 10
	s_cselect_b32 s2, ttmp9, s3
	s_wait_kmcnt 0x0
	s_load_b32 s16, s[8:9], s2 offset:0x0 scale_offset
	s_wait_kmcnt 0x0
	s_ashr_i32 s17, s16, 31
	s_delay_alu instid0(SALU_CYCLE_1) | instskip(NEXT) | instid1(SALU_CYCLE_1)
	s_lshl_b64 s[8:9], s[16:17], 2
	s_add_nc_u64 s[2:3], s[4:5], s[8:9]
	s_load_b32 s26, s[2:3], 0x0
	s_load_b32 s17, s[0:1], 0x48
	s_wait_kmcnt 0x0
	s_cmp_lg_u32 s26, -1
	s_cbranch_scc0 .LBB66_15
; %bb.1:
	s_load_b128 s[12:15], s[0:1], 0x10
	v_lshlrev_b32_e32 v20, 3, v15
	s_delay_alu instid0(VALU_DEP_1)
	v_add_nc_u32_e32 v19, v20, v14
	s_wait_kmcnt 0x0
	s_add_nc_u64 s[2:3], s[12:13], s[8:9]
	s_load_b32 s3, s[2:3], 0x0
	s_wait_xcnt 0x0
	s_mov_b32 s2, exec_lo
	s_wait_kmcnt 0x0
	s_sub_co_i32 s27, s3, s17
	s_delay_alu instid0(SALU_CYCLE_1) | instskip(NEXT) | instid1(VALU_DEP_1)
	v_add_nc_u32_e32 v0, s27, v19
	v_cmpx_ge_i32_e64 s26, v0
	s_cbranch_execz .LBB66_13
; %bb.2:
	v_add_nc_u32_e32 v1, s3, v19
	s_add_co_i32 s18, s26, 1
	v_not_b32_e32 v2, v14
	s_mov_b32 s19, -1
	s_delay_alu instid0(VALU_DEP_2) | instskip(NEXT) | instid1(VALU_DEP_1)
	v_subrev_nc_u32_e32 v1, s17, v1
	v_add_max_i32_e64 v1, v1, 64, s18
	s_mov_b32 s18, exec_lo
	s_delay_alu instid0(VALU_DEP_1) | instskip(SKIP_1) | instid1(VALU_DEP_1)
	v_add3_u32 v1, s17, v1, v2
	v_add_nc_u32_e32 v2, s3, v20
	v_sub_nc_u32_e32 v1, v1, v2
	s_delay_alu instid0(VALU_DEP_1)
	v_cmpx_lt_u32_e32 63, v1
	s_cbranch_execz .LBB66_10
; %bb.3:
	v_dual_lshrrev_b32 v4, 6, v1 :: v_dual_add_nc_u32 v1, 64, v0
	s_delay_alu instid0(VALU_DEP_1) | instskip(NEXT) | instid1(VALU_DEP_1)
	v_add_nc_u32_e32 v2, -1, v4
	v_lshrrev_b32_e32 v3, 1, v2
	s_delay_alu instid0(VALU_DEP_1)
	v_add_nc_u32_e32 v5, 1, v3
	v_cmp_lt_u32_e32 vcc_lo, 13, v2
	v_mov_b64_e32 v[2:3], v[0:1]
	s_and_saveexec_b32 s19, vcc_lo
	s_cbranch_execz .LBB66_7
; %bb.4:
	v_mov_b64_e32 v[2:3], v[0:1]
	v_and_b32_e32 v6, -8, v5
	s_mov_b32 s20, 0
.LBB66_5:                               ; =>This Inner Loop Header: Depth=1
	s_clause 0x1
	global_load_b32 v1, v2, s[14:15] scale_offset
	global_load_b32 v7, v3, s[14:15] scale_offset
	v_add_nc_u32_e32 v16, 0x200, v3
	v_add_nc_u32_e32 v12, 0x180, v3
	;; [unrolled: 1-line block ×14, first 2 shown]
	s_clause 0xd
	global_load_b32 v26, v16, s[14:15] scale_offset
	global_load_b32 v27, v12, s[14:15] scale_offset
	;; [unrolled: 1-line block ×14, first 2 shown]
	v_subrev_nc_u32_e32 v40, s27, v2
	v_subrev_nc_u32_e32 v41, s27, v3
	v_add_nc_u32_e32 v6, -8, v6
	s_wait_xcnt 0xa
	v_subrev_nc_u32_e32 v8, s27, v8
	s_wait_xcnt 0x9
	v_subrev_nc_u32_e32 v9, s27, v9
	v_dual_lshlrev_b32 v40, 2, v40 :: v_dual_lshlrev_b32 v41, 2, v41
	s_wait_xcnt 0x8
	v_subrev_nc_u32_e32 v11, s27, v11
	v_subrev_nc_u32_e32 v10, s27, v10
	v_cmp_eq_u32_e32 vcc_lo, 0, v6
	s_wait_xcnt 0x7
	v_subrev_nc_u32_e32 v13, s27, v13
	v_add_nc_u32_e32 v3, 0x400, v3
	v_subrev_nc_u32_e32 v12, s27, v12
	v_subrev_nc_u32_e32 v16, s27, v16
	s_wait_xcnt 0x6
	v_subrev_nc_u32_e32 v17, s27, v17
	s_wait_xcnt 0x3
	v_subrev_nc_u32_e32 v18, s27, v18
	s_wait_xcnt 0x2
	v_subrev_nc_u32_e32 v21, s27, v21
	v_subrev_nc_u32_e32 v22, s27, v22
	s_wait_xcnt 0x1
	v_subrev_nc_u32_e32 v23, s27, v23
	v_subrev_nc_u32_e32 v24, s27, v24
	s_wait_xcnt 0x0
	v_subrev_nc_u32_e32 v25, s27, v25
	v_add_nc_u32_e32 v2, 0x400, v2
	v_dual_lshlrev_b32 v9, 2, v9 :: v_dual_lshlrev_b32 v11, 2, v11
	v_dual_lshlrev_b32 v8, 2, v8 :: v_dual_lshlrev_b32 v10, 2, v10
	v_lshlrev_b32_e32 v13, 2, v13
	s_or_b32 s20, vcc_lo, s20
	v_dual_lshlrev_b32 v12, 2, v12 :: v_dual_lshlrev_b32 v17, 2, v17
	v_dual_lshlrev_b32 v16, 2, v16 :: v_dual_lshlrev_b32 v21, 2, v21
	;; [unrolled: 1-line block ×4, first 2 shown]
	v_lshlrev_b32_e32 v24, 2, v24
	s_wait_loadcnt 0xf
	v_subrev_nc_u32_e32 v1, s17, v1
	s_wait_loadcnt 0xe
	v_subrev_nc_u32_e32 v7, s17, v7
	ds_store_b32 v40, v1 offset:4864
	ds_store_b32 v41, v7 offset:4864
	s_wait_loadcnt 0xa
	v_subrev_nc_u32_e32 v1, s17, v29
	s_wait_loadcnt 0x9
	v_subrev_nc_u32_e32 v7, s17, v30
	;; [unrolled: 2-line block ×3, first 2 shown]
	v_subrev_nc_u32_e32 v28, s17, v28
	s_wait_loadcnt 0x7
	v_subrev_nc_u32_e32 v30, s17, v32
	v_subrev_nc_u32_e32 v27, s17, v27
	;; [unrolled: 1-line block ×3, first 2 shown]
	s_wait_loadcnt 0x6
	v_subrev_nc_u32_e32 v31, s17, v33
	s_wait_loadcnt 0x3
	v_subrev_nc_u32_e32 v32, s17, v36
	;; [unrolled: 2-line block ×3, first 2 shown]
	v_subrev_nc_u32_e32 v35, s17, v35
	s_wait_loadcnt 0x1
	v_subrev_nc_u32_e32 v36, s17, v38
	v_subrev_nc_u32_e32 v34, s17, v34
	s_wait_loadcnt 0x0
	v_subrev_nc_u32_e32 v37, s17, v39
	ds_store_b32 v9, v7 offset:4864
	ds_store_b32 v8, v1 offset:4864
	;; [unrolled: 1-line block ×14, first 2 shown]
	s_and_not1_b32 exec_lo, exec_lo, s20
	s_cbranch_execnz .LBB66_5
; %bb.6:
	s_or_b32 exec_lo, exec_lo, s20
.LBB66_7:
	s_delay_alu instid0(SALU_CYCLE_1) | instskip(SKIP_3) | instid1(VALU_DEP_1)
	s_or_b32 exec_lo, exec_lo, s19
	v_and_b32_e32 v1, 7, v5
	s_mov_b32 s20, 0
	s_mov_b32 s19, exec_lo
	v_cmpx_ne_u32_e32 0, v1
	s_cbranch_execz .LBB66_9
.LBB66_8:                               ; =>This Inner Loop Header: Depth=1
	s_clause 0x1
	global_load_b32 v5, v2, s[14:15] scale_offset
	global_load_b32 v6, v3, s[14:15] scale_offset
	v_subrev_nc_u32_e32 v7, s27, v2
	v_add_nc_u32_e32 v1, -1, v1
	v_subrev_nc_u32_e32 v8, s27, v3
	s_wait_xcnt 0x0
	v_add_nc_u32_e32 v3, 0x80, v3
	v_add_nc_u32_e32 v2, 0x80, v2
	v_lshlrev_b32_e32 v7, 2, v7
	v_cmp_eq_u32_e32 vcc_lo, 0, v1
	v_lshlrev_b32_e32 v8, 2, v8
	s_or_b32 s20, vcc_lo, s20
	s_wait_loadcnt 0x1
	v_subrev_nc_u32_e32 v5, s17, v5
	s_wait_loadcnt 0x0
	v_subrev_nc_u32_e32 v6, s17, v6
	ds_store_b32 v7, v5 offset:4864
	ds_store_b32 v8, v6 offset:4864
	s_and_not1_b32 exec_lo, exec_lo, s20
	s_cbranch_execnz .LBB66_8
.LBB66_9:
	s_or_b32 exec_lo, exec_lo, s19
	v_add_nc_u32_e32 v1, 1, v4
	s_delay_alu instid0(VALU_DEP_1) | instskip(NEXT) | instid1(VALU_DEP_1)
	v_and_b32_e32 v2, 0x7fffffe, v1
	v_cmp_ne_u32_e32 vcc_lo, v1, v2
	v_lshl_add_u32 v0, v2, 6, v0
	s_or_not1_b32 s19, vcc_lo, exec_lo
.LBB66_10:
	s_or_b32 exec_lo, exec_lo, s18
	s_delay_alu instid0(SALU_CYCLE_1)
	s_and_b32 exec_lo, exec_lo, s19
	s_cbranch_execz .LBB66_13
; %bb.11:
	v_add_nc_u32_e32 v1, s17, v0
	s_delay_alu instid0(VALU_DEP_1) | instskip(SKIP_2) | instid1(VALU_DEP_2)
	v_subrev_nc_u32_e32 v2, s3, v1
	v_ashrrev_i32_e32 v1, 31, v0
	s_mov_b32 s3, 0
	v_lshl_add_u32 v4, v2, 2, 0x1300
	s_delay_alu instid0(VALU_DEP_2)
	v_lshl_add_u64 v[2:3], v[0:1], 2, s[14:15]
.LBB66_12:                              ; =>This Inner Loop Header: Depth=1
	global_load_b32 v1, v[2:3], off
	v_add_nc_u32_e32 v0, 64, v0
	s_wait_xcnt 0x0
	v_add_nc_u64_e32 v[2:3], 0x100, v[2:3]
	s_delay_alu instid0(VALU_DEP_2)
	v_cmp_lt_i32_e32 vcc_lo, s26, v0
	s_or_b32 s3, vcc_lo, s3
	s_wait_loadcnt 0x0
	v_subrev_nc_u32_e32 v1, s17, v1
	ds_store_b32 v4, v1
	v_add_nc_u32_e32 v4, 0x100, v4
	s_and_not1_b32 exec_lo, exec_lo, s3
	s_cbranch_execnz .LBB66_12
.LBB66_13:
	s_or_b32 exec_lo, exec_lo, s2
	s_load_b64 s[2:3], s[0:1], 0x20
	s_movk_i32 s18, 0x90
	v_mov_b32_e32 v0, 0
	v_mad_u32_u24 v18, v15, s18, 0xd80
	s_mov_b32 s18, 0
	s_cmp_lt_i32 s27, s26
	s_delay_alu instid0(VALU_DEP_2) | instskip(NEXT) | instid1(VALU_DEP_2)
	v_dual_mov_b32 v1, v0 :: v_dual_mov_b32 v2, v0
	v_lshl_add_u32 v16, v14, 4, v18
	v_mov_b32_e32 v3, v0
	ds_store_b128 v16, v[0:3]
	s_wait_dscnt 0x0
	s_cbranch_scc1 .LBB66_17
; %bb.14:
	v_lshl_add_u32 v21, v14, 3, v15
	v_or_b32_e32 v17, v14, v15
	s_load_b32 s28, s[0:1], 0x0
	s_and_not1_b32 vcc_lo, exec_lo, s18
	s_cbranch_vccz .LBB66_18
	s_branch .LBB66_52
.LBB66_15:
	s_cbranch_execnz .LBB66_159
.LBB66_16:
	s_sendmsg sendmsg(MSG_DEALLOC_VGPRS)
	s_endpgm
.LBB66_17:
                                        ; implicit-def: $vgpr21
                                        ; implicit-def: $vgpr17
	s_load_b32 s28, s[0:1], 0x0
.LBB66_18:
	v_dual_lshlrev_b32 v22, 3, v14 :: v_dual_lshlrev_b32 v0, 4, v14
	s_wait_xcnt 0x0
	s_movk_i32 s0, 0x90
	s_movk_i32 s1, 0x480
	s_wait_kmcnt 0x0
	s_cmp_lg_u32 s28, 0
	v_mad_u32_u24 v23, v15, s0, 0x900
	v_mad_u32_u24 v24, 0x90, v15, s1
	v_add_nc_u32_e32 v21, v22, v15
	v_or_b32_e32 v17, v14, v15
	s_cselect_b32 s29, -1, 0
	s_cmp_eq_u32 s28, 0
	v_add_nc_u32_e32 v25, v23, v0
	s_cselect_b32 vcc_lo, -1, 0
	v_mad_u32_u24 v26, 0x90, v15, v0
	v_add_nc_u32_e32 v27, v24, v0
	v_mad_u32_u24 v28, v14, s0, 0x900
	v_cmp_ne_u32_e64 s0, 0, v17
	v_dual_cndmask_b32 v29, v21, v19 :: v_dual_mov_b32 v30, 0
	s_mov_b32 s18, s27
	s_branch .LBB66_21
.LBB66_19:                              ;   in Loop: Header=BB66_21 Depth=1
	ds_load_2addr_b64 v[0:3], v25 offset1:1
	s_add_co_i32 s18, s18, 1
	s_delay_alu instid0(SALU_CYCLE_1)
	s_cmp_ge_i32 s18, s26
	s_cselect_b32 s23, -1, 0
	s_wait_dscnt 0x0
	global_store_b128 v[8:9], v[0:3], off
	global_wb scope:SCOPE_DEV
	s_wait_storecnt 0x0
	global_inv scope:SCOPE_DEV
.LBB66_20:                              ;   in Loop: Header=BB66_21 Depth=1
	s_and_b32 vcc_lo, exec_lo, s23
	s_cbranch_vccnz .LBB66_52
.LBB66_21:                              ; =>This Loop Header: Depth=1
                                        ;     Child Loop BB66_24 Depth 2
                                        ;     Child Loop BB66_35 Depth 2
	;; [unrolled: 1-line block ×4, first 2 shown]
                                        ;       Child Loop BB66_51 Depth 3
	s_ashr_i32 s19, s18, 31
	s_delay_alu instid0(SALU_CYCLE_1) | instskip(NEXT) | instid1(SALU_CYCLE_1)
	s_lshl_b64 s[20:21], s[18:19], 2
	s_add_nc_u64 s[20:21], s[14:15], s[20:21]
	s_load_b32 s19, s[20:21], 0x0
	s_wait_kmcnt 0x0
	s_sub_co_i32 s22, s19, s17
	s_delay_alu instid0(SALU_CYCLE_1)
	s_ashr_i32 s23, s22, 31
	s_wait_xcnt 0x0
	s_lshl_b64 s[20:21], s[22:23], 2
	s_mov_b32 s23, -1
	s_add_nc_u64 s[24:25], s[4:5], s[20:21]
	s_load_b32 s1, s[24:25], 0x0
	s_wait_kmcnt 0x0
	s_cmp_eq_u32 s1, -1
	s_cbranch_scc1 .LBB66_20
; %bb.22:                               ;   in Loop: Header=BB66_21 Depth=1
	v_lshl_add_u32 v0, s18, 6, v29
	s_wait_xcnt 0x0
	s_add_nc_u64 s[24:25], s[12:13], s[20:21]
	ds_load_b32 v1, v30 offset:4864
	s_load_b32 s23, s[24:25], 0x0
	global_load_b128 v[2:5], v0, s[2:3] scale_offset
	s_wait_dscnt 0x0
	v_cmp_ge_i32_e32 vcc_lo, s22, v1
	s_wait_kmcnt 0x0
	s_sub_co_i32 s24, s23, s17
	s_delay_alu instid0(SALU_CYCLE_1) | instskip(SKIP_1) | instid1(SALU_CYCLE_1)
	s_cmp_le_i32 s24, s1
	s_cselect_b32 s23, -1, 0
	s_and_b32 s23, s23, vcc_lo
	s_delay_alu instid0(SALU_CYCLE_1)
	s_and_not1_b32 vcc_lo, exec_lo, s23
	s_mov_b32 s23, 0
	s_wait_loadcnt 0x0
	ds_store_2addr_b64 v25, v[2:3], v[4:5] offset1:1
	s_cbranch_vccnz .LBB66_34
; %bb.23:                               ;   in Loop: Header=BB66_21 Depth=1
	s_mov_b32 s30, 0
	s_mov_b32 s31, 0
.LBB66_24:                              ;   Parent Loop BB66_21 Depth=1
                                        ; =>  This Inner Loop Header: Depth=2
	s_ashr_i32 s25, s24, 31
	s_lshl_b32 s23, s31, 2
	s_lshl_b64 s[34:35], s[24:25], 2
	v_mov_b32_e32 v1, s23
	s_add_nc_u64 s[34:35], s[14:15], s[34:35]
                                        ; implicit-def: $sgpr33
	s_load_b32 s23, s[34:35], 0x0
	s_wait_xcnt 0x0
	s_mov_b32 s35, -1
	ds_load_b32 v1, v1 offset:4864
                                        ; implicit-def: $sgpr34
	s_wait_kmcnt 0x0
	s_sub_co_i32 s36, s23, s17
                                        ; implicit-def: $sgpr23
	s_wait_dscnt 0x0
	v_readfirstlane_b32 s25, v1
	v_cmp_ge_i32_e32 vcc_lo, s36, v1
	s_cbranch_vccz .LBB66_30
; %bb.25:                               ;   in Loop: Header=BB66_24 Depth=2
	s_cmp_le_i32 s36, s25
                                        ; implicit-def: $sgpr23
                                        ; implicit-def: $sgpr34
                                        ; implicit-def: $sgpr33
	s_cbranch_scc0 .LBB66_27
; %bb.26:                               ;   in Loop: Header=BB66_24 Depth=2
	s_add_co_i32 s23, s31, s27
	s_lshl_b32 s33, s30, 2
	s_lshl_b32 s23, s23, 6
	;; [unrolled: 1-line block ×3, first 2 shown]
	s_delay_alu instid0(SALU_CYCLE_1)
	v_dual_mov_b32 v1, s23 :: v_dual_mov_b32 v2, s34
	v_add_nc_u32_e64 v3, 0x1000, s33
	s_add_co_i32 s33, s31, 1
	s_add_co_i32 s34, s24, 1
	;; [unrolled: 1-line block ×3, first 2 shown]
	s_mov_b32 s35, 0
	ds_store_2addr_b32 v3, v2, v1 offset0:128 offset1:160
.LBB66_27:                              ;   in Loop: Header=BB66_24 Depth=2
	s_and_not1_b32 vcc_lo, exec_lo, s35
	s_cbranch_vccnz .LBB66_29
; %bb.28:                               ;   in Loop: Header=BB66_24 Depth=2
	s_add_co_i32 s33, s31, 1
	s_mov_b32 s23, s30
	s_mov_b32 s34, s24
.LBB66_29:                              ;   in Loop: Header=BB66_24 Depth=2
	s_mov_b32 s35, 0
.LBB66_30:                              ;   in Loop: Header=BB66_24 Depth=2
	s_delay_alu instid0(SALU_CYCLE_1)
	s_and_not1_b32 vcc_lo, exec_lo, s35
	s_cbranch_vccnz .LBB66_32
; %bb.31:                               ;   in Loop: Header=BB66_24 Depth=2
	s_add_co_i32 s34, s24, 1
	s_mov_b32 s33, s31
	s_mov_b32 s23, s30
.LBB66_32:                              ;   in Loop: Header=BB66_24 Depth=2
	s_cmp_le_i32 s34, s1
	s_cselect_b32 s24, -1, 0
	s_cmp_le_i32 s25, s22
	s_cselect_b32 s25, -1, 0
	s_delay_alu instid0(SALU_CYCLE_1) | instskip(NEXT) | instid1(SALU_CYCLE_1)
	s_and_b32 s24, s24, s25
	s_and_b32 vcc_lo, exec_lo, s24
	s_cbranch_vccz .LBB66_34
; %bb.33:                               ;   in Loop: Header=BB66_24 Depth=2
	s_mov_b32 s30, s23
	s_mov_b32 s24, s34
	;; [unrolled: 1-line block ×3, first 2 shown]
	s_branch .LBB66_24
.LBB66_34:                              ;   in Loop: Header=BB66_21 Depth=1
	v_ashrrev_i32_e32 v1, 31, v0
	s_add_nc_u64 s[20:21], s[6:7], s[20:21]
	s_wait_dscnt 0x0
	s_delay_alu instid0(VALU_DEP_1)
	v_lshl_add_u64 v[8:9], v[0:1], 4, s[2:3]
.LBB66_35:                              ;   Parent Loop BB66_21 Depth=1
                                        ; =>  This Inner Loop Header: Depth=2
	global_load_b32 v0, v30, s[20:21] scope:SCOPE_DEV
	s_wait_loadcnt 0x0
	v_cmp_eq_u32_e32 vcc_lo, 0, v0
	s_cbranch_vccnz .LBB66_35
; %bb.36:                               ;   in Loop: Header=BB66_21 Depth=1
	v_lshl_add_u32 v0, s1, 6, v29
	global_inv scope:SCOPE_DEV
	v_mov_b64_e32 v[2:3], 0
	s_cmp_lt_i32 s23, 2
	global_load_b128 v[4:7], v0, s[2:3] scale_offset
	s_wait_xcnt 0x0
	v_mov_b64_e32 v[0:1], 0
	s_wait_loadcnt 0x0
	ds_store_2addr_b64 v26, v[4:5], v[6:7] offset1:1
	s_wait_dscnt 0x0
	s_cbranch_scc1 .LBB66_44
; %bb.37:                               ;   in Loop: Header=BB66_21 Depth=1
	v_mov_b64_e32 v[6:7], 0
	v_mov_b64_e32 v[4:5], 0
	s_add_co_i32 s1, s23, -1
	s_movk_i32 s20, 0x1200
.LBB66_38:                              ;   Parent Loop BB66_21 Depth=1
                                        ; =>  This Inner Loop Header: Depth=2
	s_delay_alu instid0(SALU_CYCLE_1)
	v_mov_b32_e32 v0, s20
	s_and_b32 vcc_lo, exec_lo, s29
	s_mov_b32 s21, -1
	s_wait_dscnt 0x0
	ds_load_2addr_b32 v[10:11], v0 offset1:32
                                        ; implicit-def: $vgpr2_vgpr3
	s_cbranch_vccz .LBB66_41
; %bb.39:                               ;   in Loop: Header=BB66_38 Depth=2
	s_wait_dscnt 0x0
	v_dual_add_nc_u32 v12, v10, v14 :: v_dual_add_nc_u32 v13, v11, v15
	s_clause 0x1
	global_load_b128 v[32:35], v12, s[2:3] scale_offset
	global_load_b128 v[36:39], v13, s[2:3] scale_offset
	v_dual_add_nc_u32 v0, 8, v12 :: v_dual_add_nc_u32 v1, 8, v13
	s_clause 0x1
	global_load_b128 v[40:43], v0, s[2:3] scale_offset
	global_load_b128 v[44:47], v1, s[2:3] scale_offset
	s_wait_xcnt 0x0
	v_dual_add_nc_u32 v0, 16, v12 :: v_dual_add_nc_u32 v1, 16, v13
	s_clause 0x1
	global_load_b128 v[48:51], v0, s[2:3] scale_offset
	global_load_b128 v[52:55], v1, s[2:3] scale_offset
	s_wait_xcnt 0x0
	;; [unrolled: 5-line block ×4, first 2 shown]
	v_dual_add_nc_u32 v0, 40, v12 :: v_dual_add_nc_u32 v1, 40, v13
	s_clause 0x1
	global_load_b128 v[72:75], v0, s[2:3] scale_offset
	global_load_b128 v[76:79], v1, s[2:3] scale_offset
	v_dual_add_nc_u32 v31, 48, v12 :: v_dual_add_nc_u32 v12, 56, v12
	s_wait_loadcnt 0xa
	v_fma_f64 v[2:3], v[34:35], v[36:37], v[6:7]
	s_wait_xcnt 0x0
	v_fma_f64 v[0:1], v[32:33], v[36:37], v[4:5]
	s_delay_alu instid0(VALU_DEP_2) | instskip(NEXT) | instid1(VALU_DEP_2)
	v_fma_f64 v[2:3], v[32:33], -v[38:39], v[2:3]
	v_fmac_f64_e32 v[0:1], v[34:35], v[38:39]
	s_wait_loadcnt 0x8
	s_delay_alu instid0(VALU_DEP_2) | instskip(SKIP_1) | instid1(VALU_DEP_3)
	v_fmac_f64_e32 v[2:3], v[42:43], v[44:45]
	v_add_nc_u32_e32 v80, 48, v13
	v_fmac_f64_e32 v[0:1], v[40:41], v[44:45]
	s_delay_alu instid0(VALU_DEP_3)
	v_dual_fma_f64 v[2:3], v[40:41], -v[46:47], v[2:3] :: v_dual_add_nc_u32 v13, 56, v13
	s_clause 0x1
	global_load_b128 v[32:35], v31, s[2:3] scale_offset
	global_load_b128 v[36:39], v80, s[2:3] scale_offset
	v_fmac_f64_e32 v[0:1], v[42:43], v[46:47]
	s_clause 0x1
	global_load_b128 v[40:43], v12, s[2:3] scale_offset
	global_load_b128 v[44:47], v13, s[2:3] scale_offset
	s_wait_loadcnt 0xa
	v_fmac_f64_e32 v[2:3], v[50:51], v[52:53]
	v_fmac_f64_e32 v[0:1], v[48:49], v[52:53]
	s_delay_alu instid0(VALU_DEP_2) | instskip(NEXT) | instid1(VALU_DEP_2)
	v_fma_f64 v[2:3], v[48:49], -v[54:55], v[2:3]
	v_fmac_f64_e32 v[0:1], v[50:51], v[54:55]
	s_wait_loadcnt 0x8
	s_delay_alu instid0(VALU_DEP_2) | instskip(NEXT) | instid1(VALU_DEP_2)
	v_fmac_f64_e32 v[2:3], v[58:59], v[60:61]
	v_fmac_f64_e32 v[0:1], v[56:57], v[60:61]
	s_delay_alu instid0(VALU_DEP_2) | instskip(NEXT) | instid1(VALU_DEP_2)
	v_fma_f64 v[2:3], v[56:57], -v[62:63], v[2:3]
	v_fmac_f64_e32 v[0:1], v[58:59], v[62:63]
	s_wait_loadcnt 0x6
	s_delay_alu instid0(VALU_DEP_2) | instskip(NEXT) | instid1(VALU_DEP_2)
	v_fmac_f64_e32 v[2:3], v[66:67], v[68:69]
	v_fmac_f64_e32 v[0:1], v[64:65], v[68:69]
	s_delay_alu instid0(VALU_DEP_2) | instskip(NEXT) | instid1(VALU_DEP_2)
	v_fma_f64 v[2:3], v[64:65], -v[70:71], v[2:3]
	v_fmac_f64_e32 v[0:1], v[66:67], v[70:71]
	s_wait_loadcnt 0x4
	s_delay_alu instid0(VALU_DEP_2) | instskip(NEXT) | instid1(VALU_DEP_2)
	v_fmac_f64_e32 v[2:3], v[74:75], v[76:77]
	v_fmac_f64_e32 v[0:1], v[72:73], v[76:77]
	s_delay_alu instid0(VALU_DEP_2) | instskip(NEXT) | instid1(VALU_DEP_2)
	v_fma_f64 v[2:3], v[72:73], -v[78:79], v[2:3]
	v_fmac_f64_e32 v[0:1], v[74:75], v[78:79]
	s_wait_loadcnt 0x2
	s_delay_alu instid0(VALU_DEP_1) | instskip(NEXT) | instid1(VALU_DEP_3)
	v_fmac_f64_e32 v[0:1], v[32:33], v[36:37]
	v_fmac_f64_e32 v[2:3], v[34:35], v[36:37]
	s_delay_alu instid0(VALU_DEP_2) | instskip(NEXT) | instid1(VALU_DEP_2)
	v_fmac_f64_e32 v[0:1], v[34:35], v[38:39]
	v_fma_f64 v[2:3], v[32:33], -v[38:39], v[2:3]
	s_wait_loadcnt 0x0
	s_delay_alu instid0(VALU_DEP_2) | instskip(NEXT) | instid1(VALU_DEP_2)
	v_fmac_f64_e32 v[0:1], v[40:41], v[44:45]
	v_fmac_f64_e32 v[2:3], v[42:43], v[44:45]
	s_delay_alu instid0(VALU_DEP_2) | instskip(NEXT) | instid1(VALU_DEP_2)
	v_fmac_f64_e32 v[0:1], v[42:43], v[46:47]
	v_fma_f64 v[2:3], v[40:41], -v[46:47], v[2:3]
	s_cbranch_execz .LBB66_42
.LBB66_40:                              ;   in Loop: Header=BB66_38 Depth=2
	s_add_co_i32 s1, s1, -1
	s_add_co_i32 s20, s20, 4
	s_cmp_eq_u32 s1, 0
	s_cbranch_scc0 .LBB66_43
	s_branch .LBB66_44
.LBB66_41:                              ;   in Loop: Header=BB66_38 Depth=2
	s_and_not1_b32 vcc_lo, exec_lo, s21
	s_cbranch_vccnz .LBB66_40
.LBB66_42:                              ;   in Loop: Header=BB66_38 Depth=2
	s_wait_dscnt 0x0
	v_dual_add_nc_u32 v31, v11, v20 :: v_dual_add_nc_u32 v72, v10, v22
	s_clause 0xb
	global_load_b128 v[0:3], v31, s[2:3] scale_offset
	global_load_b128 v[10:13], v72, s[2:3] scale_offset
	global_load_b128 v[32:35], v72, s[2:3] offset:16 scale_offset
	global_load_b128 v[36:39], v31, s[2:3] offset:16 scale_offset
	;; [unrolled: 1-line block ×10, first 2 shown]
	s_wait_loadcnt 0xa
	v_fmac_f64_e32 v[4:5], v[10:11], v[0:1]
	v_fmac_f64_e32 v[6:7], v[12:13], v[0:1]
	s_delay_alu instid0(VALU_DEP_2) | instskip(NEXT) | instid1(VALU_DEP_2)
	v_fmac_f64_e32 v[4:5], v[12:13], v[2:3]
	v_fma_f64 v[6:7], v[10:11], -v[2:3], v[6:7]
	s_clause 0x1
	global_load_b128 v[0:3], v72, s[2:3] offset:96 scale_offset
	global_load_b128 v[10:13], v31, s[2:3] offset:96 scale_offset
	s_wait_loadcnt 0xa
	v_fmac_f64_e32 v[4:5], v[32:33], v[36:37]
	v_fmac_f64_e32 v[6:7], v[34:35], v[36:37]
	s_delay_alu instid0(VALU_DEP_2) | instskip(NEXT) | instid1(VALU_DEP_2)
	v_fmac_f64_e32 v[4:5], v[34:35], v[38:39]
	v_fma_f64 v[6:7], v[32:33], -v[38:39], v[6:7]
	s_clause 0x1
	global_load_b128 v[32:35], v72, s[2:3] offset:112 scale_offset
	global_load_b128 v[36:39], v31, s[2:3] offset:112 scale_offset
	s_wait_loadcnt 0xa
	v_fmac_f64_e32 v[4:5], v[44:45], v[40:41]
	v_fmac_f64_e32 v[6:7], v[46:47], v[40:41]
	s_delay_alu instid0(VALU_DEP_2) | instskip(NEXT) | instid1(VALU_DEP_2)
	v_fmac_f64_e32 v[4:5], v[46:47], v[42:43]
	v_fma_f64 v[6:7], v[44:45], -v[42:43], v[6:7]
	s_wait_loadcnt 0x8
	s_delay_alu instid0(VALU_DEP_2) | instskip(NEXT) | instid1(VALU_DEP_2)
	v_fmac_f64_e32 v[4:5], v[48:49], v[52:53]
	v_fmac_f64_e32 v[6:7], v[50:51], v[52:53]
	s_delay_alu instid0(VALU_DEP_2) | instskip(NEXT) | instid1(VALU_DEP_2)
	v_fmac_f64_e32 v[4:5], v[50:51], v[54:55]
	v_fma_f64 v[6:7], v[48:49], -v[54:55], v[6:7]
	s_wait_loadcnt 0x6
	s_delay_alu instid0(VALU_DEP_2) | instskip(NEXT) | instid1(VALU_DEP_2)
	;; [unrolled: 7-line block ×5, first 2 shown]
	v_fmac_f64_e32 v[4:5], v[32:33], v[36:37]
	v_fmac_f64_e32 v[0:1], v[34:35], v[36:37]
	s_delay_alu instid0(VALU_DEP_2) | instskip(NEXT) | instid1(VALU_DEP_2)
	v_fmac_f64_e32 v[4:5], v[34:35], v[38:39]
	v_fma_f64 v[2:3], v[32:33], -v[38:39], v[0:1]
	s_delay_alu instid0(VALU_DEP_2)
	v_mov_b64_e32 v[0:1], v[4:5]
	s_add_co_i32 s1, s1, -1
	s_add_co_i32 s20, s20, 4
	s_cmp_eq_u32 s1, 0
	s_cbranch_scc1 .LBB66_44
.LBB66_43:                              ;   in Loop: Header=BB66_38 Depth=2
	s_delay_alu instid0(VALU_DEP_1) | instskip(NEXT) | instid1(VALU_DEP_2)
	v_mov_b64_e32 v[6:7], v[2:3]
	v_mov_b64_e32 v[4:5], v[0:1]
	s_branch .LBB66_38
.LBB66_44:                              ;   in Loop: Header=BB66_21 Depth=1
	s_mov_b32 s20, 0
	s_mov_b32 s21, 0
	ds_store_b128 v27, v[0:3]
	s_wait_dscnt 0x0
	s_branch .LBB66_46
.LBB66_45:                              ;   in Loop: Header=BB66_46 Depth=2
	v_mul_f64_e32 v[32:33], v[12:13], v[12:13]
	s_wait_dscnt 0x0
	s_delay_alu instid0(VALU_DEP_2) | instskip(NEXT) | instid1(VALU_DEP_4)
	v_add_f64_e64 v[2:3], v[2:3], -v[6:7]
	v_add_f64_e64 v[0:1], v[0:1], -v[4:5]
	s_addk_co_i32 s20, 0x90
	s_delay_alu instid0(VALU_DEP_3) | instskip(NEXT) | instid1(VALU_DEP_3)
	v_fmac_f64_e32 v[32:33], v[10:11], v[10:11]
	v_mul_f64_e32 v[4:5], v[12:13], v[2:3]
	s_delay_alu instid0(VALU_DEP_3) | instskip(NEXT) | instid1(VALU_DEP_3)
	v_mul_f64_e64 v[12:13], v[12:13], -v[0:1]
	v_div_scale_f64 v[34:35], null, v[32:33], v[32:33], 1.0
	v_div_scale_f64 v[40:41], vcc_lo, 1.0, v[32:33], 1.0
	s_delay_alu instid0(VALU_DEP_4) | instskip(NEXT) | instid1(VALU_DEP_4)
	v_fmac_f64_e32 v[4:5], v[0:1], v[10:11]
	v_fmac_f64_e32 v[12:13], v[2:3], v[10:11]
	s_delay_alu instid0(VALU_DEP_4) | instskip(SKIP_1) | instid1(TRANS32_DEP_1)
	v_rcp_f64_e32 v[36:37], v[34:35]
	v_nop
	v_fma_f64 v[38:39], -v[34:35], v[36:37], 1.0
	s_delay_alu instid0(VALU_DEP_1) | instskip(NEXT) | instid1(VALU_DEP_1)
	v_fmac_f64_e32 v[36:37], v[36:37], v[38:39]
	v_fma_f64 v[38:39], -v[34:35], v[36:37], 1.0
	s_delay_alu instid0(VALU_DEP_1) | instskip(NEXT) | instid1(VALU_DEP_1)
	v_fmac_f64_e32 v[36:37], v[36:37], v[38:39]
	v_mul_f64_e32 v[38:39], v[40:41], v[36:37]
	s_delay_alu instid0(VALU_DEP_1) | instskip(NEXT) | instid1(VALU_DEP_1)
	v_fma_f64 v[6:7], -v[34:35], v[38:39], v[40:41]
	v_div_fmas_f64 v[6:7], v[6:7], v[36:37], v[38:39]
	s_delay_alu instid0(VALU_DEP_1) | instskip(NEXT) | instid1(VALU_DEP_1)
	v_div_fixup_f64 v[6:7], v[6:7], v[32:33], 1.0
	v_mul_f64_e32 v[0:1], v[6:7], v[4:5]
	v_mul_f64_e32 v[2:3], v[6:7], v[12:13]
	v_lshl_add_u32 v4, s21, 4, v28
	s_add_co_i32 s21, s21, 1
	s_delay_alu instid0(SALU_CYCLE_1)
	s_cmp_eq_u32 s21, 8
	ds_store_b128 v31, v[0:3]
	s_wait_storecnt_dscnt 0x0
	ds_load_b128 v[4:7], v4
	ds_load_b128 v[10:13], v16
	s_wait_dscnt 0x0
	v_fmac_f64_e32 v[10:11], v[0:1], v[4:5]
	v_fmac_f64_e32 v[12:13], v[2:3], v[4:5]
	s_delay_alu instid0(VALU_DEP_2) | instskip(NEXT) | instid1(VALU_DEP_2)
	v_fmac_f64_e32 v[10:11], v[2:3], v[6:7]
	v_fma_f64 v[12:13], v[0:1], -v[6:7], v[12:13]
	ds_store_b128 v16, v[10:13]
	s_wait_dscnt 0x0
	s_cbranch_scc1 .LBB66_19
.LBB66_46:                              ;   Parent Loop BB66_21 Depth=1
                                        ; =>  This Loop Header: Depth=2
                                        ;       Child Loop BB66_51 Depth 3
	s_lshl_b32 s22, s21, 4
	s_mul_i32 s1, s21, 0x90
	v_add_nc_u32_e32 v31, s22, v23
	s_add_co_i32 s1, s1, s22
	s_delay_alu instid0(SALU_CYCLE_1)
	v_mov_b32_e32 v0, s1
	ds_load_b128 v[4:7], v0
	ds_load_b128 v[0:3], v31
	s_wait_dscnt 0x1
	v_cmp_neq_f64_e32 vcc_lo, 0, v[4:5]
	v_cmp_neq_f64_e64 s1, 0, v[6:7]
	s_or_b32 vcc_lo, vcc_lo, s1
	v_cndmask_b32_e32 v11, 0x3ff00000, v5, vcc_lo
	v_dual_cndmask_b32 v10, 0, v4 :: v_dual_cndmask_b32 v13, 0, v7
	v_cndmask_b32_e32 v12, 0, v6, vcc_lo
	s_nor_b32 s22, vcc_lo, s0
	s_delay_alu instid0(SALU_CYCLE_1)
	s_and_saveexec_b32 s1, s22
	s_cbranch_execz .LBB66_50
; %bb.47:                               ;   in Loop: Header=BB66_46 Depth=2
	v_mbcnt_lo_u32_b32 v4, exec_lo, 0
	s_mov_b32 s22, exec_lo
	s_delay_alu instid0(VALU_DEP_1)
	v_cmpx_eq_u32_e32 0, v4
	s_cbranch_execz .LBB66_49
; %bb.48:                               ;   in Loop: Header=BB66_46 Depth=2
	v_mov_b32_e32 v4, s19
	global_atomic_min_i32 v30, v4, s[10:11] scope:SCOPE_DEV
.LBB66_49:                              ;   in Loop: Header=BB66_46 Depth=2
	s_wait_xcnt 0x0
	s_or_b32 exec_lo, exec_lo, s22
	v_mov_b64_e32 v[12:13], 0
	v_mov_b64_e32 v[10:11], 1.0
.LBB66_50:                              ;   in Loop: Header=BB66_46 Depth=2
	s_or_b32 exec_lo, exec_lo, s1
	v_lshl_add_u32 v4, s21, 4, v24
	v_mov_b32_e32 v32, v23
	s_cmp_eq_u32 s21, 0
	s_mov_b32 s1, s20
	s_mov_b32 s22, s21
	ds_load_b128 v[4:7], v4
	s_cbranch_scc1 .LBB66_45
.LBB66_51:                              ;   Parent Loop BB66_21 Depth=1
                                        ;     Parent Loop BB66_46 Depth=2
                                        ; =>    This Inner Loop Header: Depth=3
	v_mov_b32_e32 v33, s1
	s_add_co_i32 s22, s22, -1
	s_add_co_i32 s1, s1, 16
	s_cmp_eq_u32 s22, 0
	ds_load_b128 v[34:37], v32
	ds_load_b128 v[38:41], v33
	v_add_nc_u32_e32 v32, 16, v32
	s_wait_dscnt 0x0
	v_fmac_f64_e32 v[4:5], v[38:39], v[34:35]
	v_fmac_f64_e32 v[6:7], v[40:41], v[34:35]
	s_delay_alu instid0(VALU_DEP_2) | instskip(NEXT) | instid1(VALU_DEP_2)
	v_fmac_f64_e32 v[4:5], v[40:41], v[36:37]
	v_fma_f64 v[6:7], v[38:39], -v[36:37], v[6:7]
	s_cbranch_scc0 .LBB66_51
	s_branch .LBB66_45
.LBB66_52:
	s_wait_kmcnt 0x0
	s_cmp_eq_u32 s28, 0
	s_wait_xcnt 0x0
	s_movk_i32 s0, 0x90
	s_cselect_b32 vcc_lo, -1, 0
	v_mad_u32_u24 v9, v15, s0, 0x900
	v_cndmask_b32_e32 v0, v21, v19, vcc_lo
	v_cmp_ne_u32_e64 s1, 0, v15
	s_mov_b32 s0, exec_lo
	v_lshl_add_u32 v8, v14, 4, v9
	v_lshl_add_u32 v0, s26, 6, v0
	global_load_b128 v[2:5], v0, s[2:3] scale_offset
	v_ashrrev_i32_e32 v1, 31, v0
	s_wait_loadcnt 0x0
	ds_store_2addr_b64 v8, v[2:3], v[4:5] offset1:1
	s_wait_dscnt 0x0
	s_wait_xcnt 0x0
	v_cmpx_eq_u32_e32 0, v15
	s_cbranch_execz .LBB66_59
; %bb.53:
	v_mov_b32_e32 v6, 0
	ds_load_b128 v[2:5], v6 offset:3456
	ds_load_b128 v[10:13], v6 offset:2304
	s_wait_dscnt 0x0
	v_add_f64_e64 v[2:3], v[10:11], -v[2:3]
	v_add_f64_e64 v[6:7], v[12:13], -v[4:5]
	s_delay_alu instid0(VALU_DEP_2) | instskip(SKIP_1) | instid1(VALU_DEP_3)
	v_cmp_gt_f64_e32 vcc_lo, 0, v[2:3]
	v_xor_b32_e32 v4, 0x80000000, v3
	v_xor_b32_e32 v5, 0x80000000, v7
	s_delay_alu instid0(VALU_DEP_2) | instskip(SKIP_1) | instid1(VALU_DEP_3)
	v_dual_cndmask_b32 v3, v3, v4 :: v_dual_mov_b32 v4, v6
	v_cmp_gt_f64_e32 vcc_lo, 0, v[6:7]
	v_cndmask_b32_e32 v5, v7, v5, vcc_lo
	s_delay_alu instid0(VALU_DEP_1)
	v_cmp_ngt_f64_e32 vcc_lo, v[2:3], v[4:5]
	s_cbranch_vccz .LBB66_56
; %bb.54:
	v_cmp_eq_f64_e32 vcc_lo, 0, v[6:7]
	s_cbranch_vccnz .LBB66_163
; %bb.55:
	v_div_scale_f64 v[6:7], null, v[4:5], v[4:5], v[2:3]
	v_div_scale_f64 v[20:21], vcc_lo, v[2:3], v[4:5], v[2:3]
	s_delay_alu instid0(VALU_DEP_2) | instskip(SKIP_1) | instid1(TRANS32_DEP_1)
	v_rcp_f64_e32 v[10:11], v[6:7]
	v_nop
	v_fma_f64 v[12:13], -v[6:7], v[10:11], 1.0
	s_delay_alu instid0(VALU_DEP_1) | instskip(NEXT) | instid1(VALU_DEP_1)
	v_fmac_f64_e32 v[10:11], v[10:11], v[12:13]
	v_fma_f64 v[12:13], -v[6:7], v[10:11], 1.0
	s_delay_alu instid0(VALU_DEP_1) | instskip(NEXT) | instid1(VALU_DEP_1)
	v_fmac_f64_e32 v[10:11], v[10:11], v[12:13]
	v_mul_f64_e32 v[12:13], v[20:21], v[10:11]
	s_delay_alu instid0(VALU_DEP_1) | instskip(NEXT) | instid1(VALU_DEP_1)
	v_fma_f64 v[6:7], -v[6:7], v[12:13], v[20:21]
	v_div_fmas_f64 v[6:7], v[6:7], v[10:11], v[12:13]
	s_delay_alu instid0(VALU_DEP_1) | instskip(NEXT) | instid1(VALU_DEP_1)
	v_div_fixup_f64 v[6:7], v[6:7], v[4:5], v[2:3]
	v_fma_f64 v[6:7], v[6:7], v[6:7], 1.0
	s_delay_alu instid0(VALU_DEP_1) | instskip(SKIP_2) | instid1(SALU_CYCLE_1)
	v_cmp_gt_f64_e32 vcc_lo, 0x10000000, v[6:7]
	s_and_b32 s4, vcc_lo, exec_lo
	s_cselect_b32 s4, 0x100, 0
	v_ldexp_f64 v[6:7], v[6:7], s4
	s_cselect_b32 s4, 0xffffff80, 0
	s_delay_alu instid0(VALU_DEP_1) | instskip(SKIP_1) | instid1(TRANS32_DEP_1)
	v_rsq_f64_e32 v[10:11], v[6:7]
	v_cmp_class_f64_e64 vcc_lo, v[6:7], 0x260
	v_mul_f64_e32 v[12:13], v[6:7], v[10:11]
	v_mul_f64_e32 v[10:11], 0.5, v[10:11]
	s_delay_alu instid0(VALU_DEP_1) | instskip(NEXT) | instid1(VALU_DEP_1)
	v_fma_f64 v[20:21], -v[10:11], v[12:13], 0.5
	v_fmac_f64_e32 v[12:13], v[12:13], v[20:21]
	v_fmac_f64_e32 v[10:11], v[10:11], v[20:21]
	s_delay_alu instid0(VALU_DEP_2) | instskip(NEXT) | instid1(VALU_DEP_1)
	v_fma_f64 v[20:21], -v[12:13], v[12:13], v[6:7]
	v_fmac_f64_e32 v[12:13], v[20:21], v[10:11]
	s_delay_alu instid0(VALU_DEP_1) | instskip(NEXT) | instid1(VALU_DEP_1)
	v_fma_f64 v[20:21], -v[12:13], v[12:13], v[6:7]
	v_fmac_f64_e32 v[12:13], v[20:21], v[10:11]
	s_delay_alu instid0(VALU_DEP_1) | instskip(NEXT) | instid1(VALU_DEP_1)
	v_ldexp_f64 v[10:11], v[12:13], s4
	v_dual_cndmask_b32 v7, v11, v7 :: v_dual_cndmask_b32 v6, v10, v6
	s_delay_alu instid0(VALU_DEP_1)
	v_mul_f64_e32 v[6:7], v[4:5], v[6:7]
	s_cbranch_execz .LBB66_57
	s_branch .LBB66_58
.LBB66_56:
                                        ; implicit-def: $vgpr6_vgpr7
.LBB66_57:
	v_div_scale_f64 v[6:7], null, v[2:3], v[2:3], v[4:5]
	v_div_scale_f64 v[20:21], vcc_lo, v[4:5], v[2:3], v[4:5]
	s_delay_alu instid0(VALU_DEP_2) | instskip(SKIP_1) | instid1(TRANS32_DEP_1)
	v_rcp_f64_e32 v[10:11], v[6:7]
	v_nop
	v_fma_f64 v[12:13], -v[6:7], v[10:11], 1.0
	s_delay_alu instid0(VALU_DEP_1) | instskip(NEXT) | instid1(VALU_DEP_1)
	v_fmac_f64_e32 v[10:11], v[10:11], v[12:13]
	v_fma_f64 v[12:13], -v[6:7], v[10:11], 1.0
	s_delay_alu instid0(VALU_DEP_1) | instskip(NEXT) | instid1(VALU_DEP_1)
	v_fmac_f64_e32 v[10:11], v[10:11], v[12:13]
	v_mul_f64_e32 v[12:13], v[20:21], v[10:11]
	s_delay_alu instid0(VALU_DEP_1) | instskip(NEXT) | instid1(VALU_DEP_1)
	v_fma_f64 v[6:7], -v[6:7], v[12:13], v[20:21]
	v_div_fmas_f64 v[6:7], v[6:7], v[10:11], v[12:13]
	s_delay_alu instid0(VALU_DEP_1) | instskip(NEXT) | instid1(VALU_DEP_1)
	v_div_fixup_f64 v[4:5], v[6:7], v[2:3], v[4:5]
	v_fma_f64 v[4:5], v[4:5], v[4:5], 1.0
	s_delay_alu instid0(VALU_DEP_1) | instskip(SKIP_2) | instid1(SALU_CYCLE_1)
	v_cmp_gt_f64_e32 vcc_lo, 0x10000000, v[4:5]
	s_and_b32 s4, vcc_lo, exec_lo
	s_cselect_b32 s4, 0x100, 0
	v_ldexp_f64 v[4:5], v[4:5], s4
	s_cselect_b32 s4, 0xffffff80, 0
	s_delay_alu instid0(VALU_DEP_1) | instskip(SKIP_1) | instid1(TRANS32_DEP_1)
	v_rsq_f64_e32 v[6:7], v[4:5]
	v_cmp_class_f64_e64 vcc_lo, v[4:5], 0x260
	v_mul_f64_e32 v[10:11], v[4:5], v[6:7]
	v_mul_f64_e32 v[6:7], 0.5, v[6:7]
	s_delay_alu instid0(VALU_DEP_1) | instskip(NEXT) | instid1(VALU_DEP_1)
	v_fma_f64 v[12:13], -v[6:7], v[10:11], 0.5
	v_fmac_f64_e32 v[10:11], v[10:11], v[12:13]
	v_fmac_f64_e32 v[6:7], v[6:7], v[12:13]
	s_delay_alu instid0(VALU_DEP_2) | instskip(NEXT) | instid1(VALU_DEP_1)
	v_fma_f64 v[12:13], -v[10:11], v[10:11], v[4:5]
	v_fmac_f64_e32 v[10:11], v[12:13], v[6:7]
	s_delay_alu instid0(VALU_DEP_1) | instskip(NEXT) | instid1(VALU_DEP_1)
	v_fma_f64 v[12:13], -v[10:11], v[10:11], v[4:5]
	v_fmac_f64_e32 v[10:11], v[12:13], v[6:7]
	s_delay_alu instid0(VALU_DEP_1) | instskip(NEXT) | instid1(VALU_DEP_1)
	v_ldexp_f64 v[6:7], v[10:11], s4
	v_dual_cndmask_b32 v5, v7, v5 :: v_dual_cndmask_b32 v4, v6, v4
	s_delay_alu instid0(VALU_DEP_1)
	v_mul_f64_e32 v[6:7], v[2:3], v[4:5]
.LBB66_58:
	s_delay_alu instid0(VALU_DEP_1) | instskip(SKIP_2) | instid1(SALU_CYCLE_1)
	v_cmp_gt_f64_e32 vcc_lo, 0x10000000, v[6:7]
	s_and_b32 s4, vcc_lo, exec_lo
	s_cselect_b32 s4, 0x100, 0
	v_ldexp_f64 v[2:3], v[6:7], s4
	s_cselect_b32 s4, 0xffffff80, 0
	s_delay_alu instid0(VALU_DEP_1) | instskip(SKIP_1) | instid1(TRANS32_DEP_1)
	v_rsq_f64_e32 v[4:5], v[2:3]
	v_cmp_class_f64_e64 vcc_lo, v[2:3], 0x260
	v_mul_f64_e32 v[6:7], v[2:3], v[4:5]
	v_mul_f64_e32 v[4:5], 0.5, v[4:5]
	s_delay_alu instid0(VALU_DEP_1) | instskip(NEXT) | instid1(VALU_DEP_1)
	v_fma_f64 v[10:11], -v[4:5], v[6:7], 0.5
	v_fmac_f64_e32 v[6:7], v[6:7], v[10:11]
	v_fmac_f64_e32 v[4:5], v[4:5], v[10:11]
	s_delay_alu instid0(VALU_DEP_2) | instskip(NEXT) | instid1(VALU_DEP_1)
	v_fma_f64 v[10:11], -v[6:7], v[6:7], v[2:3]
	v_fmac_f64_e32 v[6:7], v[10:11], v[4:5]
	s_delay_alu instid0(VALU_DEP_1) | instskip(NEXT) | instid1(VALU_DEP_1)
	v_fma_f64 v[10:11], -v[6:7], v[6:7], v[2:3]
	v_fmac_f64_e32 v[6:7], v[10:11], v[4:5]
	v_mov_b32_e32 v4, 0
	s_delay_alu instid0(VALU_DEP_1) | instskip(NEXT) | instid1(VALU_DEP_3)
	v_mov_b32_e32 v5, v4
	v_ldexp_f64 v[6:7], v[6:7], s4
	s_delay_alu instid0(VALU_DEP_1)
	v_dual_cndmask_b32 v3, v7, v3 :: v_dual_cndmask_b32 v2, v6, v2
	ds_store_b128 v4, v[2:5] offset:2304
.LBB66_59:
	s_or_b32 exec_lo, exec_lo, s0
	v_mov_b32_e32 v2, 0
	s_wait_dscnt 0x0
	v_lshl_add_u64 v[0:1], v[0:1], 4, s[2:3]
	v_cmp_ne_u32_e64 s0, 0, v17
	ds_load_b128 v[2:5], v2 offset:2304
	s_wait_dscnt 0x0
	v_cmp_neq_f64_e32 vcc_lo, 0, v[2:3]
	v_cmp_neq_f64_e64 s2, 0, v[4:5]
	s_or_b32 vcc_lo, vcc_lo, s2
	s_add_co_i32 s2, s16, s17
	v_cndmask_b32_e32 v3, 0x3ff00000, v3, vcc_lo
	v_dual_cndmask_b32 v2, 0, v2 :: v_dual_cndmask_b32 v5, 0, v5
	v_cndmask_b32_e32 v4, 0, v4, vcc_lo
	s_nor_b32 s4, vcc_lo, s0
	s_delay_alu instid0(SALU_CYCLE_1)
	s_and_saveexec_b32 s3, s4
	s_cbranch_execz .LBB66_63
; %bb.60:
	v_mbcnt_lo_u32_b32 v2, exec_lo, 0
	s_mov_b32 s4, exec_lo
	s_delay_alu instid0(VALU_DEP_1)
	v_cmpx_eq_u32_e32 0, v2
	s_cbranch_execz .LBB66_62
; %bb.61:
	v_dual_mov_b32 v2, 0 :: v_dual_mov_b32 v3, s2
	global_atomic_min_i32 v2, v3, s[10:11] scope:SCOPE_DEV
.LBB66_62:
	s_wait_xcnt 0x0
	s_or_b32 exec_lo, exec_lo, s4
	v_mov_b64_e32 v[4:5], 0
	v_mov_b64_e32 v[2:3], 1.0
.LBB66_63:
	s_or_b32 exec_lo, exec_lo, s3
	s_movk_i32 s3, 0x90
	s_delay_alu instid0(SALU_CYCLE_1)
	v_mad_u32_u24 v10, v14, s3, 0x900
	s_and_saveexec_b32 s3, s1
	s_cbranch_execz .LBB66_65
; %bb.64:
	v_mul_f64_e32 v[6:7], v[4:5], v[4:5]
	s_delay_alu instid0(VALU_DEP_1) | instskip(NEXT) | instid1(VALU_DEP_1)
	v_fmac_f64_e32 v[6:7], v[2:3], v[2:3]
	v_div_scale_f64 v[12:13], null, v[6:7], v[6:7], 1.0
	v_div_scale_f64 v[30:31], vcc_lo, 1.0, v[6:7], 1.0
	s_delay_alu instid0(VALU_DEP_2) | instskip(SKIP_1) | instid1(TRANS32_DEP_1)
	v_rcp_f64_e32 v[28:29], v[12:13]
	v_nop
	v_fma_f64 v[20:21], -v[12:13], v[28:29], 1.0
	s_delay_alu instid0(VALU_DEP_1) | instskip(NEXT) | instid1(VALU_DEP_1)
	v_fmac_f64_e32 v[28:29], v[28:29], v[20:21]
	v_fma_f64 v[20:21], -v[12:13], v[28:29], 1.0
	s_delay_alu instid0(VALU_DEP_1)
	v_fmac_f64_e32 v[28:29], v[28:29], v[20:21]
	ds_load_b128 v[20:23], v9
	ds_load_b128 v[24:27], v18
	s_wait_dscnt 0x0
	v_add_f64_e64 v[22:23], v[22:23], -v[26:27]
	v_add_f64_e64 v[20:21], v[20:21], -v[24:25]
	v_mul_f64_e32 v[32:33], v[30:31], v[28:29]
	s_delay_alu instid0(VALU_DEP_3) | instskip(NEXT) | instid1(VALU_DEP_3)
	v_mul_f64_e32 v[24:25], v[4:5], v[22:23]
	v_mul_f64_e64 v[4:5], v[4:5], -v[20:21]
	s_delay_alu instid0(VALU_DEP_3) | instskip(NEXT) | instid1(VALU_DEP_3)
	v_fma_f64 v[12:13], -v[12:13], v[32:33], v[30:31]
	v_fmac_f64_e32 v[24:25], v[20:21], v[2:3]
	s_delay_alu instid0(VALU_DEP_3) | instskip(NEXT) | instid1(VALU_DEP_3)
	v_fmac_f64_e32 v[4:5], v[22:23], v[2:3]
	v_div_fmas_f64 v[12:13], v[12:13], v[28:29], v[32:33]
	s_delay_alu instid0(VALU_DEP_1) | instskip(NEXT) | instid1(VALU_DEP_1)
	v_div_fixup_f64 v[6:7], v[12:13], v[6:7], 1.0
	v_mul_f64_e32 v[2:3], v[6:7], v[24:25]
	s_delay_alu instid0(VALU_DEP_4)
	v_mul_f64_e32 v[4:5], v[6:7], v[4:5]
	ds_store_b128 v9, v[2:5]
	s_wait_storecnt_dscnt 0x0
	ds_load_b128 v[20:23], v10
	ds_load_b128 v[24:27], v16
	s_wait_dscnt 0x0
	v_fmac_f64_e32 v[24:25], v[2:3], v[20:21]
	v_fmac_f64_e32 v[26:27], v[4:5], v[20:21]
	s_delay_alu instid0(VALU_DEP_2) | instskip(NEXT) | instid1(VALU_DEP_2)
	v_fmac_f64_e32 v[24:25], v[4:5], v[22:23]
	v_fma_f64 v[26:27], v[2:3], -v[22:23], v[26:27]
	ds_store_b128 v16, v[24:27]
.LBB66_65:
	s_or_b32 exec_lo, exec_lo, s3
	s_delay_alu instid0(SALU_CYCLE_1)
	s_mov_b32 s1, exec_lo
	s_wait_storecnt_dscnt 0x0
	v_cmpx_eq_u32_e32 1, v15
	s_cbranch_execz .LBB66_72
; %bb.66:
	v_mov_b32_e32 v6, 0
	ds_load_b128 v[2:5], v6 offset:3616
	ds_load_b128 v[20:23], v6 offset:2464
	s_wait_dscnt 0x0
	v_add_f64_e64 v[2:3], v[20:21], -v[2:3]
	v_add_f64_e64 v[6:7], v[22:23], -v[4:5]
	s_delay_alu instid0(VALU_DEP_2) | instskip(SKIP_1) | instid1(VALU_DEP_3)
	v_cmp_gt_f64_e32 vcc_lo, 0, v[2:3]
	v_xor_b32_e32 v4, 0x80000000, v3
	v_xor_b32_e32 v5, 0x80000000, v7
	s_delay_alu instid0(VALU_DEP_2) | instskip(SKIP_1) | instid1(VALU_DEP_3)
	v_dual_cndmask_b32 v3, v3, v4 :: v_dual_mov_b32 v4, v6
	v_cmp_gt_f64_e32 vcc_lo, 0, v[6:7]
	v_cndmask_b32_e32 v5, v7, v5, vcc_lo
	s_delay_alu instid0(VALU_DEP_1)
	v_cmp_gt_f64_e32 vcc_lo, v[2:3], v[4:5]
	s_cbranch_vccnz .LBB66_69
; %bb.67:
	v_cmp_eq_f64_e32 vcc_lo, 0, v[6:7]
	s_cbranch_vccnz .LBB66_164
; %bb.68:
	v_div_scale_f64 v[6:7], null, v[4:5], v[4:5], v[2:3]
	v_div_scale_f64 v[22:23], vcc_lo, v[2:3], v[4:5], v[2:3]
	s_delay_alu instid0(VALU_DEP_2) | instskip(SKIP_1) | instid1(TRANS32_DEP_1)
	v_rcp_f64_e32 v[12:13], v[6:7]
	v_nop
	v_fma_f64 v[20:21], -v[6:7], v[12:13], 1.0
	s_delay_alu instid0(VALU_DEP_1) | instskip(NEXT) | instid1(VALU_DEP_1)
	v_fmac_f64_e32 v[12:13], v[12:13], v[20:21]
	v_fma_f64 v[20:21], -v[6:7], v[12:13], 1.0
	s_delay_alu instid0(VALU_DEP_1) | instskip(NEXT) | instid1(VALU_DEP_1)
	v_fmac_f64_e32 v[12:13], v[12:13], v[20:21]
	v_mul_f64_e32 v[20:21], v[22:23], v[12:13]
	s_delay_alu instid0(VALU_DEP_1) | instskip(NEXT) | instid1(VALU_DEP_1)
	v_fma_f64 v[6:7], -v[6:7], v[20:21], v[22:23]
	v_div_fmas_f64 v[6:7], v[6:7], v[12:13], v[20:21]
	s_delay_alu instid0(VALU_DEP_1) | instskip(NEXT) | instid1(VALU_DEP_1)
	v_div_fixup_f64 v[6:7], v[6:7], v[4:5], v[2:3]
	v_fma_f64 v[6:7], v[6:7], v[6:7], 1.0
	s_delay_alu instid0(VALU_DEP_1) | instskip(SKIP_2) | instid1(SALU_CYCLE_1)
	v_cmp_gt_f64_e32 vcc_lo, 0x10000000, v[6:7]
	s_and_b32 s3, vcc_lo, exec_lo
	s_cselect_b32 s3, 0x100, 0
	v_ldexp_f64 v[6:7], v[6:7], s3
	s_cselect_b32 s3, 0xffffff80, 0
	s_delay_alu instid0(VALU_DEP_1) | instskip(SKIP_1) | instid1(TRANS32_DEP_1)
	v_rsq_f64_e32 v[12:13], v[6:7]
	v_cmp_class_f64_e64 vcc_lo, v[6:7], 0x260
	v_mul_f64_e32 v[20:21], v[6:7], v[12:13]
	v_mul_f64_e32 v[12:13], 0.5, v[12:13]
	s_delay_alu instid0(VALU_DEP_1) | instskip(NEXT) | instid1(VALU_DEP_1)
	v_fma_f64 v[22:23], -v[12:13], v[20:21], 0.5
	v_fmac_f64_e32 v[20:21], v[20:21], v[22:23]
	v_fmac_f64_e32 v[12:13], v[12:13], v[22:23]
	s_delay_alu instid0(VALU_DEP_2) | instskip(NEXT) | instid1(VALU_DEP_1)
	v_fma_f64 v[22:23], -v[20:21], v[20:21], v[6:7]
	v_fmac_f64_e32 v[20:21], v[22:23], v[12:13]
	s_delay_alu instid0(VALU_DEP_1) | instskip(NEXT) | instid1(VALU_DEP_1)
	v_fma_f64 v[22:23], -v[20:21], v[20:21], v[6:7]
	v_fmac_f64_e32 v[20:21], v[22:23], v[12:13]
	s_delay_alu instid0(VALU_DEP_1) | instskip(NEXT) | instid1(VALU_DEP_1)
	v_ldexp_f64 v[12:13], v[20:21], s3
	v_dual_cndmask_b32 v7, v13, v7 :: v_dual_cndmask_b32 v6, v12, v6
	s_delay_alu instid0(VALU_DEP_1)
	v_mul_f64_e32 v[6:7], v[4:5], v[6:7]
	s_cbranch_execz .LBB66_70
	s_branch .LBB66_71
.LBB66_69:
                                        ; implicit-def: $vgpr6_vgpr7
.LBB66_70:
	v_div_scale_f64 v[6:7], null, v[2:3], v[2:3], v[4:5]
	v_div_scale_f64 v[22:23], vcc_lo, v[4:5], v[2:3], v[4:5]
	s_delay_alu instid0(VALU_DEP_2) | instskip(SKIP_1) | instid1(TRANS32_DEP_1)
	v_rcp_f64_e32 v[12:13], v[6:7]
	v_nop
	v_fma_f64 v[20:21], -v[6:7], v[12:13], 1.0
	s_delay_alu instid0(VALU_DEP_1) | instskip(NEXT) | instid1(VALU_DEP_1)
	v_fmac_f64_e32 v[12:13], v[12:13], v[20:21]
	v_fma_f64 v[20:21], -v[6:7], v[12:13], 1.0
	s_delay_alu instid0(VALU_DEP_1) | instskip(NEXT) | instid1(VALU_DEP_1)
	v_fmac_f64_e32 v[12:13], v[12:13], v[20:21]
	v_mul_f64_e32 v[20:21], v[22:23], v[12:13]
	s_delay_alu instid0(VALU_DEP_1) | instskip(NEXT) | instid1(VALU_DEP_1)
	v_fma_f64 v[6:7], -v[6:7], v[20:21], v[22:23]
	v_div_fmas_f64 v[6:7], v[6:7], v[12:13], v[20:21]
	s_delay_alu instid0(VALU_DEP_1) | instskip(NEXT) | instid1(VALU_DEP_1)
	v_div_fixup_f64 v[4:5], v[6:7], v[2:3], v[4:5]
	v_fma_f64 v[4:5], v[4:5], v[4:5], 1.0
	s_delay_alu instid0(VALU_DEP_1) | instskip(SKIP_2) | instid1(SALU_CYCLE_1)
	v_cmp_gt_f64_e32 vcc_lo, 0x10000000, v[4:5]
	s_and_b32 s3, vcc_lo, exec_lo
	s_cselect_b32 s3, 0x100, 0
	v_ldexp_f64 v[4:5], v[4:5], s3
	s_cselect_b32 s3, 0xffffff80, 0
	s_delay_alu instid0(VALU_DEP_1) | instskip(SKIP_1) | instid1(TRANS32_DEP_1)
	v_rsq_f64_e32 v[6:7], v[4:5]
	v_cmp_class_f64_e64 vcc_lo, v[4:5], 0x260
	v_mul_f64_e32 v[12:13], v[4:5], v[6:7]
	v_mul_f64_e32 v[6:7], 0.5, v[6:7]
	s_delay_alu instid0(VALU_DEP_1) | instskip(NEXT) | instid1(VALU_DEP_1)
	v_fma_f64 v[20:21], -v[6:7], v[12:13], 0.5
	v_fmac_f64_e32 v[12:13], v[12:13], v[20:21]
	v_fmac_f64_e32 v[6:7], v[6:7], v[20:21]
	s_delay_alu instid0(VALU_DEP_2) | instskip(NEXT) | instid1(VALU_DEP_1)
	v_fma_f64 v[20:21], -v[12:13], v[12:13], v[4:5]
	v_fmac_f64_e32 v[12:13], v[20:21], v[6:7]
	s_delay_alu instid0(VALU_DEP_1) | instskip(NEXT) | instid1(VALU_DEP_1)
	v_fma_f64 v[20:21], -v[12:13], v[12:13], v[4:5]
	v_fmac_f64_e32 v[12:13], v[20:21], v[6:7]
	s_delay_alu instid0(VALU_DEP_1) | instskip(NEXT) | instid1(VALU_DEP_1)
	v_ldexp_f64 v[6:7], v[12:13], s3
	v_dual_cndmask_b32 v5, v7, v5 :: v_dual_cndmask_b32 v4, v6, v4
	s_delay_alu instid0(VALU_DEP_1)
	v_mul_f64_e32 v[6:7], v[2:3], v[4:5]
.LBB66_71:
	s_delay_alu instid0(VALU_DEP_1) | instskip(SKIP_2) | instid1(SALU_CYCLE_1)
	v_cmp_gt_f64_e32 vcc_lo, 0x10000000, v[6:7]
	s_and_b32 s3, vcc_lo, exec_lo
	s_cselect_b32 s3, 0x100, 0
	v_ldexp_f64 v[2:3], v[6:7], s3
	s_cselect_b32 s3, 0xffffff80, 0
	s_delay_alu instid0(VALU_DEP_1) | instskip(SKIP_1) | instid1(TRANS32_DEP_1)
	v_rsq_f64_e32 v[4:5], v[2:3]
	v_cmp_class_f64_e64 vcc_lo, v[2:3], 0x260
	v_mul_f64_e32 v[6:7], v[2:3], v[4:5]
	v_mul_f64_e32 v[4:5], 0.5, v[4:5]
	s_delay_alu instid0(VALU_DEP_1) | instskip(NEXT) | instid1(VALU_DEP_1)
	v_fma_f64 v[12:13], -v[4:5], v[6:7], 0.5
	v_fmac_f64_e32 v[6:7], v[6:7], v[12:13]
	v_fmac_f64_e32 v[4:5], v[4:5], v[12:13]
	s_delay_alu instid0(VALU_DEP_2) | instskip(NEXT) | instid1(VALU_DEP_1)
	v_fma_f64 v[12:13], -v[6:7], v[6:7], v[2:3]
	v_fmac_f64_e32 v[6:7], v[12:13], v[4:5]
	s_delay_alu instid0(VALU_DEP_1) | instskip(NEXT) | instid1(VALU_DEP_1)
	v_fma_f64 v[12:13], -v[6:7], v[6:7], v[2:3]
	v_fmac_f64_e32 v[6:7], v[12:13], v[4:5]
	v_mov_b32_e32 v4, 0
	s_delay_alu instid0(VALU_DEP_1) | instskip(NEXT) | instid1(VALU_DEP_3)
	v_mov_b32_e32 v5, v4
	v_ldexp_f64 v[6:7], v[6:7], s3
	s_delay_alu instid0(VALU_DEP_1)
	v_dual_cndmask_b32 v3, v7, v3 :: v_dual_cndmask_b32 v2, v6, v2
	ds_store_b128 v4, v[2:5] offset:2464
.LBB66_72:
	s_or_b32 exec_lo, exec_lo, s1
	v_mov_b32_e32 v2, 0
	s_wait_dscnt 0x0
	ds_load_b128 v[2:5], v2 offset:2464
	s_wait_dscnt 0x0
	v_cmp_neq_f64_e32 vcc_lo, 0, v[2:3]
	v_cmp_neq_f64_e64 s1, 0, v[4:5]
	s_or_b32 vcc_lo, vcc_lo, s1
	v_cndmask_b32_e32 v3, 0x3ff00000, v3, vcc_lo
	v_dual_cndmask_b32 v2, 0, v2 :: v_dual_cndmask_b32 v5, 0, v5
	v_cndmask_b32_e32 v4, 0, v4, vcc_lo
	s_nor_b32 s3, vcc_lo, s0
	s_delay_alu instid0(SALU_CYCLE_1)
	s_and_saveexec_b32 s1, s3
	s_cbranch_execz .LBB66_76
; %bb.73:
	v_mbcnt_lo_u32_b32 v2, exec_lo, 0
	s_mov_b32 s3, exec_lo
	s_delay_alu instid0(VALU_DEP_1)
	v_cmpx_eq_u32_e32 0, v2
	s_cbranch_execz .LBB66_75
; %bb.74:
	v_dual_mov_b32 v2, 0 :: v_dual_mov_b32 v3, s2
	global_atomic_min_i32 v2, v3, s[10:11] scope:SCOPE_DEV
.LBB66_75:
	s_wait_xcnt 0x0
	s_or_b32 exec_lo, exec_lo, s3
	v_mov_b64_e32 v[4:5], 0
	v_mov_b64_e32 v[2:3], 1.0
.LBB66_76:
	s_or_b32 exec_lo, exec_lo, s1
	s_delay_alu instid0(SALU_CYCLE_1)
	s_mov_b32 s1, exec_lo
	v_cmpx_lt_u32_e32 1, v15
	s_cbranch_execz .LBB66_78
; %bb.77:
	s_delay_alu instid0(VALU_DEP_2) | instskip(NEXT) | instid1(VALU_DEP_1)
	v_mul_f64_e32 v[6:7], v[4:5], v[4:5]
	v_fmac_f64_e32 v[6:7], v[2:3], v[2:3]
	s_delay_alu instid0(VALU_DEP_1) | instskip(SKIP_1) | instid1(VALU_DEP_2)
	v_div_scale_f64 v[12:13], null, v[6:7], v[6:7], 1.0
	v_div_scale_f64 v[30:31], vcc_lo, 1.0, v[6:7], 1.0
	v_rcp_f64_e32 v[28:29], v[12:13]
	v_nop
	s_delay_alu instid0(TRANS32_DEP_1) | instskip(NEXT) | instid1(VALU_DEP_1)
	v_fma_f64 v[20:21], -v[12:13], v[28:29], 1.0
	v_fmac_f64_e32 v[28:29], v[28:29], v[20:21]
	s_delay_alu instid0(VALU_DEP_1) | instskip(NEXT) | instid1(VALU_DEP_1)
	v_fma_f64 v[20:21], -v[12:13], v[28:29], 1.0
	v_fmac_f64_e32 v[28:29], v[28:29], v[20:21]
	ds_load_b128 v[20:23], v9 offset:16
	ds_load_b128 v[24:27], v18 offset:16
	s_wait_dscnt 0x0
	v_add_f64_e64 v[22:23], v[22:23], -v[26:27]
	v_add_f64_e64 v[20:21], v[20:21], -v[24:25]
	v_mul_f64_e32 v[32:33], v[30:31], v[28:29]
	s_delay_alu instid0(VALU_DEP_3) | instskip(NEXT) | instid1(VALU_DEP_3)
	v_mul_f64_e32 v[24:25], v[4:5], v[22:23]
	v_mul_f64_e64 v[4:5], v[4:5], -v[20:21]
	s_delay_alu instid0(VALU_DEP_3) | instskip(NEXT) | instid1(VALU_DEP_3)
	v_fma_f64 v[12:13], -v[12:13], v[32:33], v[30:31]
	v_fmac_f64_e32 v[24:25], v[20:21], v[2:3]
	s_delay_alu instid0(VALU_DEP_3) | instskip(NEXT) | instid1(VALU_DEP_3)
	v_fmac_f64_e32 v[4:5], v[22:23], v[2:3]
	v_div_fmas_f64 v[12:13], v[12:13], v[28:29], v[32:33]
	s_delay_alu instid0(VALU_DEP_1) | instskip(NEXT) | instid1(VALU_DEP_1)
	v_div_fixup_f64 v[6:7], v[12:13], v[6:7], 1.0
	v_mul_f64_e32 v[2:3], v[6:7], v[24:25]
	s_delay_alu instid0(VALU_DEP_4)
	v_mul_f64_e32 v[4:5], v[6:7], v[4:5]
	ds_store_b128 v9, v[2:5] offset:16
	s_wait_storecnt_dscnt 0x0
	ds_load_b128 v[20:23], v10 offset:16
	ds_load_b128 v[24:27], v16
	s_wait_dscnt 0x0
	v_fmac_f64_e32 v[24:25], v[2:3], v[20:21]
	v_fmac_f64_e32 v[26:27], v[4:5], v[20:21]
	s_delay_alu instid0(VALU_DEP_2) | instskip(NEXT) | instid1(VALU_DEP_2)
	v_fmac_f64_e32 v[24:25], v[4:5], v[22:23]
	v_fma_f64 v[26:27], v[2:3], -v[22:23], v[26:27]
	ds_store_b128 v16, v[24:27]
.LBB66_78:
	s_or_b32 exec_lo, exec_lo, s1
	s_delay_alu instid0(SALU_CYCLE_1)
	s_mov_b32 s1, exec_lo
	s_wait_storecnt_dscnt 0x0
	v_cmpx_eq_u32_e32 2, v15
	s_cbranch_execz .LBB66_85
; %bb.79:
	v_mov_b32_e32 v6, 0
	ds_load_b128 v[2:5], v6 offset:3776
	ds_load_b128 v[20:23], v6 offset:2624
	s_wait_dscnt 0x0
	v_add_f64_e64 v[2:3], v[20:21], -v[2:3]
	v_add_f64_e64 v[6:7], v[22:23], -v[4:5]
	s_delay_alu instid0(VALU_DEP_2) | instskip(SKIP_1) | instid1(VALU_DEP_3)
	v_cmp_gt_f64_e32 vcc_lo, 0, v[2:3]
	v_xor_b32_e32 v4, 0x80000000, v3
	v_xor_b32_e32 v5, 0x80000000, v7
	s_delay_alu instid0(VALU_DEP_2) | instskip(SKIP_1) | instid1(VALU_DEP_3)
	v_dual_cndmask_b32 v3, v3, v4 :: v_dual_mov_b32 v4, v6
	v_cmp_gt_f64_e32 vcc_lo, 0, v[6:7]
	v_cndmask_b32_e32 v5, v7, v5, vcc_lo
	s_delay_alu instid0(VALU_DEP_1)
	v_cmp_gt_f64_e32 vcc_lo, v[2:3], v[4:5]
	s_cbranch_vccnz .LBB66_82
; %bb.80:
	v_cmp_eq_f64_e32 vcc_lo, 0, v[6:7]
	s_cbranch_vccnz .LBB66_165
; %bb.81:
	v_div_scale_f64 v[6:7], null, v[4:5], v[4:5], v[2:3]
	v_div_scale_f64 v[22:23], vcc_lo, v[2:3], v[4:5], v[2:3]
	s_delay_alu instid0(VALU_DEP_2) | instskip(SKIP_1) | instid1(TRANS32_DEP_1)
	v_rcp_f64_e32 v[12:13], v[6:7]
	v_nop
	v_fma_f64 v[20:21], -v[6:7], v[12:13], 1.0
	s_delay_alu instid0(VALU_DEP_1) | instskip(NEXT) | instid1(VALU_DEP_1)
	v_fmac_f64_e32 v[12:13], v[12:13], v[20:21]
	v_fma_f64 v[20:21], -v[6:7], v[12:13], 1.0
	s_delay_alu instid0(VALU_DEP_1) | instskip(NEXT) | instid1(VALU_DEP_1)
	v_fmac_f64_e32 v[12:13], v[12:13], v[20:21]
	v_mul_f64_e32 v[20:21], v[22:23], v[12:13]
	s_delay_alu instid0(VALU_DEP_1) | instskip(NEXT) | instid1(VALU_DEP_1)
	v_fma_f64 v[6:7], -v[6:7], v[20:21], v[22:23]
	v_div_fmas_f64 v[6:7], v[6:7], v[12:13], v[20:21]
	s_delay_alu instid0(VALU_DEP_1) | instskip(NEXT) | instid1(VALU_DEP_1)
	v_div_fixup_f64 v[6:7], v[6:7], v[4:5], v[2:3]
	v_fma_f64 v[6:7], v[6:7], v[6:7], 1.0
	s_delay_alu instid0(VALU_DEP_1) | instskip(SKIP_2) | instid1(SALU_CYCLE_1)
	v_cmp_gt_f64_e32 vcc_lo, 0x10000000, v[6:7]
	s_and_b32 s3, vcc_lo, exec_lo
	s_cselect_b32 s3, 0x100, 0
	v_ldexp_f64 v[6:7], v[6:7], s3
	s_cselect_b32 s3, 0xffffff80, 0
	s_delay_alu instid0(VALU_DEP_1) | instskip(SKIP_1) | instid1(TRANS32_DEP_1)
	v_rsq_f64_e32 v[12:13], v[6:7]
	v_cmp_class_f64_e64 vcc_lo, v[6:7], 0x260
	v_mul_f64_e32 v[20:21], v[6:7], v[12:13]
	v_mul_f64_e32 v[12:13], 0.5, v[12:13]
	s_delay_alu instid0(VALU_DEP_1) | instskip(NEXT) | instid1(VALU_DEP_1)
	v_fma_f64 v[22:23], -v[12:13], v[20:21], 0.5
	v_fmac_f64_e32 v[20:21], v[20:21], v[22:23]
	v_fmac_f64_e32 v[12:13], v[12:13], v[22:23]
	s_delay_alu instid0(VALU_DEP_2) | instskip(NEXT) | instid1(VALU_DEP_1)
	v_fma_f64 v[22:23], -v[20:21], v[20:21], v[6:7]
	v_fmac_f64_e32 v[20:21], v[22:23], v[12:13]
	s_delay_alu instid0(VALU_DEP_1) | instskip(NEXT) | instid1(VALU_DEP_1)
	v_fma_f64 v[22:23], -v[20:21], v[20:21], v[6:7]
	v_fmac_f64_e32 v[20:21], v[22:23], v[12:13]
	s_delay_alu instid0(VALU_DEP_1) | instskip(NEXT) | instid1(VALU_DEP_1)
	v_ldexp_f64 v[12:13], v[20:21], s3
	v_dual_cndmask_b32 v7, v13, v7 :: v_dual_cndmask_b32 v6, v12, v6
	s_delay_alu instid0(VALU_DEP_1)
	v_mul_f64_e32 v[6:7], v[4:5], v[6:7]
	s_cbranch_execz .LBB66_83
	s_branch .LBB66_84
.LBB66_82:
                                        ; implicit-def: $vgpr6_vgpr7
.LBB66_83:
	v_div_scale_f64 v[6:7], null, v[2:3], v[2:3], v[4:5]
	v_div_scale_f64 v[22:23], vcc_lo, v[4:5], v[2:3], v[4:5]
	s_delay_alu instid0(VALU_DEP_2) | instskip(SKIP_1) | instid1(TRANS32_DEP_1)
	v_rcp_f64_e32 v[12:13], v[6:7]
	v_nop
	v_fma_f64 v[20:21], -v[6:7], v[12:13], 1.0
	s_delay_alu instid0(VALU_DEP_1) | instskip(NEXT) | instid1(VALU_DEP_1)
	v_fmac_f64_e32 v[12:13], v[12:13], v[20:21]
	v_fma_f64 v[20:21], -v[6:7], v[12:13], 1.0
	s_delay_alu instid0(VALU_DEP_1) | instskip(NEXT) | instid1(VALU_DEP_1)
	v_fmac_f64_e32 v[12:13], v[12:13], v[20:21]
	v_mul_f64_e32 v[20:21], v[22:23], v[12:13]
	s_delay_alu instid0(VALU_DEP_1) | instskip(NEXT) | instid1(VALU_DEP_1)
	v_fma_f64 v[6:7], -v[6:7], v[20:21], v[22:23]
	v_div_fmas_f64 v[6:7], v[6:7], v[12:13], v[20:21]
	s_delay_alu instid0(VALU_DEP_1) | instskip(NEXT) | instid1(VALU_DEP_1)
	v_div_fixup_f64 v[4:5], v[6:7], v[2:3], v[4:5]
	v_fma_f64 v[4:5], v[4:5], v[4:5], 1.0
	s_delay_alu instid0(VALU_DEP_1) | instskip(SKIP_2) | instid1(SALU_CYCLE_1)
	v_cmp_gt_f64_e32 vcc_lo, 0x10000000, v[4:5]
	s_and_b32 s3, vcc_lo, exec_lo
	s_cselect_b32 s3, 0x100, 0
	v_ldexp_f64 v[4:5], v[4:5], s3
	s_cselect_b32 s3, 0xffffff80, 0
	s_delay_alu instid0(VALU_DEP_1) | instskip(SKIP_1) | instid1(TRANS32_DEP_1)
	v_rsq_f64_e32 v[6:7], v[4:5]
	v_cmp_class_f64_e64 vcc_lo, v[4:5], 0x260
	v_mul_f64_e32 v[12:13], v[4:5], v[6:7]
	v_mul_f64_e32 v[6:7], 0.5, v[6:7]
	s_delay_alu instid0(VALU_DEP_1) | instskip(NEXT) | instid1(VALU_DEP_1)
	v_fma_f64 v[20:21], -v[6:7], v[12:13], 0.5
	v_fmac_f64_e32 v[12:13], v[12:13], v[20:21]
	v_fmac_f64_e32 v[6:7], v[6:7], v[20:21]
	s_delay_alu instid0(VALU_DEP_2) | instskip(NEXT) | instid1(VALU_DEP_1)
	v_fma_f64 v[20:21], -v[12:13], v[12:13], v[4:5]
	v_fmac_f64_e32 v[12:13], v[20:21], v[6:7]
	s_delay_alu instid0(VALU_DEP_1) | instskip(NEXT) | instid1(VALU_DEP_1)
	v_fma_f64 v[20:21], -v[12:13], v[12:13], v[4:5]
	v_fmac_f64_e32 v[12:13], v[20:21], v[6:7]
	s_delay_alu instid0(VALU_DEP_1) | instskip(NEXT) | instid1(VALU_DEP_1)
	v_ldexp_f64 v[6:7], v[12:13], s3
	v_dual_cndmask_b32 v5, v7, v5 :: v_dual_cndmask_b32 v4, v6, v4
	s_delay_alu instid0(VALU_DEP_1)
	v_mul_f64_e32 v[6:7], v[2:3], v[4:5]
.LBB66_84:
	s_delay_alu instid0(VALU_DEP_1) | instskip(SKIP_2) | instid1(SALU_CYCLE_1)
	v_cmp_gt_f64_e32 vcc_lo, 0x10000000, v[6:7]
	s_and_b32 s3, vcc_lo, exec_lo
	s_cselect_b32 s3, 0x100, 0
	v_ldexp_f64 v[2:3], v[6:7], s3
	s_cselect_b32 s3, 0xffffff80, 0
	s_delay_alu instid0(VALU_DEP_1) | instskip(SKIP_1) | instid1(TRANS32_DEP_1)
	v_rsq_f64_e32 v[4:5], v[2:3]
	v_cmp_class_f64_e64 vcc_lo, v[2:3], 0x260
	v_mul_f64_e32 v[6:7], v[2:3], v[4:5]
	v_mul_f64_e32 v[4:5], 0.5, v[4:5]
	s_delay_alu instid0(VALU_DEP_1) | instskip(NEXT) | instid1(VALU_DEP_1)
	v_fma_f64 v[12:13], -v[4:5], v[6:7], 0.5
	v_fmac_f64_e32 v[6:7], v[6:7], v[12:13]
	v_fmac_f64_e32 v[4:5], v[4:5], v[12:13]
	s_delay_alu instid0(VALU_DEP_2) | instskip(NEXT) | instid1(VALU_DEP_1)
	v_fma_f64 v[12:13], -v[6:7], v[6:7], v[2:3]
	v_fmac_f64_e32 v[6:7], v[12:13], v[4:5]
	s_delay_alu instid0(VALU_DEP_1) | instskip(NEXT) | instid1(VALU_DEP_1)
	v_fma_f64 v[12:13], -v[6:7], v[6:7], v[2:3]
	v_fmac_f64_e32 v[6:7], v[12:13], v[4:5]
	v_mov_b32_e32 v4, 0
	s_delay_alu instid0(VALU_DEP_1) | instskip(NEXT) | instid1(VALU_DEP_3)
	v_mov_b32_e32 v5, v4
	v_ldexp_f64 v[6:7], v[6:7], s3
	s_delay_alu instid0(VALU_DEP_1)
	v_dual_cndmask_b32 v3, v7, v3 :: v_dual_cndmask_b32 v2, v6, v2
	ds_store_b128 v4, v[2:5] offset:2624
.LBB66_85:
	s_or_b32 exec_lo, exec_lo, s1
	v_mov_b32_e32 v2, 0
	s_wait_dscnt 0x0
	ds_load_b128 v[2:5], v2 offset:2624
	s_wait_dscnt 0x0
	v_cmp_neq_f64_e32 vcc_lo, 0, v[2:3]
	v_cmp_neq_f64_e64 s1, 0, v[4:5]
	s_or_b32 vcc_lo, vcc_lo, s1
	v_cndmask_b32_e32 v3, 0x3ff00000, v3, vcc_lo
	v_dual_cndmask_b32 v2, 0, v2 :: v_dual_cndmask_b32 v5, 0, v5
	v_cndmask_b32_e32 v4, 0, v4, vcc_lo
	s_nor_b32 s3, vcc_lo, s0
	s_delay_alu instid0(SALU_CYCLE_1)
	s_and_saveexec_b32 s1, s3
	s_cbranch_execz .LBB66_89
; %bb.86:
	v_mbcnt_lo_u32_b32 v2, exec_lo, 0
	s_mov_b32 s3, exec_lo
	s_delay_alu instid0(VALU_DEP_1)
	v_cmpx_eq_u32_e32 0, v2
	s_cbranch_execz .LBB66_88
; %bb.87:
	v_dual_mov_b32 v2, 0 :: v_dual_mov_b32 v3, s2
	global_atomic_min_i32 v2, v3, s[10:11] scope:SCOPE_DEV
.LBB66_88:
	s_wait_xcnt 0x0
	s_or_b32 exec_lo, exec_lo, s3
	v_mov_b64_e32 v[4:5], 0
	v_mov_b64_e32 v[2:3], 1.0
.LBB66_89:
	s_or_b32 exec_lo, exec_lo, s1
	s_delay_alu instid0(SALU_CYCLE_1)
	s_mov_b32 s1, exec_lo
	v_cmpx_lt_u32_e32 2, v15
	s_cbranch_execz .LBB66_91
; %bb.90:
	s_delay_alu instid0(VALU_DEP_2) | instskip(NEXT) | instid1(VALU_DEP_1)
	v_mul_f64_e32 v[6:7], v[4:5], v[4:5]
	v_fmac_f64_e32 v[6:7], v[2:3], v[2:3]
	s_delay_alu instid0(VALU_DEP_1) | instskip(SKIP_1) | instid1(VALU_DEP_2)
	v_div_scale_f64 v[12:13], null, v[6:7], v[6:7], 1.0
	v_div_scale_f64 v[30:31], vcc_lo, 1.0, v[6:7], 1.0
	v_rcp_f64_e32 v[28:29], v[12:13]
	v_nop
	s_delay_alu instid0(TRANS32_DEP_1) | instskip(NEXT) | instid1(VALU_DEP_1)
	v_fma_f64 v[20:21], -v[12:13], v[28:29], 1.0
	v_fmac_f64_e32 v[28:29], v[28:29], v[20:21]
	s_delay_alu instid0(VALU_DEP_1) | instskip(NEXT) | instid1(VALU_DEP_1)
	v_fma_f64 v[20:21], -v[12:13], v[28:29], 1.0
	v_fmac_f64_e32 v[28:29], v[28:29], v[20:21]
	ds_load_b128 v[20:23], v9 offset:32
	ds_load_b128 v[24:27], v18 offset:32
	s_wait_dscnt 0x0
	v_add_f64_e64 v[22:23], v[22:23], -v[26:27]
	v_add_f64_e64 v[20:21], v[20:21], -v[24:25]
	v_mul_f64_e32 v[32:33], v[30:31], v[28:29]
	s_delay_alu instid0(VALU_DEP_3) | instskip(NEXT) | instid1(VALU_DEP_3)
	v_mul_f64_e32 v[24:25], v[4:5], v[22:23]
	v_mul_f64_e64 v[4:5], v[4:5], -v[20:21]
	s_delay_alu instid0(VALU_DEP_3) | instskip(NEXT) | instid1(VALU_DEP_3)
	v_fma_f64 v[12:13], -v[12:13], v[32:33], v[30:31]
	v_fmac_f64_e32 v[24:25], v[20:21], v[2:3]
	s_delay_alu instid0(VALU_DEP_3) | instskip(NEXT) | instid1(VALU_DEP_3)
	v_fmac_f64_e32 v[4:5], v[22:23], v[2:3]
	v_div_fmas_f64 v[12:13], v[12:13], v[28:29], v[32:33]
	s_delay_alu instid0(VALU_DEP_1) | instskip(NEXT) | instid1(VALU_DEP_1)
	v_div_fixup_f64 v[6:7], v[12:13], v[6:7], 1.0
	v_mul_f64_e32 v[2:3], v[6:7], v[24:25]
	s_delay_alu instid0(VALU_DEP_4)
	v_mul_f64_e32 v[4:5], v[6:7], v[4:5]
	ds_store_b128 v9, v[2:5] offset:32
	s_wait_storecnt_dscnt 0x0
	ds_load_b128 v[20:23], v10 offset:32
	ds_load_b128 v[24:27], v16
	s_wait_dscnt 0x0
	v_fmac_f64_e32 v[24:25], v[2:3], v[20:21]
	v_fmac_f64_e32 v[26:27], v[4:5], v[20:21]
	s_delay_alu instid0(VALU_DEP_2) | instskip(NEXT) | instid1(VALU_DEP_2)
	v_fmac_f64_e32 v[24:25], v[4:5], v[22:23]
	v_fma_f64 v[26:27], v[2:3], -v[22:23], v[26:27]
	ds_store_b128 v16, v[24:27]
.LBB66_91:
	s_or_b32 exec_lo, exec_lo, s1
	s_delay_alu instid0(SALU_CYCLE_1)
	s_mov_b32 s1, exec_lo
	s_wait_storecnt_dscnt 0x0
	v_cmpx_eq_u32_e32 3, v15
	s_cbranch_execz .LBB66_98
; %bb.92:
	v_mov_b32_e32 v6, 0
	ds_load_b128 v[2:5], v6 offset:3936
	ds_load_b128 v[20:23], v6 offset:2784
	s_wait_dscnt 0x0
	v_add_f64_e64 v[2:3], v[20:21], -v[2:3]
	v_add_f64_e64 v[6:7], v[22:23], -v[4:5]
	s_delay_alu instid0(VALU_DEP_2) | instskip(SKIP_1) | instid1(VALU_DEP_3)
	v_cmp_gt_f64_e32 vcc_lo, 0, v[2:3]
	v_xor_b32_e32 v4, 0x80000000, v3
	v_xor_b32_e32 v5, 0x80000000, v7
	s_delay_alu instid0(VALU_DEP_2) | instskip(SKIP_1) | instid1(VALU_DEP_3)
	v_dual_cndmask_b32 v3, v3, v4 :: v_dual_mov_b32 v4, v6
	v_cmp_gt_f64_e32 vcc_lo, 0, v[6:7]
	v_cndmask_b32_e32 v5, v7, v5, vcc_lo
	s_delay_alu instid0(VALU_DEP_1)
	v_cmp_gt_f64_e32 vcc_lo, v[2:3], v[4:5]
	s_cbranch_vccnz .LBB66_95
; %bb.93:
	v_cmp_eq_f64_e32 vcc_lo, 0, v[6:7]
	s_cbranch_vccnz .LBB66_166
; %bb.94:
	v_div_scale_f64 v[6:7], null, v[4:5], v[4:5], v[2:3]
	v_div_scale_f64 v[22:23], vcc_lo, v[2:3], v[4:5], v[2:3]
	s_delay_alu instid0(VALU_DEP_2) | instskip(SKIP_1) | instid1(TRANS32_DEP_1)
	v_rcp_f64_e32 v[12:13], v[6:7]
	v_nop
	v_fma_f64 v[20:21], -v[6:7], v[12:13], 1.0
	s_delay_alu instid0(VALU_DEP_1) | instskip(NEXT) | instid1(VALU_DEP_1)
	v_fmac_f64_e32 v[12:13], v[12:13], v[20:21]
	v_fma_f64 v[20:21], -v[6:7], v[12:13], 1.0
	s_delay_alu instid0(VALU_DEP_1) | instskip(NEXT) | instid1(VALU_DEP_1)
	v_fmac_f64_e32 v[12:13], v[12:13], v[20:21]
	v_mul_f64_e32 v[20:21], v[22:23], v[12:13]
	s_delay_alu instid0(VALU_DEP_1) | instskip(NEXT) | instid1(VALU_DEP_1)
	v_fma_f64 v[6:7], -v[6:7], v[20:21], v[22:23]
	v_div_fmas_f64 v[6:7], v[6:7], v[12:13], v[20:21]
	s_delay_alu instid0(VALU_DEP_1) | instskip(NEXT) | instid1(VALU_DEP_1)
	v_div_fixup_f64 v[6:7], v[6:7], v[4:5], v[2:3]
	v_fma_f64 v[6:7], v[6:7], v[6:7], 1.0
	s_delay_alu instid0(VALU_DEP_1) | instskip(SKIP_2) | instid1(SALU_CYCLE_1)
	v_cmp_gt_f64_e32 vcc_lo, 0x10000000, v[6:7]
	s_and_b32 s3, vcc_lo, exec_lo
	s_cselect_b32 s3, 0x100, 0
	v_ldexp_f64 v[6:7], v[6:7], s3
	s_cselect_b32 s3, 0xffffff80, 0
	s_delay_alu instid0(VALU_DEP_1) | instskip(SKIP_1) | instid1(TRANS32_DEP_1)
	v_rsq_f64_e32 v[12:13], v[6:7]
	v_cmp_class_f64_e64 vcc_lo, v[6:7], 0x260
	v_mul_f64_e32 v[20:21], v[6:7], v[12:13]
	v_mul_f64_e32 v[12:13], 0.5, v[12:13]
	s_delay_alu instid0(VALU_DEP_1) | instskip(NEXT) | instid1(VALU_DEP_1)
	v_fma_f64 v[22:23], -v[12:13], v[20:21], 0.5
	v_fmac_f64_e32 v[20:21], v[20:21], v[22:23]
	v_fmac_f64_e32 v[12:13], v[12:13], v[22:23]
	s_delay_alu instid0(VALU_DEP_2) | instskip(NEXT) | instid1(VALU_DEP_1)
	v_fma_f64 v[22:23], -v[20:21], v[20:21], v[6:7]
	v_fmac_f64_e32 v[20:21], v[22:23], v[12:13]
	s_delay_alu instid0(VALU_DEP_1) | instskip(NEXT) | instid1(VALU_DEP_1)
	v_fma_f64 v[22:23], -v[20:21], v[20:21], v[6:7]
	v_fmac_f64_e32 v[20:21], v[22:23], v[12:13]
	s_delay_alu instid0(VALU_DEP_1) | instskip(NEXT) | instid1(VALU_DEP_1)
	v_ldexp_f64 v[12:13], v[20:21], s3
	v_dual_cndmask_b32 v7, v13, v7 :: v_dual_cndmask_b32 v6, v12, v6
	s_delay_alu instid0(VALU_DEP_1)
	v_mul_f64_e32 v[6:7], v[4:5], v[6:7]
	s_cbranch_execz .LBB66_96
	s_branch .LBB66_97
.LBB66_95:
                                        ; implicit-def: $vgpr6_vgpr7
.LBB66_96:
	v_div_scale_f64 v[6:7], null, v[2:3], v[2:3], v[4:5]
	v_div_scale_f64 v[22:23], vcc_lo, v[4:5], v[2:3], v[4:5]
	s_delay_alu instid0(VALU_DEP_2) | instskip(SKIP_1) | instid1(TRANS32_DEP_1)
	v_rcp_f64_e32 v[12:13], v[6:7]
	v_nop
	v_fma_f64 v[20:21], -v[6:7], v[12:13], 1.0
	s_delay_alu instid0(VALU_DEP_1) | instskip(NEXT) | instid1(VALU_DEP_1)
	v_fmac_f64_e32 v[12:13], v[12:13], v[20:21]
	v_fma_f64 v[20:21], -v[6:7], v[12:13], 1.0
	s_delay_alu instid0(VALU_DEP_1) | instskip(NEXT) | instid1(VALU_DEP_1)
	v_fmac_f64_e32 v[12:13], v[12:13], v[20:21]
	v_mul_f64_e32 v[20:21], v[22:23], v[12:13]
	s_delay_alu instid0(VALU_DEP_1) | instskip(NEXT) | instid1(VALU_DEP_1)
	v_fma_f64 v[6:7], -v[6:7], v[20:21], v[22:23]
	v_div_fmas_f64 v[6:7], v[6:7], v[12:13], v[20:21]
	s_delay_alu instid0(VALU_DEP_1) | instskip(NEXT) | instid1(VALU_DEP_1)
	v_div_fixup_f64 v[4:5], v[6:7], v[2:3], v[4:5]
	v_fma_f64 v[4:5], v[4:5], v[4:5], 1.0
	s_delay_alu instid0(VALU_DEP_1) | instskip(SKIP_2) | instid1(SALU_CYCLE_1)
	v_cmp_gt_f64_e32 vcc_lo, 0x10000000, v[4:5]
	s_and_b32 s3, vcc_lo, exec_lo
	s_cselect_b32 s3, 0x100, 0
	v_ldexp_f64 v[4:5], v[4:5], s3
	s_cselect_b32 s3, 0xffffff80, 0
	s_delay_alu instid0(VALU_DEP_1) | instskip(SKIP_1) | instid1(TRANS32_DEP_1)
	v_rsq_f64_e32 v[6:7], v[4:5]
	v_cmp_class_f64_e64 vcc_lo, v[4:5], 0x260
	v_mul_f64_e32 v[12:13], v[4:5], v[6:7]
	v_mul_f64_e32 v[6:7], 0.5, v[6:7]
	s_delay_alu instid0(VALU_DEP_1) | instskip(NEXT) | instid1(VALU_DEP_1)
	v_fma_f64 v[20:21], -v[6:7], v[12:13], 0.5
	v_fmac_f64_e32 v[12:13], v[12:13], v[20:21]
	v_fmac_f64_e32 v[6:7], v[6:7], v[20:21]
	s_delay_alu instid0(VALU_DEP_2) | instskip(NEXT) | instid1(VALU_DEP_1)
	v_fma_f64 v[20:21], -v[12:13], v[12:13], v[4:5]
	v_fmac_f64_e32 v[12:13], v[20:21], v[6:7]
	s_delay_alu instid0(VALU_DEP_1) | instskip(NEXT) | instid1(VALU_DEP_1)
	v_fma_f64 v[20:21], -v[12:13], v[12:13], v[4:5]
	v_fmac_f64_e32 v[12:13], v[20:21], v[6:7]
	s_delay_alu instid0(VALU_DEP_1) | instskip(NEXT) | instid1(VALU_DEP_1)
	v_ldexp_f64 v[6:7], v[12:13], s3
	v_dual_cndmask_b32 v5, v7, v5 :: v_dual_cndmask_b32 v4, v6, v4
	s_delay_alu instid0(VALU_DEP_1)
	v_mul_f64_e32 v[6:7], v[2:3], v[4:5]
.LBB66_97:
	s_delay_alu instid0(VALU_DEP_1) | instskip(SKIP_2) | instid1(SALU_CYCLE_1)
	v_cmp_gt_f64_e32 vcc_lo, 0x10000000, v[6:7]
	s_and_b32 s3, vcc_lo, exec_lo
	s_cselect_b32 s3, 0x100, 0
	v_ldexp_f64 v[2:3], v[6:7], s3
	s_cselect_b32 s3, 0xffffff80, 0
	s_delay_alu instid0(VALU_DEP_1) | instskip(SKIP_1) | instid1(TRANS32_DEP_1)
	v_rsq_f64_e32 v[4:5], v[2:3]
	v_cmp_class_f64_e64 vcc_lo, v[2:3], 0x260
	v_mul_f64_e32 v[6:7], v[2:3], v[4:5]
	v_mul_f64_e32 v[4:5], 0.5, v[4:5]
	s_delay_alu instid0(VALU_DEP_1) | instskip(NEXT) | instid1(VALU_DEP_1)
	v_fma_f64 v[12:13], -v[4:5], v[6:7], 0.5
	v_fmac_f64_e32 v[6:7], v[6:7], v[12:13]
	v_fmac_f64_e32 v[4:5], v[4:5], v[12:13]
	s_delay_alu instid0(VALU_DEP_2) | instskip(NEXT) | instid1(VALU_DEP_1)
	v_fma_f64 v[12:13], -v[6:7], v[6:7], v[2:3]
	v_fmac_f64_e32 v[6:7], v[12:13], v[4:5]
	s_delay_alu instid0(VALU_DEP_1) | instskip(NEXT) | instid1(VALU_DEP_1)
	v_fma_f64 v[12:13], -v[6:7], v[6:7], v[2:3]
	v_fmac_f64_e32 v[6:7], v[12:13], v[4:5]
	v_mov_b32_e32 v4, 0
	s_delay_alu instid0(VALU_DEP_1) | instskip(NEXT) | instid1(VALU_DEP_3)
	v_mov_b32_e32 v5, v4
	v_ldexp_f64 v[6:7], v[6:7], s3
	s_delay_alu instid0(VALU_DEP_1)
	v_dual_cndmask_b32 v3, v7, v3 :: v_dual_cndmask_b32 v2, v6, v2
	ds_store_b128 v4, v[2:5] offset:2784
.LBB66_98:
	s_or_b32 exec_lo, exec_lo, s1
	v_mov_b32_e32 v2, 0
	s_wait_dscnt 0x0
	ds_load_b128 v[2:5], v2 offset:2784
	s_wait_dscnt 0x0
	v_cmp_neq_f64_e32 vcc_lo, 0, v[2:3]
	v_cmp_neq_f64_e64 s1, 0, v[4:5]
	s_or_b32 vcc_lo, vcc_lo, s1
	v_cndmask_b32_e32 v3, 0x3ff00000, v3, vcc_lo
	v_dual_cndmask_b32 v2, 0, v2 :: v_dual_cndmask_b32 v5, 0, v5
	v_cndmask_b32_e32 v4, 0, v4, vcc_lo
	s_nor_b32 s3, vcc_lo, s0
	s_delay_alu instid0(SALU_CYCLE_1)
	s_and_saveexec_b32 s1, s3
	s_cbranch_execz .LBB66_102
; %bb.99:
	v_mbcnt_lo_u32_b32 v2, exec_lo, 0
	s_mov_b32 s3, exec_lo
	s_delay_alu instid0(VALU_DEP_1)
	v_cmpx_eq_u32_e32 0, v2
	s_cbranch_execz .LBB66_101
; %bb.100:
	v_dual_mov_b32 v2, 0 :: v_dual_mov_b32 v3, s2
	global_atomic_min_i32 v2, v3, s[10:11] scope:SCOPE_DEV
.LBB66_101:
	s_wait_xcnt 0x0
	s_or_b32 exec_lo, exec_lo, s3
	v_mov_b64_e32 v[4:5], 0
	v_mov_b64_e32 v[2:3], 1.0
.LBB66_102:
	s_or_b32 exec_lo, exec_lo, s1
	s_delay_alu instid0(SALU_CYCLE_1)
	s_mov_b32 s1, exec_lo
	v_cmpx_lt_u32_e32 3, v15
	s_cbranch_execz .LBB66_104
; %bb.103:
	s_delay_alu instid0(VALU_DEP_2) | instskip(NEXT) | instid1(VALU_DEP_1)
	v_mul_f64_e32 v[6:7], v[4:5], v[4:5]
	v_fmac_f64_e32 v[6:7], v[2:3], v[2:3]
	s_delay_alu instid0(VALU_DEP_1) | instskip(SKIP_1) | instid1(VALU_DEP_2)
	v_div_scale_f64 v[12:13], null, v[6:7], v[6:7], 1.0
	v_div_scale_f64 v[30:31], vcc_lo, 1.0, v[6:7], 1.0
	v_rcp_f64_e32 v[28:29], v[12:13]
	v_nop
	s_delay_alu instid0(TRANS32_DEP_1) | instskip(NEXT) | instid1(VALU_DEP_1)
	v_fma_f64 v[20:21], -v[12:13], v[28:29], 1.0
	v_fmac_f64_e32 v[28:29], v[28:29], v[20:21]
	s_delay_alu instid0(VALU_DEP_1) | instskip(NEXT) | instid1(VALU_DEP_1)
	v_fma_f64 v[20:21], -v[12:13], v[28:29], 1.0
	v_fmac_f64_e32 v[28:29], v[28:29], v[20:21]
	ds_load_b128 v[20:23], v9 offset:48
	ds_load_b128 v[24:27], v18 offset:48
	s_wait_dscnt 0x0
	v_add_f64_e64 v[22:23], v[22:23], -v[26:27]
	v_add_f64_e64 v[20:21], v[20:21], -v[24:25]
	v_mul_f64_e32 v[32:33], v[30:31], v[28:29]
	s_delay_alu instid0(VALU_DEP_3) | instskip(NEXT) | instid1(VALU_DEP_3)
	v_mul_f64_e32 v[24:25], v[4:5], v[22:23]
	v_mul_f64_e64 v[4:5], v[4:5], -v[20:21]
	s_delay_alu instid0(VALU_DEP_3) | instskip(NEXT) | instid1(VALU_DEP_3)
	v_fma_f64 v[12:13], -v[12:13], v[32:33], v[30:31]
	v_fmac_f64_e32 v[24:25], v[20:21], v[2:3]
	s_delay_alu instid0(VALU_DEP_3) | instskip(NEXT) | instid1(VALU_DEP_3)
	v_fmac_f64_e32 v[4:5], v[22:23], v[2:3]
	v_div_fmas_f64 v[12:13], v[12:13], v[28:29], v[32:33]
	s_delay_alu instid0(VALU_DEP_1) | instskip(NEXT) | instid1(VALU_DEP_1)
	v_div_fixup_f64 v[6:7], v[12:13], v[6:7], 1.0
	v_mul_f64_e32 v[2:3], v[6:7], v[24:25]
	s_delay_alu instid0(VALU_DEP_4)
	v_mul_f64_e32 v[4:5], v[6:7], v[4:5]
	ds_store_b128 v9, v[2:5] offset:48
	s_wait_storecnt_dscnt 0x0
	ds_load_b128 v[20:23], v10 offset:48
	ds_load_b128 v[24:27], v16
	s_wait_dscnt 0x0
	v_fmac_f64_e32 v[24:25], v[2:3], v[20:21]
	v_fmac_f64_e32 v[26:27], v[4:5], v[20:21]
	s_delay_alu instid0(VALU_DEP_2) | instskip(NEXT) | instid1(VALU_DEP_2)
	v_fmac_f64_e32 v[24:25], v[4:5], v[22:23]
	v_fma_f64 v[26:27], v[2:3], -v[22:23], v[26:27]
	ds_store_b128 v16, v[24:27]
.LBB66_104:
	s_or_b32 exec_lo, exec_lo, s1
	s_delay_alu instid0(SALU_CYCLE_1)
	s_mov_b32 s1, exec_lo
	s_wait_storecnt_dscnt 0x0
	v_cmpx_eq_u32_e32 4, v15
	s_cbranch_execz .LBB66_111
; %bb.105:
	v_mov_b32_e32 v6, 0
	ds_load_b128 v[2:5], v6 offset:4096
	ds_load_b128 v[20:23], v6 offset:2944
	s_wait_dscnt 0x0
	v_add_f64_e64 v[2:3], v[20:21], -v[2:3]
	v_add_f64_e64 v[6:7], v[22:23], -v[4:5]
	s_delay_alu instid0(VALU_DEP_2) | instskip(SKIP_1) | instid1(VALU_DEP_3)
	v_cmp_gt_f64_e32 vcc_lo, 0, v[2:3]
	v_xor_b32_e32 v4, 0x80000000, v3
	v_xor_b32_e32 v5, 0x80000000, v7
	s_delay_alu instid0(VALU_DEP_2) | instskip(SKIP_1) | instid1(VALU_DEP_3)
	v_dual_cndmask_b32 v3, v3, v4 :: v_dual_mov_b32 v4, v6
	v_cmp_gt_f64_e32 vcc_lo, 0, v[6:7]
	v_cndmask_b32_e32 v5, v7, v5, vcc_lo
	s_delay_alu instid0(VALU_DEP_1)
	v_cmp_gt_f64_e32 vcc_lo, v[2:3], v[4:5]
	s_cbranch_vccnz .LBB66_108
; %bb.106:
	v_cmp_eq_f64_e32 vcc_lo, 0, v[6:7]
	s_cbranch_vccnz .LBB66_167
; %bb.107:
	v_div_scale_f64 v[6:7], null, v[4:5], v[4:5], v[2:3]
	v_div_scale_f64 v[22:23], vcc_lo, v[2:3], v[4:5], v[2:3]
	s_delay_alu instid0(VALU_DEP_2) | instskip(SKIP_1) | instid1(TRANS32_DEP_1)
	v_rcp_f64_e32 v[12:13], v[6:7]
	v_nop
	v_fma_f64 v[20:21], -v[6:7], v[12:13], 1.0
	s_delay_alu instid0(VALU_DEP_1) | instskip(NEXT) | instid1(VALU_DEP_1)
	v_fmac_f64_e32 v[12:13], v[12:13], v[20:21]
	v_fma_f64 v[20:21], -v[6:7], v[12:13], 1.0
	s_delay_alu instid0(VALU_DEP_1) | instskip(NEXT) | instid1(VALU_DEP_1)
	v_fmac_f64_e32 v[12:13], v[12:13], v[20:21]
	v_mul_f64_e32 v[20:21], v[22:23], v[12:13]
	s_delay_alu instid0(VALU_DEP_1) | instskip(NEXT) | instid1(VALU_DEP_1)
	v_fma_f64 v[6:7], -v[6:7], v[20:21], v[22:23]
	v_div_fmas_f64 v[6:7], v[6:7], v[12:13], v[20:21]
	s_delay_alu instid0(VALU_DEP_1) | instskip(NEXT) | instid1(VALU_DEP_1)
	v_div_fixup_f64 v[6:7], v[6:7], v[4:5], v[2:3]
	v_fma_f64 v[6:7], v[6:7], v[6:7], 1.0
	s_delay_alu instid0(VALU_DEP_1) | instskip(SKIP_2) | instid1(SALU_CYCLE_1)
	v_cmp_gt_f64_e32 vcc_lo, 0x10000000, v[6:7]
	s_and_b32 s3, vcc_lo, exec_lo
	s_cselect_b32 s3, 0x100, 0
	v_ldexp_f64 v[6:7], v[6:7], s3
	s_cselect_b32 s3, 0xffffff80, 0
	s_delay_alu instid0(VALU_DEP_1) | instskip(SKIP_1) | instid1(TRANS32_DEP_1)
	v_rsq_f64_e32 v[12:13], v[6:7]
	v_cmp_class_f64_e64 vcc_lo, v[6:7], 0x260
	v_mul_f64_e32 v[20:21], v[6:7], v[12:13]
	v_mul_f64_e32 v[12:13], 0.5, v[12:13]
	s_delay_alu instid0(VALU_DEP_1) | instskip(NEXT) | instid1(VALU_DEP_1)
	v_fma_f64 v[22:23], -v[12:13], v[20:21], 0.5
	v_fmac_f64_e32 v[20:21], v[20:21], v[22:23]
	v_fmac_f64_e32 v[12:13], v[12:13], v[22:23]
	s_delay_alu instid0(VALU_DEP_2) | instskip(NEXT) | instid1(VALU_DEP_1)
	v_fma_f64 v[22:23], -v[20:21], v[20:21], v[6:7]
	v_fmac_f64_e32 v[20:21], v[22:23], v[12:13]
	s_delay_alu instid0(VALU_DEP_1) | instskip(NEXT) | instid1(VALU_DEP_1)
	v_fma_f64 v[22:23], -v[20:21], v[20:21], v[6:7]
	v_fmac_f64_e32 v[20:21], v[22:23], v[12:13]
	s_delay_alu instid0(VALU_DEP_1) | instskip(NEXT) | instid1(VALU_DEP_1)
	v_ldexp_f64 v[12:13], v[20:21], s3
	v_dual_cndmask_b32 v7, v13, v7 :: v_dual_cndmask_b32 v6, v12, v6
	s_delay_alu instid0(VALU_DEP_1)
	v_mul_f64_e32 v[6:7], v[4:5], v[6:7]
	s_cbranch_execz .LBB66_109
	s_branch .LBB66_110
.LBB66_108:
                                        ; implicit-def: $vgpr6_vgpr7
.LBB66_109:
	v_div_scale_f64 v[6:7], null, v[2:3], v[2:3], v[4:5]
	v_div_scale_f64 v[22:23], vcc_lo, v[4:5], v[2:3], v[4:5]
	s_delay_alu instid0(VALU_DEP_2) | instskip(SKIP_1) | instid1(TRANS32_DEP_1)
	v_rcp_f64_e32 v[12:13], v[6:7]
	v_nop
	v_fma_f64 v[20:21], -v[6:7], v[12:13], 1.0
	s_delay_alu instid0(VALU_DEP_1) | instskip(NEXT) | instid1(VALU_DEP_1)
	v_fmac_f64_e32 v[12:13], v[12:13], v[20:21]
	v_fma_f64 v[20:21], -v[6:7], v[12:13], 1.0
	s_delay_alu instid0(VALU_DEP_1) | instskip(NEXT) | instid1(VALU_DEP_1)
	v_fmac_f64_e32 v[12:13], v[12:13], v[20:21]
	v_mul_f64_e32 v[20:21], v[22:23], v[12:13]
	s_delay_alu instid0(VALU_DEP_1) | instskip(NEXT) | instid1(VALU_DEP_1)
	v_fma_f64 v[6:7], -v[6:7], v[20:21], v[22:23]
	v_div_fmas_f64 v[6:7], v[6:7], v[12:13], v[20:21]
	s_delay_alu instid0(VALU_DEP_1) | instskip(NEXT) | instid1(VALU_DEP_1)
	v_div_fixup_f64 v[4:5], v[6:7], v[2:3], v[4:5]
	v_fma_f64 v[4:5], v[4:5], v[4:5], 1.0
	s_delay_alu instid0(VALU_DEP_1) | instskip(SKIP_2) | instid1(SALU_CYCLE_1)
	v_cmp_gt_f64_e32 vcc_lo, 0x10000000, v[4:5]
	s_and_b32 s3, vcc_lo, exec_lo
	s_cselect_b32 s3, 0x100, 0
	v_ldexp_f64 v[4:5], v[4:5], s3
	s_cselect_b32 s3, 0xffffff80, 0
	s_delay_alu instid0(VALU_DEP_1) | instskip(SKIP_1) | instid1(TRANS32_DEP_1)
	v_rsq_f64_e32 v[6:7], v[4:5]
	v_cmp_class_f64_e64 vcc_lo, v[4:5], 0x260
	v_mul_f64_e32 v[12:13], v[4:5], v[6:7]
	v_mul_f64_e32 v[6:7], 0.5, v[6:7]
	s_delay_alu instid0(VALU_DEP_1) | instskip(NEXT) | instid1(VALU_DEP_1)
	v_fma_f64 v[20:21], -v[6:7], v[12:13], 0.5
	v_fmac_f64_e32 v[12:13], v[12:13], v[20:21]
	v_fmac_f64_e32 v[6:7], v[6:7], v[20:21]
	s_delay_alu instid0(VALU_DEP_2) | instskip(NEXT) | instid1(VALU_DEP_1)
	v_fma_f64 v[20:21], -v[12:13], v[12:13], v[4:5]
	v_fmac_f64_e32 v[12:13], v[20:21], v[6:7]
	s_delay_alu instid0(VALU_DEP_1) | instskip(NEXT) | instid1(VALU_DEP_1)
	v_fma_f64 v[20:21], -v[12:13], v[12:13], v[4:5]
	v_fmac_f64_e32 v[12:13], v[20:21], v[6:7]
	s_delay_alu instid0(VALU_DEP_1) | instskip(NEXT) | instid1(VALU_DEP_1)
	v_ldexp_f64 v[6:7], v[12:13], s3
	v_dual_cndmask_b32 v5, v7, v5 :: v_dual_cndmask_b32 v4, v6, v4
	s_delay_alu instid0(VALU_DEP_1)
	v_mul_f64_e32 v[6:7], v[2:3], v[4:5]
.LBB66_110:
	s_delay_alu instid0(VALU_DEP_1) | instskip(SKIP_2) | instid1(SALU_CYCLE_1)
	v_cmp_gt_f64_e32 vcc_lo, 0x10000000, v[6:7]
	s_and_b32 s3, vcc_lo, exec_lo
	s_cselect_b32 s3, 0x100, 0
	v_ldexp_f64 v[2:3], v[6:7], s3
	s_cselect_b32 s3, 0xffffff80, 0
	s_delay_alu instid0(VALU_DEP_1) | instskip(SKIP_1) | instid1(TRANS32_DEP_1)
	v_rsq_f64_e32 v[4:5], v[2:3]
	v_cmp_class_f64_e64 vcc_lo, v[2:3], 0x260
	v_mul_f64_e32 v[6:7], v[2:3], v[4:5]
	v_mul_f64_e32 v[4:5], 0.5, v[4:5]
	s_delay_alu instid0(VALU_DEP_1) | instskip(NEXT) | instid1(VALU_DEP_1)
	v_fma_f64 v[12:13], -v[4:5], v[6:7], 0.5
	v_fmac_f64_e32 v[6:7], v[6:7], v[12:13]
	v_fmac_f64_e32 v[4:5], v[4:5], v[12:13]
	s_delay_alu instid0(VALU_DEP_2) | instskip(NEXT) | instid1(VALU_DEP_1)
	v_fma_f64 v[12:13], -v[6:7], v[6:7], v[2:3]
	v_fmac_f64_e32 v[6:7], v[12:13], v[4:5]
	s_delay_alu instid0(VALU_DEP_1) | instskip(NEXT) | instid1(VALU_DEP_1)
	v_fma_f64 v[12:13], -v[6:7], v[6:7], v[2:3]
	v_fmac_f64_e32 v[6:7], v[12:13], v[4:5]
	v_mov_b32_e32 v4, 0
	s_delay_alu instid0(VALU_DEP_1) | instskip(NEXT) | instid1(VALU_DEP_3)
	v_mov_b32_e32 v5, v4
	v_ldexp_f64 v[6:7], v[6:7], s3
	s_delay_alu instid0(VALU_DEP_1)
	v_dual_cndmask_b32 v3, v7, v3 :: v_dual_cndmask_b32 v2, v6, v2
	ds_store_b128 v4, v[2:5] offset:2944
.LBB66_111:
	s_or_b32 exec_lo, exec_lo, s1
	v_mov_b32_e32 v2, 0
	s_wait_dscnt 0x0
	ds_load_b128 v[2:5], v2 offset:2944
	s_wait_dscnt 0x0
	v_cmp_neq_f64_e32 vcc_lo, 0, v[2:3]
	v_cmp_neq_f64_e64 s1, 0, v[4:5]
	s_or_b32 vcc_lo, vcc_lo, s1
	v_cndmask_b32_e32 v3, 0x3ff00000, v3, vcc_lo
	v_dual_cndmask_b32 v2, 0, v2 :: v_dual_cndmask_b32 v5, 0, v5
	v_cndmask_b32_e32 v4, 0, v4, vcc_lo
	s_nor_b32 s3, vcc_lo, s0
	s_delay_alu instid0(SALU_CYCLE_1)
	s_and_saveexec_b32 s1, s3
	s_cbranch_execz .LBB66_115
; %bb.112:
	v_mbcnt_lo_u32_b32 v2, exec_lo, 0
	s_mov_b32 s3, exec_lo
	s_delay_alu instid0(VALU_DEP_1)
	v_cmpx_eq_u32_e32 0, v2
	s_cbranch_execz .LBB66_114
; %bb.113:
	v_dual_mov_b32 v2, 0 :: v_dual_mov_b32 v3, s2
	global_atomic_min_i32 v2, v3, s[10:11] scope:SCOPE_DEV
.LBB66_114:
	s_wait_xcnt 0x0
	s_or_b32 exec_lo, exec_lo, s3
	v_mov_b64_e32 v[4:5], 0
	v_mov_b64_e32 v[2:3], 1.0
.LBB66_115:
	s_or_b32 exec_lo, exec_lo, s1
	s_delay_alu instid0(SALU_CYCLE_1)
	s_mov_b32 s1, exec_lo
	v_cmpx_lt_u32_e32 4, v15
	s_cbranch_execz .LBB66_117
; %bb.116:
	s_delay_alu instid0(VALU_DEP_2) | instskip(NEXT) | instid1(VALU_DEP_1)
	v_mul_f64_e32 v[6:7], v[4:5], v[4:5]
	v_fmac_f64_e32 v[6:7], v[2:3], v[2:3]
	s_delay_alu instid0(VALU_DEP_1) | instskip(SKIP_1) | instid1(VALU_DEP_2)
	v_div_scale_f64 v[12:13], null, v[6:7], v[6:7], 1.0
	v_div_scale_f64 v[30:31], vcc_lo, 1.0, v[6:7], 1.0
	v_rcp_f64_e32 v[28:29], v[12:13]
	v_nop
	s_delay_alu instid0(TRANS32_DEP_1) | instskip(NEXT) | instid1(VALU_DEP_1)
	v_fma_f64 v[20:21], -v[12:13], v[28:29], 1.0
	v_fmac_f64_e32 v[28:29], v[28:29], v[20:21]
	s_delay_alu instid0(VALU_DEP_1) | instskip(NEXT) | instid1(VALU_DEP_1)
	v_fma_f64 v[20:21], -v[12:13], v[28:29], 1.0
	v_fmac_f64_e32 v[28:29], v[28:29], v[20:21]
	ds_load_b128 v[20:23], v9 offset:64
	ds_load_b128 v[24:27], v18 offset:64
	s_wait_dscnt 0x0
	v_add_f64_e64 v[22:23], v[22:23], -v[26:27]
	v_add_f64_e64 v[20:21], v[20:21], -v[24:25]
	v_mul_f64_e32 v[32:33], v[30:31], v[28:29]
	s_delay_alu instid0(VALU_DEP_3) | instskip(NEXT) | instid1(VALU_DEP_3)
	v_mul_f64_e32 v[24:25], v[4:5], v[22:23]
	v_mul_f64_e64 v[4:5], v[4:5], -v[20:21]
	s_delay_alu instid0(VALU_DEP_3) | instskip(NEXT) | instid1(VALU_DEP_3)
	v_fma_f64 v[12:13], -v[12:13], v[32:33], v[30:31]
	v_fmac_f64_e32 v[24:25], v[20:21], v[2:3]
	s_delay_alu instid0(VALU_DEP_3) | instskip(NEXT) | instid1(VALU_DEP_3)
	v_fmac_f64_e32 v[4:5], v[22:23], v[2:3]
	v_div_fmas_f64 v[12:13], v[12:13], v[28:29], v[32:33]
	s_delay_alu instid0(VALU_DEP_1) | instskip(NEXT) | instid1(VALU_DEP_1)
	v_div_fixup_f64 v[6:7], v[12:13], v[6:7], 1.0
	v_mul_f64_e32 v[2:3], v[6:7], v[24:25]
	s_delay_alu instid0(VALU_DEP_4)
	v_mul_f64_e32 v[4:5], v[6:7], v[4:5]
	ds_store_b128 v9, v[2:5] offset:64
	s_wait_storecnt_dscnt 0x0
	ds_load_b128 v[20:23], v10 offset:64
	ds_load_b128 v[24:27], v16
	s_wait_dscnt 0x0
	v_fmac_f64_e32 v[24:25], v[2:3], v[20:21]
	v_fmac_f64_e32 v[26:27], v[4:5], v[20:21]
	s_delay_alu instid0(VALU_DEP_2) | instskip(NEXT) | instid1(VALU_DEP_2)
	v_fmac_f64_e32 v[24:25], v[4:5], v[22:23]
	v_fma_f64 v[26:27], v[2:3], -v[22:23], v[26:27]
	ds_store_b128 v16, v[24:27]
.LBB66_117:
	s_or_b32 exec_lo, exec_lo, s1
	s_delay_alu instid0(SALU_CYCLE_1)
	s_mov_b32 s1, exec_lo
	s_wait_storecnt_dscnt 0x0
	v_cmpx_eq_u32_e32 5, v15
	s_cbranch_execz .LBB66_124
; %bb.118:
	v_mov_b32_e32 v6, 0
	ds_load_b128 v[2:5], v6 offset:4256
	ds_load_b128 v[20:23], v6 offset:3104
	s_wait_dscnt 0x0
	v_add_f64_e64 v[2:3], v[20:21], -v[2:3]
	v_add_f64_e64 v[6:7], v[22:23], -v[4:5]
	s_delay_alu instid0(VALU_DEP_2) | instskip(SKIP_1) | instid1(VALU_DEP_3)
	v_cmp_gt_f64_e32 vcc_lo, 0, v[2:3]
	v_xor_b32_e32 v4, 0x80000000, v3
	v_xor_b32_e32 v5, 0x80000000, v7
	s_delay_alu instid0(VALU_DEP_2) | instskip(SKIP_1) | instid1(VALU_DEP_3)
	v_dual_cndmask_b32 v3, v3, v4 :: v_dual_mov_b32 v4, v6
	v_cmp_gt_f64_e32 vcc_lo, 0, v[6:7]
	v_cndmask_b32_e32 v5, v7, v5, vcc_lo
	s_delay_alu instid0(VALU_DEP_1)
	v_cmp_gt_f64_e32 vcc_lo, v[2:3], v[4:5]
	s_cbranch_vccnz .LBB66_121
; %bb.119:
	v_cmp_eq_f64_e32 vcc_lo, 0, v[6:7]
	s_cbranch_vccnz .LBB66_168
; %bb.120:
	v_div_scale_f64 v[6:7], null, v[4:5], v[4:5], v[2:3]
	v_div_scale_f64 v[22:23], vcc_lo, v[2:3], v[4:5], v[2:3]
	s_delay_alu instid0(VALU_DEP_2) | instskip(SKIP_1) | instid1(TRANS32_DEP_1)
	v_rcp_f64_e32 v[12:13], v[6:7]
	v_nop
	v_fma_f64 v[20:21], -v[6:7], v[12:13], 1.0
	s_delay_alu instid0(VALU_DEP_1) | instskip(NEXT) | instid1(VALU_DEP_1)
	v_fmac_f64_e32 v[12:13], v[12:13], v[20:21]
	v_fma_f64 v[20:21], -v[6:7], v[12:13], 1.0
	s_delay_alu instid0(VALU_DEP_1) | instskip(NEXT) | instid1(VALU_DEP_1)
	v_fmac_f64_e32 v[12:13], v[12:13], v[20:21]
	v_mul_f64_e32 v[20:21], v[22:23], v[12:13]
	s_delay_alu instid0(VALU_DEP_1) | instskip(NEXT) | instid1(VALU_DEP_1)
	v_fma_f64 v[6:7], -v[6:7], v[20:21], v[22:23]
	v_div_fmas_f64 v[6:7], v[6:7], v[12:13], v[20:21]
	s_delay_alu instid0(VALU_DEP_1) | instskip(NEXT) | instid1(VALU_DEP_1)
	v_div_fixup_f64 v[6:7], v[6:7], v[4:5], v[2:3]
	v_fma_f64 v[6:7], v[6:7], v[6:7], 1.0
	s_delay_alu instid0(VALU_DEP_1) | instskip(SKIP_2) | instid1(SALU_CYCLE_1)
	v_cmp_gt_f64_e32 vcc_lo, 0x10000000, v[6:7]
	s_and_b32 s3, vcc_lo, exec_lo
	s_cselect_b32 s3, 0x100, 0
	v_ldexp_f64 v[6:7], v[6:7], s3
	s_cselect_b32 s3, 0xffffff80, 0
	s_delay_alu instid0(VALU_DEP_1) | instskip(SKIP_1) | instid1(TRANS32_DEP_1)
	v_rsq_f64_e32 v[12:13], v[6:7]
	v_cmp_class_f64_e64 vcc_lo, v[6:7], 0x260
	v_mul_f64_e32 v[20:21], v[6:7], v[12:13]
	v_mul_f64_e32 v[12:13], 0.5, v[12:13]
	s_delay_alu instid0(VALU_DEP_1) | instskip(NEXT) | instid1(VALU_DEP_1)
	v_fma_f64 v[22:23], -v[12:13], v[20:21], 0.5
	v_fmac_f64_e32 v[20:21], v[20:21], v[22:23]
	v_fmac_f64_e32 v[12:13], v[12:13], v[22:23]
	s_delay_alu instid0(VALU_DEP_2) | instskip(NEXT) | instid1(VALU_DEP_1)
	v_fma_f64 v[22:23], -v[20:21], v[20:21], v[6:7]
	v_fmac_f64_e32 v[20:21], v[22:23], v[12:13]
	s_delay_alu instid0(VALU_DEP_1) | instskip(NEXT) | instid1(VALU_DEP_1)
	v_fma_f64 v[22:23], -v[20:21], v[20:21], v[6:7]
	v_fmac_f64_e32 v[20:21], v[22:23], v[12:13]
	s_delay_alu instid0(VALU_DEP_1) | instskip(NEXT) | instid1(VALU_DEP_1)
	v_ldexp_f64 v[12:13], v[20:21], s3
	v_dual_cndmask_b32 v7, v13, v7 :: v_dual_cndmask_b32 v6, v12, v6
	s_delay_alu instid0(VALU_DEP_1)
	v_mul_f64_e32 v[6:7], v[4:5], v[6:7]
	s_cbranch_execz .LBB66_122
	s_branch .LBB66_123
.LBB66_121:
                                        ; implicit-def: $vgpr6_vgpr7
.LBB66_122:
	v_div_scale_f64 v[6:7], null, v[2:3], v[2:3], v[4:5]
	v_div_scale_f64 v[22:23], vcc_lo, v[4:5], v[2:3], v[4:5]
	s_delay_alu instid0(VALU_DEP_2) | instskip(SKIP_1) | instid1(TRANS32_DEP_1)
	v_rcp_f64_e32 v[12:13], v[6:7]
	v_nop
	v_fma_f64 v[20:21], -v[6:7], v[12:13], 1.0
	s_delay_alu instid0(VALU_DEP_1) | instskip(NEXT) | instid1(VALU_DEP_1)
	v_fmac_f64_e32 v[12:13], v[12:13], v[20:21]
	v_fma_f64 v[20:21], -v[6:7], v[12:13], 1.0
	s_delay_alu instid0(VALU_DEP_1) | instskip(NEXT) | instid1(VALU_DEP_1)
	v_fmac_f64_e32 v[12:13], v[12:13], v[20:21]
	v_mul_f64_e32 v[20:21], v[22:23], v[12:13]
	s_delay_alu instid0(VALU_DEP_1) | instskip(NEXT) | instid1(VALU_DEP_1)
	v_fma_f64 v[6:7], -v[6:7], v[20:21], v[22:23]
	v_div_fmas_f64 v[6:7], v[6:7], v[12:13], v[20:21]
	s_delay_alu instid0(VALU_DEP_1) | instskip(NEXT) | instid1(VALU_DEP_1)
	v_div_fixup_f64 v[4:5], v[6:7], v[2:3], v[4:5]
	v_fma_f64 v[4:5], v[4:5], v[4:5], 1.0
	s_delay_alu instid0(VALU_DEP_1) | instskip(SKIP_2) | instid1(SALU_CYCLE_1)
	v_cmp_gt_f64_e32 vcc_lo, 0x10000000, v[4:5]
	s_and_b32 s3, vcc_lo, exec_lo
	s_cselect_b32 s3, 0x100, 0
	v_ldexp_f64 v[4:5], v[4:5], s3
	s_cselect_b32 s3, 0xffffff80, 0
	s_delay_alu instid0(VALU_DEP_1) | instskip(SKIP_1) | instid1(TRANS32_DEP_1)
	v_rsq_f64_e32 v[6:7], v[4:5]
	v_cmp_class_f64_e64 vcc_lo, v[4:5], 0x260
	v_mul_f64_e32 v[12:13], v[4:5], v[6:7]
	v_mul_f64_e32 v[6:7], 0.5, v[6:7]
	s_delay_alu instid0(VALU_DEP_1) | instskip(NEXT) | instid1(VALU_DEP_1)
	v_fma_f64 v[20:21], -v[6:7], v[12:13], 0.5
	v_fmac_f64_e32 v[12:13], v[12:13], v[20:21]
	v_fmac_f64_e32 v[6:7], v[6:7], v[20:21]
	s_delay_alu instid0(VALU_DEP_2) | instskip(NEXT) | instid1(VALU_DEP_1)
	v_fma_f64 v[20:21], -v[12:13], v[12:13], v[4:5]
	v_fmac_f64_e32 v[12:13], v[20:21], v[6:7]
	s_delay_alu instid0(VALU_DEP_1) | instskip(NEXT) | instid1(VALU_DEP_1)
	v_fma_f64 v[20:21], -v[12:13], v[12:13], v[4:5]
	v_fmac_f64_e32 v[12:13], v[20:21], v[6:7]
	s_delay_alu instid0(VALU_DEP_1) | instskip(NEXT) | instid1(VALU_DEP_1)
	v_ldexp_f64 v[6:7], v[12:13], s3
	v_dual_cndmask_b32 v5, v7, v5 :: v_dual_cndmask_b32 v4, v6, v4
	s_delay_alu instid0(VALU_DEP_1)
	v_mul_f64_e32 v[6:7], v[2:3], v[4:5]
.LBB66_123:
	s_delay_alu instid0(VALU_DEP_1) | instskip(SKIP_2) | instid1(SALU_CYCLE_1)
	v_cmp_gt_f64_e32 vcc_lo, 0x10000000, v[6:7]
	s_and_b32 s3, vcc_lo, exec_lo
	s_cselect_b32 s3, 0x100, 0
	v_ldexp_f64 v[2:3], v[6:7], s3
	s_cselect_b32 s3, 0xffffff80, 0
	s_delay_alu instid0(VALU_DEP_1) | instskip(SKIP_1) | instid1(TRANS32_DEP_1)
	v_rsq_f64_e32 v[4:5], v[2:3]
	v_cmp_class_f64_e64 vcc_lo, v[2:3], 0x260
	v_mul_f64_e32 v[6:7], v[2:3], v[4:5]
	v_mul_f64_e32 v[4:5], 0.5, v[4:5]
	s_delay_alu instid0(VALU_DEP_1) | instskip(NEXT) | instid1(VALU_DEP_1)
	v_fma_f64 v[12:13], -v[4:5], v[6:7], 0.5
	v_fmac_f64_e32 v[6:7], v[6:7], v[12:13]
	v_fmac_f64_e32 v[4:5], v[4:5], v[12:13]
	s_delay_alu instid0(VALU_DEP_2) | instskip(NEXT) | instid1(VALU_DEP_1)
	v_fma_f64 v[12:13], -v[6:7], v[6:7], v[2:3]
	v_fmac_f64_e32 v[6:7], v[12:13], v[4:5]
	s_delay_alu instid0(VALU_DEP_1) | instskip(NEXT) | instid1(VALU_DEP_1)
	v_fma_f64 v[12:13], -v[6:7], v[6:7], v[2:3]
	v_fmac_f64_e32 v[6:7], v[12:13], v[4:5]
	v_mov_b32_e32 v4, 0
	s_delay_alu instid0(VALU_DEP_1) | instskip(NEXT) | instid1(VALU_DEP_3)
	v_mov_b32_e32 v5, v4
	v_ldexp_f64 v[6:7], v[6:7], s3
	s_delay_alu instid0(VALU_DEP_1)
	v_dual_cndmask_b32 v3, v7, v3 :: v_dual_cndmask_b32 v2, v6, v2
	ds_store_b128 v4, v[2:5] offset:3104
.LBB66_124:
	s_or_b32 exec_lo, exec_lo, s1
	v_mov_b32_e32 v2, 0
	s_wait_dscnt 0x0
	ds_load_b128 v[2:5], v2 offset:3104
	s_wait_dscnt 0x0
	v_cmp_neq_f64_e32 vcc_lo, 0, v[2:3]
	v_cmp_neq_f64_e64 s1, 0, v[4:5]
	s_or_b32 vcc_lo, vcc_lo, s1
	v_cndmask_b32_e32 v3, 0x3ff00000, v3, vcc_lo
	v_dual_cndmask_b32 v2, 0, v2 :: v_dual_cndmask_b32 v5, 0, v5
	v_cndmask_b32_e32 v4, 0, v4, vcc_lo
	s_nor_b32 s3, vcc_lo, s0
	s_delay_alu instid0(SALU_CYCLE_1)
	s_and_saveexec_b32 s1, s3
	s_cbranch_execz .LBB66_128
; %bb.125:
	v_mbcnt_lo_u32_b32 v2, exec_lo, 0
	s_mov_b32 s3, exec_lo
	s_delay_alu instid0(VALU_DEP_1)
	v_cmpx_eq_u32_e32 0, v2
	s_cbranch_execz .LBB66_127
; %bb.126:
	v_dual_mov_b32 v2, 0 :: v_dual_mov_b32 v3, s2
	global_atomic_min_i32 v2, v3, s[10:11] scope:SCOPE_DEV
.LBB66_127:
	s_wait_xcnt 0x0
	s_or_b32 exec_lo, exec_lo, s3
	v_mov_b64_e32 v[4:5], 0
	v_mov_b64_e32 v[2:3], 1.0
.LBB66_128:
	s_or_b32 exec_lo, exec_lo, s1
	s_delay_alu instid0(SALU_CYCLE_1)
	s_mov_b32 s1, exec_lo
	v_cmpx_lt_u32_e32 5, v15
	s_cbranch_execz .LBB66_130
; %bb.129:
	s_delay_alu instid0(VALU_DEP_2) | instskip(NEXT) | instid1(VALU_DEP_1)
	v_mul_f64_e32 v[6:7], v[4:5], v[4:5]
	v_fmac_f64_e32 v[6:7], v[2:3], v[2:3]
	s_delay_alu instid0(VALU_DEP_1) | instskip(SKIP_1) | instid1(VALU_DEP_2)
	v_div_scale_f64 v[12:13], null, v[6:7], v[6:7], 1.0
	v_div_scale_f64 v[30:31], vcc_lo, 1.0, v[6:7], 1.0
	v_rcp_f64_e32 v[28:29], v[12:13]
	v_nop
	s_delay_alu instid0(TRANS32_DEP_1) | instskip(NEXT) | instid1(VALU_DEP_1)
	v_fma_f64 v[20:21], -v[12:13], v[28:29], 1.0
	v_fmac_f64_e32 v[28:29], v[28:29], v[20:21]
	s_delay_alu instid0(VALU_DEP_1) | instskip(NEXT) | instid1(VALU_DEP_1)
	v_fma_f64 v[20:21], -v[12:13], v[28:29], 1.0
	v_fmac_f64_e32 v[28:29], v[28:29], v[20:21]
	ds_load_b128 v[20:23], v9 offset:80
	ds_load_b128 v[24:27], v18 offset:80
	s_wait_dscnt 0x0
	v_add_f64_e64 v[22:23], v[22:23], -v[26:27]
	v_add_f64_e64 v[20:21], v[20:21], -v[24:25]
	v_mul_f64_e32 v[32:33], v[30:31], v[28:29]
	s_delay_alu instid0(VALU_DEP_3) | instskip(NEXT) | instid1(VALU_DEP_3)
	v_mul_f64_e32 v[24:25], v[4:5], v[22:23]
	v_mul_f64_e64 v[4:5], v[4:5], -v[20:21]
	s_delay_alu instid0(VALU_DEP_3) | instskip(NEXT) | instid1(VALU_DEP_3)
	v_fma_f64 v[12:13], -v[12:13], v[32:33], v[30:31]
	v_fmac_f64_e32 v[24:25], v[20:21], v[2:3]
	s_delay_alu instid0(VALU_DEP_3) | instskip(NEXT) | instid1(VALU_DEP_3)
	v_fmac_f64_e32 v[4:5], v[22:23], v[2:3]
	v_div_fmas_f64 v[12:13], v[12:13], v[28:29], v[32:33]
	s_delay_alu instid0(VALU_DEP_1) | instskip(NEXT) | instid1(VALU_DEP_1)
	v_div_fixup_f64 v[6:7], v[12:13], v[6:7], 1.0
	v_mul_f64_e32 v[2:3], v[6:7], v[24:25]
	s_delay_alu instid0(VALU_DEP_4)
	v_mul_f64_e32 v[4:5], v[6:7], v[4:5]
	ds_store_b128 v9, v[2:5] offset:80
	s_wait_storecnt_dscnt 0x0
	ds_load_b128 v[20:23], v10 offset:80
	ds_load_b128 v[24:27], v16
	s_wait_dscnt 0x0
	v_fmac_f64_e32 v[24:25], v[2:3], v[20:21]
	v_fmac_f64_e32 v[26:27], v[4:5], v[20:21]
	s_delay_alu instid0(VALU_DEP_2) | instskip(NEXT) | instid1(VALU_DEP_2)
	v_fmac_f64_e32 v[24:25], v[4:5], v[22:23]
	v_fma_f64 v[26:27], v[2:3], -v[22:23], v[26:27]
	ds_store_b128 v16, v[24:27]
.LBB66_130:
	s_or_b32 exec_lo, exec_lo, s1
	s_delay_alu instid0(SALU_CYCLE_1)
	s_mov_b32 s1, exec_lo
	s_wait_storecnt_dscnt 0x0
	v_cmpx_eq_u32_e32 6, v15
	s_cbranch_execz .LBB66_137
; %bb.131:
	v_mov_b32_e32 v6, 0
	ds_load_b128 v[2:5], v6 offset:4416
	ds_load_b128 v[20:23], v6 offset:3264
	s_wait_dscnt 0x0
	v_add_f64_e64 v[2:3], v[20:21], -v[2:3]
	v_add_f64_e64 v[6:7], v[22:23], -v[4:5]
	s_delay_alu instid0(VALU_DEP_2) | instskip(SKIP_1) | instid1(VALU_DEP_3)
	v_cmp_gt_f64_e32 vcc_lo, 0, v[2:3]
	v_xor_b32_e32 v4, 0x80000000, v3
	v_xor_b32_e32 v5, 0x80000000, v7
	s_delay_alu instid0(VALU_DEP_2) | instskip(SKIP_1) | instid1(VALU_DEP_3)
	v_dual_cndmask_b32 v3, v3, v4 :: v_dual_mov_b32 v4, v6
	v_cmp_gt_f64_e32 vcc_lo, 0, v[6:7]
	v_cndmask_b32_e32 v5, v7, v5, vcc_lo
	s_delay_alu instid0(VALU_DEP_1)
	v_cmp_gt_f64_e32 vcc_lo, v[2:3], v[4:5]
	s_cbranch_vccnz .LBB66_134
; %bb.132:
	v_cmp_eq_f64_e32 vcc_lo, 0, v[6:7]
	s_cbranch_vccnz .LBB66_169
; %bb.133:
	v_div_scale_f64 v[6:7], null, v[4:5], v[4:5], v[2:3]
	v_div_scale_f64 v[22:23], vcc_lo, v[2:3], v[4:5], v[2:3]
	s_delay_alu instid0(VALU_DEP_2) | instskip(SKIP_1) | instid1(TRANS32_DEP_1)
	v_rcp_f64_e32 v[12:13], v[6:7]
	v_nop
	v_fma_f64 v[20:21], -v[6:7], v[12:13], 1.0
	s_delay_alu instid0(VALU_DEP_1) | instskip(NEXT) | instid1(VALU_DEP_1)
	v_fmac_f64_e32 v[12:13], v[12:13], v[20:21]
	v_fma_f64 v[20:21], -v[6:7], v[12:13], 1.0
	s_delay_alu instid0(VALU_DEP_1) | instskip(NEXT) | instid1(VALU_DEP_1)
	v_fmac_f64_e32 v[12:13], v[12:13], v[20:21]
	v_mul_f64_e32 v[20:21], v[22:23], v[12:13]
	s_delay_alu instid0(VALU_DEP_1) | instskip(NEXT) | instid1(VALU_DEP_1)
	v_fma_f64 v[6:7], -v[6:7], v[20:21], v[22:23]
	v_div_fmas_f64 v[6:7], v[6:7], v[12:13], v[20:21]
	s_delay_alu instid0(VALU_DEP_1) | instskip(NEXT) | instid1(VALU_DEP_1)
	v_div_fixup_f64 v[6:7], v[6:7], v[4:5], v[2:3]
	v_fma_f64 v[6:7], v[6:7], v[6:7], 1.0
	s_delay_alu instid0(VALU_DEP_1) | instskip(SKIP_2) | instid1(SALU_CYCLE_1)
	v_cmp_gt_f64_e32 vcc_lo, 0x10000000, v[6:7]
	s_and_b32 s3, vcc_lo, exec_lo
	s_cselect_b32 s3, 0x100, 0
	v_ldexp_f64 v[6:7], v[6:7], s3
	s_cselect_b32 s3, 0xffffff80, 0
	s_delay_alu instid0(VALU_DEP_1) | instskip(SKIP_1) | instid1(TRANS32_DEP_1)
	v_rsq_f64_e32 v[12:13], v[6:7]
	v_cmp_class_f64_e64 vcc_lo, v[6:7], 0x260
	v_mul_f64_e32 v[20:21], v[6:7], v[12:13]
	v_mul_f64_e32 v[12:13], 0.5, v[12:13]
	s_delay_alu instid0(VALU_DEP_1) | instskip(NEXT) | instid1(VALU_DEP_1)
	v_fma_f64 v[22:23], -v[12:13], v[20:21], 0.5
	v_fmac_f64_e32 v[20:21], v[20:21], v[22:23]
	v_fmac_f64_e32 v[12:13], v[12:13], v[22:23]
	s_delay_alu instid0(VALU_DEP_2) | instskip(NEXT) | instid1(VALU_DEP_1)
	v_fma_f64 v[22:23], -v[20:21], v[20:21], v[6:7]
	v_fmac_f64_e32 v[20:21], v[22:23], v[12:13]
	s_delay_alu instid0(VALU_DEP_1) | instskip(NEXT) | instid1(VALU_DEP_1)
	v_fma_f64 v[22:23], -v[20:21], v[20:21], v[6:7]
	v_fmac_f64_e32 v[20:21], v[22:23], v[12:13]
	s_delay_alu instid0(VALU_DEP_1) | instskip(NEXT) | instid1(VALU_DEP_1)
	v_ldexp_f64 v[12:13], v[20:21], s3
	v_dual_cndmask_b32 v7, v13, v7 :: v_dual_cndmask_b32 v6, v12, v6
	s_delay_alu instid0(VALU_DEP_1)
	v_mul_f64_e32 v[6:7], v[4:5], v[6:7]
	s_cbranch_execz .LBB66_135
	s_branch .LBB66_136
.LBB66_134:
                                        ; implicit-def: $vgpr6_vgpr7
.LBB66_135:
	v_div_scale_f64 v[6:7], null, v[2:3], v[2:3], v[4:5]
	v_div_scale_f64 v[22:23], vcc_lo, v[4:5], v[2:3], v[4:5]
	s_delay_alu instid0(VALU_DEP_2) | instskip(SKIP_1) | instid1(TRANS32_DEP_1)
	v_rcp_f64_e32 v[12:13], v[6:7]
	v_nop
	v_fma_f64 v[20:21], -v[6:7], v[12:13], 1.0
	s_delay_alu instid0(VALU_DEP_1) | instskip(NEXT) | instid1(VALU_DEP_1)
	v_fmac_f64_e32 v[12:13], v[12:13], v[20:21]
	v_fma_f64 v[20:21], -v[6:7], v[12:13], 1.0
	s_delay_alu instid0(VALU_DEP_1) | instskip(NEXT) | instid1(VALU_DEP_1)
	v_fmac_f64_e32 v[12:13], v[12:13], v[20:21]
	v_mul_f64_e32 v[20:21], v[22:23], v[12:13]
	s_delay_alu instid0(VALU_DEP_1) | instskip(NEXT) | instid1(VALU_DEP_1)
	v_fma_f64 v[6:7], -v[6:7], v[20:21], v[22:23]
	v_div_fmas_f64 v[6:7], v[6:7], v[12:13], v[20:21]
	s_delay_alu instid0(VALU_DEP_1) | instskip(NEXT) | instid1(VALU_DEP_1)
	v_div_fixup_f64 v[4:5], v[6:7], v[2:3], v[4:5]
	v_fma_f64 v[4:5], v[4:5], v[4:5], 1.0
	s_delay_alu instid0(VALU_DEP_1) | instskip(SKIP_2) | instid1(SALU_CYCLE_1)
	v_cmp_gt_f64_e32 vcc_lo, 0x10000000, v[4:5]
	s_and_b32 s3, vcc_lo, exec_lo
	s_cselect_b32 s3, 0x100, 0
	v_ldexp_f64 v[4:5], v[4:5], s3
	s_cselect_b32 s3, 0xffffff80, 0
	s_delay_alu instid0(VALU_DEP_1) | instskip(SKIP_1) | instid1(TRANS32_DEP_1)
	v_rsq_f64_e32 v[6:7], v[4:5]
	v_cmp_class_f64_e64 vcc_lo, v[4:5], 0x260
	v_mul_f64_e32 v[12:13], v[4:5], v[6:7]
	v_mul_f64_e32 v[6:7], 0.5, v[6:7]
	s_delay_alu instid0(VALU_DEP_1) | instskip(NEXT) | instid1(VALU_DEP_1)
	v_fma_f64 v[20:21], -v[6:7], v[12:13], 0.5
	v_fmac_f64_e32 v[12:13], v[12:13], v[20:21]
	v_fmac_f64_e32 v[6:7], v[6:7], v[20:21]
	s_delay_alu instid0(VALU_DEP_2) | instskip(NEXT) | instid1(VALU_DEP_1)
	v_fma_f64 v[20:21], -v[12:13], v[12:13], v[4:5]
	v_fmac_f64_e32 v[12:13], v[20:21], v[6:7]
	s_delay_alu instid0(VALU_DEP_1) | instskip(NEXT) | instid1(VALU_DEP_1)
	v_fma_f64 v[20:21], -v[12:13], v[12:13], v[4:5]
	v_fmac_f64_e32 v[12:13], v[20:21], v[6:7]
	s_delay_alu instid0(VALU_DEP_1) | instskip(NEXT) | instid1(VALU_DEP_1)
	v_ldexp_f64 v[6:7], v[12:13], s3
	v_dual_cndmask_b32 v5, v7, v5 :: v_dual_cndmask_b32 v4, v6, v4
	s_delay_alu instid0(VALU_DEP_1)
	v_mul_f64_e32 v[6:7], v[2:3], v[4:5]
.LBB66_136:
	s_delay_alu instid0(VALU_DEP_1) | instskip(SKIP_2) | instid1(SALU_CYCLE_1)
	v_cmp_gt_f64_e32 vcc_lo, 0x10000000, v[6:7]
	s_and_b32 s3, vcc_lo, exec_lo
	s_cselect_b32 s3, 0x100, 0
	v_ldexp_f64 v[2:3], v[6:7], s3
	s_cselect_b32 s3, 0xffffff80, 0
	s_delay_alu instid0(VALU_DEP_1) | instskip(SKIP_1) | instid1(TRANS32_DEP_1)
	v_rsq_f64_e32 v[4:5], v[2:3]
	v_cmp_class_f64_e64 vcc_lo, v[2:3], 0x260
	v_mul_f64_e32 v[6:7], v[2:3], v[4:5]
	v_mul_f64_e32 v[4:5], 0.5, v[4:5]
	s_delay_alu instid0(VALU_DEP_1) | instskip(NEXT) | instid1(VALU_DEP_1)
	v_fma_f64 v[12:13], -v[4:5], v[6:7], 0.5
	v_fmac_f64_e32 v[6:7], v[6:7], v[12:13]
	v_fmac_f64_e32 v[4:5], v[4:5], v[12:13]
	s_delay_alu instid0(VALU_DEP_2) | instskip(NEXT) | instid1(VALU_DEP_1)
	v_fma_f64 v[12:13], -v[6:7], v[6:7], v[2:3]
	v_fmac_f64_e32 v[6:7], v[12:13], v[4:5]
	s_delay_alu instid0(VALU_DEP_1) | instskip(NEXT) | instid1(VALU_DEP_1)
	v_fma_f64 v[12:13], -v[6:7], v[6:7], v[2:3]
	v_fmac_f64_e32 v[6:7], v[12:13], v[4:5]
	v_mov_b32_e32 v4, 0
	s_delay_alu instid0(VALU_DEP_1) | instskip(NEXT) | instid1(VALU_DEP_3)
	v_mov_b32_e32 v5, v4
	v_ldexp_f64 v[6:7], v[6:7], s3
	s_delay_alu instid0(VALU_DEP_1)
	v_dual_cndmask_b32 v3, v7, v3 :: v_dual_cndmask_b32 v2, v6, v2
	ds_store_b128 v4, v[2:5] offset:3264
.LBB66_137:
	s_or_b32 exec_lo, exec_lo, s1
	v_mov_b32_e32 v2, 0
	s_wait_dscnt 0x0
	ds_load_b128 v[2:5], v2 offset:3264
	s_wait_dscnt 0x0
	v_cmp_neq_f64_e32 vcc_lo, 0, v[2:3]
	v_cmp_neq_f64_e64 s1, 0, v[4:5]
	s_or_b32 vcc_lo, vcc_lo, s1
	v_cndmask_b32_e32 v3, 0x3ff00000, v3, vcc_lo
	v_dual_cndmask_b32 v2, 0, v2 :: v_dual_cndmask_b32 v5, 0, v5
	v_cndmask_b32_e32 v4, 0, v4, vcc_lo
	s_nor_b32 s3, vcc_lo, s0
	s_delay_alu instid0(SALU_CYCLE_1)
	s_and_saveexec_b32 s1, s3
	s_cbranch_execz .LBB66_141
; %bb.138:
	v_mbcnt_lo_u32_b32 v2, exec_lo, 0
	s_mov_b32 s3, exec_lo
	s_delay_alu instid0(VALU_DEP_1)
	v_cmpx_eq_u32_e32 0, v2
	s_cbranch_execz .LBB66_140
; %bb.139:
	v_dual_mov_b32 v2, 0 :: v_dual_mov_b32 v3, s2
	global_atomic_min_i32 v2, v3, s[10:11] scope:SCOPE_DEV
.LBB66_140:
	s_wait_xcnt 0x0
	s_or_b32 exec_lo, exec_lo, s3
	v_mov_b64_e32 v[4:5], 0
	v_mov_b64_e32 v[2:3], 1.0
.LBB66_141:
	s_or_b32 exec_lo, exec_lo, s1
	s_delay_alu instid0(SALU_CYCLE_1)
	s_mov_b32 s1, exec_lo
	v_cmpx_lt_u32_e32 6, v15
	s_cbranch_execz .LBB66_143
; %bb.142:
	s_delay_alu instid0(VALU_DEP_2) | instskip(NEXT) | instid1(VALU_DEP_1)
	v_mul_f64_e32 v[6:7], v[4:5], v[4:5]
	v_fmac_f64_e32 v[6:7], v[2:3], v[2:3]
	s_delay_alu instid0(VALU_DEP_1) | instskip(SKIP_1) | instid1(VALU_DEP_2)
	v_div_scale_f64 v[12:13], null, v[6:7], v[6:7], 1.0
	v_div_scale_f64 v[30:31], vcc_lo, 1.0, v[6:7], 1.0
	v_rcp_f64_e32 v[28:29], v[12:13]
	v_nop
	s_delay_alu instid0(TRANS32_DEP_1) | instskip(NEXT) | instid1(VALU_DEP_1)
	v_fma_f64 v[20:21], -v[12:13], v[28:29], 1.0
	v_fmac_f64_e32 v[28:29], v[28:29], v[20:21]
	s_delay_alu instid0(VALU_DEP_1) | instskip(NEXT) | instid1(VALU_DEP_1)
	v_fma_f64 v[20:21], -v[12:13], v[28:29], 1.0
	v_fmac_f64_e32 v[28:29], v[28:29], v[20:21]
	ds_load_b128 v[20:23], v9 offset:96
	ds_load_b128 v[24:27], v18 offset:96
	s_wait_dscnt 0x0
	v_add_f64_e64 v[22:23], v[22:23], -v[26:27]
	v_add_f64_e64 v[20:21], v[20:21], -v[24:25]
	v_mul_f64_e32 v[32:33], v[30:31], v[28:29]
	s_delay_alu instid0(VALU_DEP_3) | instskip(NEXT) | instid1(VALU_DEP_3)
	v_mul_f64_e32 v[24:25], v[4:5], v[22:23]
	v_mul_f64_e64 v[4:5], v[4:5], -v[20:21]
	s_delay_alu instid0(VALU_DEP_3) | instskip(NEXT) | instid1(VALU_DEP_3)
	v_fma_f64 v[12:13], -v[12:13], v[32:33], v[30:31]
	v_fmac_f64_e32 v[24:25], v[20:21], v[2:3]
	s_delay_alu instid0(VALU_DEP_3) | instskip(NEXT) | instid1(VALU_DEP_3)
	v_fmac_f64_e32 v[4:5], v[22:23], v[2:3]
	v_div_fmas_f64 v[12:13], v[12:13], v[28:29], v[32:33]
	s_delay_alu instid0(VALU_DEP_1) | instskip(NEXT) | instid1(VALU_DEP_1)
	v_div_fixup_f64 v[6:7], v[12:13], v[6:7], 1.0
	v_mul_f64_e32 v[2:3], v[6:7], v[24:25]
	s_delay_alu instid0(VALU_DEP_4)
	v_mul_f64_e32 v[4:5], v[6:7], v[4:5]
	ds_store_b128 v9, v[2:5] offset:96
	s_wait_storecnt_dscnt 0x0
	ds_load_b128 v[20:23], v10 offset:96
	ds_load_b128 v[24:27], v16
	s_wait_dscnt 0x0
	v_fmac_f64_e32 v[24:25], v[2:3], v[20:21]
	v_fmac_f64_e32 v[26:27], v[4:5], v[20:21]
	s_delay_alu instid0(VALU_DEP_2) | instskip(NEXT) | instid1(VALU_DEP_2)
	v_fmac_f64_e32 v[24:25], v[4:5], v[22:23]
	v_fma_f64 v[26:27], v[2:3], -v[22:23], v[26:27]
	ds_store_b128 v16, v[24:27]
.LBB66_143:
	s_or_b32 exec_lo, exec_lo, s1
	s_delay_alu instid0(SALU_CYCLE_1)
	s_mov_b32 s1, exec_lo
	s_wait_storecnt_dscnt 0x0
	v_cmpx_eq_u32_e32 7, v15
	s_cbranch_execz .LBB66_150
; %bb.144:
	v_mov_b32_e32 v6, 0
	ds_load_b128 v[2:5], v6 offset:4576
	ds_load_b128 v[20:23], v6 offset:3424
	s_wait_dscnt 0x0
	v_add_f64_e64 v[2:3], v[20:21], -v[2:3]
	v_add_f64_e64 v[6:7], v[22:23], -v[4:5]
	s_delay_alu instid0(VALU_DEP_2) | instskip(SKIP_1) | instid1(VALU_DEP_3)
	v_cmp_gt_f64_e32 vcc_lo, 0, v[2:3]
	v_xor_b32_e32 v4, 0x80000000, v3
	v_xor_b32_e32 v5, 0x80000000, v7
	s_delay_alu instid0(VALU_DEP_2) | instskip(SKIP_1) | instid1(VALU_DEP_3)
	v_dual_cndmask_b32 v3, v3, v4 :: v_dual_mov_b32 v4, v6
	v_cmp_gt_f64_e32 vcc_lo, 0, v[6:7]
	v_cndmask_b32_e32 v5, v7, v5, vcc_lo
	s_delay_alu instid0(VALU_DEP_1)
	v_cmp_gt_f64_e32 vcc_lo, v[2:3], v[4:5]
	s_cbranch_vccnz .LBB66_147
; %bb.145:
	v_cmp_eq_f64_e32 vcc_lo, 0, v[6:7]
	s_cbranch_vccnz .LBB66_170
; %bb.146:
	v_div_scale_f64 v[6:7], null, v[4:5], v[4:5], v[2:3]
	v_div_scale_f64 v[22:23], vcc_lo, v[2:3], v[4:5], v[2:3]
	s_delay_alu instid0(VALU_DEP_2) | instskip(SKIP_1) | instid1(TRANS32_DEP_1)
	v_rcp_f64_e32 v[12:13], v[6:7]
	v_nop
	v_fma_f64 v[20:21], -v[6:7], v[12:13], 1.0
	s_delay_alu instid0(VALU_DEP_1) | instskip(NEXT) | instid1(VALU_DEP_1)
	v_fmac_f64_e32 v[12:13], v[12:13], v[20:21]
	v_fma_f64 v[20:21], -v[6:7], v[12:13], 1.0
	s_delay_alu instid0(VALU_DEP_1) | instskip(NEXT) | instid1(VALU_DEP_1)
	v_fmac_f64_e32 v[12:13], v[12:13], v[20:21]
	v_mul_f64_e32 v[20:21], v[22:23], v[12:13]
	s_delay_alu instid0(VALU_DEP_1) | instskip(NEXT) | instid1(VALU_DEP_1)
	v_fma_f64 v[6:7], -v[6:7], v[20:21], v[22:23]
	v_div_fmas_f64 v[6:7], v[6:7], v[12:13], v[20:21]
	s_delay_alu instid0(VALU_DEP_1) | instskip(NEXT) | instid1(VALU_DEP_1)
	v_div_fixup_f64 v[6:7], v[6:7], v[4:5], v[2:3]
	v_fma_f64 v[6:7], v[6:7], v[6:7], 1.0
	s_delay_alu instid0(VALU_DEP_1) | instskip(SKIP_2) | instid1(SALU_CYCLE_1)
	v_cmp_gt_f64_e32 vcc_lo, 0x10000000, v[6:7]
	s_and_b32 s3, vcc_lo, exec_lo
	s_cselect_b32 s3, 0x100, 0
	v_ldexp_f64 v[6:7], v[6:7], s3
	s_cselect_b32 s3, 0xffffff80, 0
	s_delay_alu instid0(VALU_DEP_1) | instskip(SKIP_1) | instid1(TRANS32_DEP_1)
	v_rsq_f64_e32 v[12:13], v[6:7]
	v_cmp_class_f64_e64 vcc_lo, v[6:7], 0x260
	v_mul_f64_e32 v[20:21], v[6:7], v[12:13]
	v_mul_f64_e32 v[12:13], 0.5, v[12:13]
	s_delay_alu instid0(VALU_DEP_1) | instskip(NEXT) | instid1(VALU_DEP_1)
	v_fma_f64 v[22:23], -v[12:13], v[20:21], 0.5
	v_fmac_f64_e32 v[20:21], v[20:21], v[22:23]
	v_fmac_f64_e32 v[12:13], v[12:13], v[22:23]
	s_delay_alu instid0(VALU_DEP_2) | instskip(NEXT) | instid1(VALU_DEP_1)
	v_fma_f64 v[22:23], -v[20:21], v[20:21], v[6:7]
	v_fmac_f64_e32 v[20:21], v[22:23], v[12:13]
	s_delay_alu instid0(VALU_DEP_1) | instskip(NEXT) | instid1(VALU_DEP_1)
	v_fma_f64 v[22:23], -v[20:21], v[20:21], v[6:7]
	v_fmac_f64_e32 v[20:21], v[22:23], v[12:13]
	s_delay_alu instid0(VALU_DEP_1) | instskip(NEXT) | instid1(VALU_DEP_1)
	v_ldexp_f64 v[12:13], v[20:21], s3
	v_dual_cndmask_b32 v7, v13, v7 :: v_dual_cndmask_b32 v6, v12, v6
	s_delay_alu instid0(VALU_DEP_1)
	v_mul_f64_e32 v[6:7], v[4:5], v[6:7]
	s_cbranch_execz .LBB66_148
	s_branch .LBB66_149
.LBB66_147:
                                        ; implicit-def: $vgpr6_vgpr7
.LBB66_148:
	v_div_scale_f64 v[6:7], null, v[2:3], v[2:3], v[4:5]
	v_div_scale_f64 v[22:23], vcc_lo, v[4:5], v[2:3], v[4:5]
	s_delay_alu instid0(VALU_DEP_2) | instskip(SKIP_1) | instid1(TRANS32_DEP_1)
	v_rcp_f64_e32 v[12:13], v[6:7]
	v_nop
	v_fma_f64 v[20:21], -v[6:7], v[12:13], 1.0
	s_delay_alu instid0(VALU_DEP_1) | instskip(NEXT) | instid1(VALU_DEP_1)
	v_fmac_f64_e32 v[12:13], v[12:13], v[20:21]
	v_fma_f64 v[20:21], -v[6:7], v[12:13], 1.0
	s_delay_alu instid0(VALU_DEP_1) | instskip(NEXT) | instid1(VALU_DEP_1)
	v_fmac_f64_e32 v[12:13], v[12:13], v[20:21]
	v_mul_f64_e32 v[20:21], v[22:23], v[12:13]
	s_delay_alu instid0(VALU_DEP_1) | instskip(NEXT) | instid1(VALU_DEP_1)
	v_fma_f64 v[6:7], -v[6:7], v[20:21], v[22:23]
	v_div_fmas_f64 v[6:7], v[6:7], v[12:13], v[20:21]
	s_delay_alu instid0(VALU_DEP_1) | instskip(NEXT) | instid1(VALU_DEP_1)
	v_div_fixup_f64 v[4:5], v[6:7], v[2:3], v[4:5]
	v_fma_f64 v[4:5], v[4:5], v[4:5], 1.0
	s_delay_alu instid0(VALU_DEP_1) | instskip(SKIP_2) | instid1(SALU_CYCLE_1)
	v_cmp_gt_f64_e32 vcc_lo, 0x10000000, v[4:5]
	s_and_b32 s3, vcc_lo, exec_lo
	s_cselect_b32 s3, 0x100, 0
	v_ldexp_f64 v[4:5], v[4:5], s3
	s_cselect_b32 s3, 0xffffff80, 0
	s_delay_alu instid0(VALU_DEP_1) | instskip(SKIP_1) | instid1(TRANS32_DEP_1)
	v_rsq_f64_e32 v[6:7], v[4:5]
	v_cmp_class_f64_e64 vcc_lo, v[4:5], 0x260
	v_mul_f64_e32 v[12:13], v[4:5], v[6:7]
	v_mul_f64_e32 v[6:7], 0.5, v[6:7]
	s_delay_alu instid0(VALU_DEP_1) | instskip(NEXT) | instid1(VALU_DEP_1)
	v_fma_f64 v[20:21], -v[6:7], v[12:13], 0.5
	v_fmac_f64_e32 v[12:13], v[12:13], v[20:21]
	v_fmac_f64_e32 v[6:7], v[6:7], v[20:21]
	s_delay_alu instid0(VALU_DEP_2) | instskip(NEXT) | instid1(VALU_DEP_1)
	v_fma_f64 v[20:21], -v[12:13], v[12:13], v[4:5]
	v_fmac_f64_e32 v[12:13], v[20:21], v[6:7]
	s_delay_alu instid0(VALU_DEP_1) | instskip(NEXT) | instid1(VALU_DEP_1)
	v_fma_f64 v[20:21], -v[12:13], v[12:13], v[4:5]
	v_fmac_f64_e32 v[12:13], v[20:21], v[6:7]
	s_delay_alu instid0(VALU_DEP_1) | instskip(NEXT) | instid1(VALU_DEP_1)
	v_ldexp_f64 v[6:7], v[12:13], s3
	v_dual_cndmask_b32 v5, v7, v5 :: v_dual_cndmask_b32 v4, v6, v4
	s_delay_alu instid0(VALU_DEP_1)
	v_mul_f64_e32 v[6:7], v[2:3], v[4:5]
.LBB66_149:
	s_delay_alu instid0(VALU_DEP_1) | instskip(SKIP_2) | instid1(SALU_CYCLE_1)
	v_cmp_gt_f64_e32 vcc_lo, 0x10000000, v[6:7]
	s_and_b32 s3, vcc_lo, exec_lo
	s_cselect_b32 s3, 0x100, 0
	v_ldexp_f64 v[2:3], v[6:7], s3
	s_cselect_b32 s3, 0xffffff80, 0
	s_delay_alu instid0(VALU_DEP_1) | instskip(SKIP_1) | instid1(TRANS32_DEP_1)
	v_rsq_f64_e32 v[4:5], v[2:3]
	v_cmp_class_f64_e64 vcc_lo, v[2:3], 0x260
	v_mul_f64_e32 v[6:7], v[2:3], v[4:5]
	v_mul_f64_e32 v[4:5], 0.5, v[4:5]
	s_delay_alu instid0(VALU_DEP_1) | instskip(NEXT) | instid1(VALU_DEP_1)
	v_fma_f64 v[12:13], -v[4:5], v[6:7], 0.5
	v_fmac_f64_e32 v[6:7], v[6:7], v[12:13]
	v_fmac_f64_e32 v[4:5], v[4:5], v[12:13]
	s_delay_alu instid0(VALU_DEP_2) | instskip(NEXT) | instid1(VALU_DEP_1)
	v_fma_f64 v[12:13], -v[6:7], v[6:7], v[2:3]
	v_fmac_f64_e32 v[6:7], v[12:13], v[4:5]
	s_delay_alu instid0(VALU_DEP_1) | instskip(NEXT) | instid1(VALU_DEP_1)
	v_fma_f64 v[12:13], -v[6:7], v[6:7], v[2:3]
	v_fmac_f64_e32 v[6:7], v[12:13], v[4:5]
	v_mov_b32_e32 v4, 0
	s_delay_alu instid0(VALU_DEP_1) | instskip(NEXT) | instid1(VALU_DEP_3)
	v_mov_b32_e32 v5, v4
	v_ldexp_f64 v[6:7], v[6:7], s3
	s_delay_alu instid0(VALU_DEP_1)
	v_dual_cndmask_b32 v3, v7, v3 :: v_dual_cndmask_b32 v2, v6, v2
	ds_store_b128 v4, v[2:5] offset:3424
.LBB66_150:
	s_or_b32 exec_lo, exec_lo, s1
	v_mov_b32_e32 v2, 0
	s_wait_dscnt 0x0
	ds_load_b128 v[2:5], v2 offset:3424
	s_wait_dscnt 0x0
	v_cmp_neq_f64_e32 vcc_lo, 0, v[2:3]
	v_cmp_neq_f64_e64 s1, 0, v[4:5]
	s_or_b32 vcc_lo, vcc_lo, s1
	v_cndmask_b32_e32 v3, 0x3ff00000, v3, vcc_lo
	v_dual_cndmask_b32 v2, 0, v2 :: v_dual_cndmask_b32 v5, 0, v5
	v_cndmask_b32_e32 v4, 0, v4, vcc_lo
	s_nor_b32 s1, vcc_lo, s0
	s_delay_alu instid0(SALU_CYCLE_1)
	s_and_saveexec_b32 s0, s1
	s_cbranch_execz .LBB66_154
; %bb.151:
	v_mbcnt_lo_u32_b32 v2, exec_lo, 0
	s_mov_b32 s1, exec_lo
	s_delay_alu instid0(VALU_DEP_1)
	v_cmpx_eq_u32_e32 0, v2
	s_cbranch_execz .LBB66_153
; %bb.152:
	v_dual_mov_b32 v2, 0 :: v_dual_mov_b32 v3, s2
	global_atomic_min_i32 v2, v3, s[10:11] scope:SCOPE_DEV
.LBB66_153:
	s_wait_xcnt 0x0
	s_or_b32 exec_lo, exec_lo, s1
	v_mov_b64_e32 v[4:5], 0
	v_mov_b64_e32 v[2:3], 1.0
.LBB66_154:
	s_or_b32 exec_lo, exec_lo, s0
	s_delay_alu instid0(SALU_CYCLE_1)
	s_mov_b32 s0, exec_lo
	v_cmpx_lt_u32_e32 7, v15
	s_cbranch_execz .LBB66_156
; %bb.155:
	s_delay_alu instid0(VALU_DEP_2) | instskip(NEXT) | instid1(VALU_DEP_1)
	v_mul_f64_e32 v[6:7], v[4:5], v[4:5]
	v_fmac_f64_e32 v[6:7], v[2:3], v[2:3]
	s_delay_alu instid0(VALU_DEP_1) | instskip(SKIP_1) | instid1(VALU_DEP_2)
	v_div_scale_f64 v[12:13], null, v[6:7], v[6:7], 1.0
	v_div_scale_f64 v[30:31], vcc_lo, 1.0, v[6:7], 1.0
	v_rcp_f64_e32 v[28:29], v[12:13]
	v_nop
	s_delay_alu instid0(TRANS32_DEP_1) | instskip(NEXT) | instid1(VALU_DEP_1)
	v_fma_f64 v[20:21], -v[12:13], v[28:29], 1.0
	v_fmac_f64_e32 v[28:29], v[28:29], v[20:21]
	s_delay_alu instid0(VALU_DEP_1) | instskip(NEXT) | instid1(VALU_DEP_1)
	v_fma_f64 v[20:21], -v[12:13], v[28:29], 1.0
	v_fmac_f64_e32 v[28:29], v[28:29], v[20:21]
	ds_load_b128 v[20:23], v9 offset:112
	ds_load_b128 v[24:27], v18 offset:112
	s_wait_dscnt 0x0
	v_add_f64_e64 v[18:19], v[22:23], -v[26:27]
	v_add_f64_e64 v[20:21], v[20:21], -v[24:25]
	v_mul_f64_e32 v[32:33], v[30:31], v[28:29]
	s_delay_alu instid0(VALU_DEP_3) | instskip(NEXT) | instid1(VALU_DEP_3)
	v_mul_f64_e32 v[22:23], v[4:5], v[18:19]
	v_mul_f64_e64 v[4:5], v[4:5], -v[20:21]
	s_delay_alu instid0(VALU_DEP_3) | instskip(NEXT) | instid1(VALU_DEP_3)
	v_fma_f64 v[12:13], -v[12:13], v[32:33], v[30:31]
	v_fmac_f64_e32 v[22:23], v[20:21], v[2:3]
	s_delay_alu instid0(VALU_DEP_3) | instskip(NEXT) | instid1(VALU_DEP_3)
	v_fmac_f64_e32 v[4:5], v[18:19], v[2:3]
	v_div_fmas_f64 v[12:13], v[12:13], v[28:29], v[32:33]
	s_delay_alu instid0(VALU_DEP_1) | instskip(NEXT) | instid1(VALU_DEP_1)
	v_div_fixup_f64 v[6:7], v[12:13], v[6:7], 1.0
	v_mul_f64_e32 v[2:3], v[6:7], v[22:23]
	s_delay_alu instid0(VALU_DEP_4)
	v_mul_f64_e32 v[4:5], v[6:7], v[4:5]
	ds_store_b128 v9, v[2:5] offset:112
	s_wait_storecnt_dscnt 0x0
	ds_load_b128 v[10:13], v10 offset:112
	ds_load_b128 v[18:21], v16
	s_wait_dscnt 0x0
	v_fmac_f64_e32 v[18:19], v[2:3], v[10:11]
	v_fmac_f64_e32 v[20:21], v[4:5], v[10:11]
	s_delay_alu instid0(VALU_DEP_2) | instskip(NEXT) | instid1(VALU_DEP_2)
	v_fmac_f64_e32 v[18:19], v[4:5], v[12:13]
	v_fma_f64 v[20:21], v[2:3], -v[12:13], v[20:21]
	ds_store_b128 v16, v[18:21]
.LBB66_156:
	s_or_b32 exec_lo, exec_lo, s0
	s_wait_storecnt_dscnt 0x0
	ds_load_2addr_b64 v[2:5], v8 offset1:1
	s_mov_b32 s0, 0
	s_mov_b32 s1, exec_lo
	s_wait_dscnt 0x0
	global_store_b128 v[0:1], v[2:5], off
	s_wait_xcnt 0x0
	v_cmpx_eq_u32_e32 0, v17
	s_cbranch_execz .LBB66_158
; %bb.157:
	v_dual_mov_b32 v0, 0 :: v_dual_mov_b32 v1, 1
	s_add_nc_u64 s[2:3], s[6:7], s[8:9]
	global_wb scope:SCOPE_DEV
	s_wait_storecnt 0x0
	global_store_b32 v0, v1, s[2:3] scope:SCOPE_DEV
.LBB66_158:
	s_wait_xcnt 0x0
	s_or_b32 exec_lo, exec_lo, s1
	s_delay_alu instid0(SALU_CYCLE_1)
	s_and_b32 vcc_lo, exec_lo, s0
	s_cbranch_vccz .LBB66_16
.LBB66_159:
	v_or_b32_e32 v0, v14, v15
	s_mov_b32 s0, exec_lo
	s_delay_alu instid0(VALU_DEP_1)
	v_cmpx_eq_u32_e32 0, v0
	s_cbranch_execz .LBB66_16
; %bb.160:
	v_mbcnt_lo_u32_b32 v0, exec_lo, 0
	s_mov_b32 s0, exec_lo
	s_delay_alu instid0(VALU_DEP_1)
	v_cmpx_eq_u32_e32 0, v0
	s_cbranch_execz .LBB66_162
; %bb.161:
	s_add_co_i32 s1, s16, s17
	s_delay_alu instid0(SALU_CYCLE_1)
	v_dual_mov_b32 v0, 0 :: v_dual_mov_b32 v1, s1
	global_atomic_min_i32 v0, v1, s[10:11] scope:SCOPE_DEV
.LBB66_162:
	s_wait_xcnt 0x0
	s_or_b32 exec_lo, exec_lo, s0
	v_dual_mov_b32 v0, 0 :: v_dual_mov_b32 v1, 1
	s_add_nc_u64 s[0:1], s[6:7], s[8:9]
	global_wb scope:SCOPE_DEV
	s_wait_storecnt 0x0
	global_store_b32 v0, v1, s[0:1] scope:SCOPE_DEV
	s_sendmsg sendmsg(MSG_DEALLOC_VGPRS)
	s_endpgm
.LBB66_163:
	v_mov_b64_e32 v[6:7], 0
	s_cbranch_execz .LBB66_57
	s_branch .LBB66_58
.LBB66_164:
	v_mov_b64_e32 v[6:7], 0
	s_cbranch_execz .LBB66_70
	s_branch .LBB66_71
.LBB66_165:
	v_mov_b64_e32 v[6:7], 0
	s_cbranch_execz .LBB66_83
	s_branch .LBB66_84
.LBB66_166:
	v_mov_b64_e32 v[6:7], 0
	s_cbranch_execz .LBB66_96
	s_branch .LBB66_97
.LBB66_167:
	v_mov_b64_e32 v[6:7], 0
	s_cbranch_execz .LBB66_109
	s_branch .LBB66_110
.LBB66_168:
	v_mov_b64_e32 v[6:7], 0
	s_cbranch_execz .LBB66_122
	s_branch .LBB66_123
.LBB66_169:
	v_mov_b64_e32 v[6:7], 0
	s_cbranch_execz .LBB66_135
	s_branch .LBB66_136
.LBB66_170:
	v_mov_b64_e32 v[6:7], 0
	s_cbranch_execz .LBB66_148
	s_branch .LBB66_149
	.section	.rodata,"a",@progbits
	.p2align	6, 0x0
	.amdhsa_kernel _ZN9rocsparseL26bsric0_2_8_unrolled_kernelILi64ELi32ELi8E21rocsparse_complex_numIdEEEv20rocsparse_direction_iiPKiS5_PT2_S5_PiS5_S8_21rocsparse_index_base_
		.amdhsa_group_segment_fixed_size 4992
		.amdhsa_private_segment_fixed_size 0
		.amdhsa_kernarg_size 76
		.amdhsa_user_sgpr_count 2
		.amdhsa_user_sgpr_dispatch_ptr 0
		.amdhsa_user_sgpr_queue_ptr 0
		.amdhsa_user_sgpr_kernarg_segment_ptr 1
		.amdhsa_user_sgpr_dispatch_id 0
		.amdhsa_user_sgpr_kernarg_preload_length 0
		.amdhsa_user_sgpr_kernarg_preload_offset 0
		.amdhsa_user_sgpr_private_segment_size 0
		.amdhsa_wavefront_size32 1
		.amdhsa_uses_dynamic_stack 0
		.amdhsa_enable_private_segment 0
		.amdhsa_system_sgpr_workgroup_id_x 1
		.amdhsa_system_sgpr_workgroup_id_y 0
		.amdhsa_system_sgpr_workgroup_id_z 0
		.amdhsa_system_sgpr_workgroup_info 0
		.amdhsa_system_vgpr_workitem_id 1
		.amdhsa_next_free_vgpr 81
		.amdhsa_next_free_sgpr 37
		.amdhsa_named_barrier_count 0
		.amdhsa_reserve_vcc 1
		.amdhsa_float_round_mode_32 0
		.amdhsa_float_round_mode_16_64 0
		.amdhsa_float_denorm_mode_32 3
		.amdhsa_float_denorm_mode_16_64 3
		.amdhsa_fp16_overflow 0
		.amdhsa_memory_ordered 1
		.amdhsa_forward_progress 1
		.amdhsa_inst_pref_size 111
		.amdhsa_round_robin_scheduling 0
		.amdhsa_exception_fp_ieee_invalid_op 0
		.amdhsa_exception_fp_denorm_src 0
		.amdhsa_exception_fp_ieee_div_zero 0
		.amdhsa_exception_fp_ieee_overflow 0
		.amdhsa_exception_fp_ieee_underflow 0
		.amdhsa_exception_fp_ieee_inexact 0
		.amdhsa_exception_int_div_zero 0
	.end_amdhsa_kernel
	.section	.text._ZN9rocsparseL26bsric0_2_8_unrolled_kernelILi64ELi32ELi8E21rocsparse_complex_numIdEEEv20rocsparse_direction_iiPKiS5_PT2_S5_PiS5_S8_21rocsparse_index_base_,"axG",@progbits,_ZN9rocsparseL26bsric0_2_8_unrolled_kernelILi64ELi32ELi8E21rocsparse_complex_numIdEEEv20rocsparse_direction_iiPKiS5_PT2_S5_PiS5_S8_21rocsparse_index_base_,comdat
.Lfunc_end66:
	.size	_ZN9rocsparseL26bsric0_2_8_unrolled_kernelILi64ELi32ELi8E21rocsparse_complex_numIdEEEv20rocsparse_direction_iiPKiS5_PT2_S5_PiS5_S8_21rocsparse_index_base_, .Lfunc_end66-_ZN9rocsparseL26bsric0_2_8_unrolled_kernelILi64ELi32ELi8E21rocsparse_complex_numIdEEEv20rocsparse_direction_iiPKiS5_PT2_S5_PiS5_S8_21rocsparse_index_base_
                                        ; -- End function
	.set _ZN9rocsparseL26bsric0_2_8_unrolled_kernelILi64ELi32ELi8E21rocsparse_complex_numIdEEEv20rocsparse_direction_iiPKiS5_PT2_S5_PiS5_S8_21rocsparse_index_base_.num_vgpr, 81
	.set _ZN9rocsparseL26bsric0_2_8_unrolled_kernelILi64ELi32ELi8E21rocsparse_complex_numIdEEEv20rocsparse_direction_iiPKiS5_PT2_S5_PiS5_S8_21rocsparse_index_base_.num_agpr, 0
	.set _ZN9rocsparseL26bsric0_2_8_unrolled_kernelILi64ELi32ELi8E21rocsparse_complex_numIdEEEv20rocsparse_direction_iiPKiS5_PT2_S5_PiS5_S8_21rocsparse_index_base_.numbered_sgpr, 37
	.set _ZN9rocsparseL26bsric0_2_8_unrolled_kernelILi64ELi32ELi8E21rocsparse_complex_numIdEEEv20rocsparse_direction_iiPKiS5_PT2_S5_PiS5_S8_21rocsparse_index_base_.num_named_barrier, 0
	.set _ZN9rocsparseL26bsric0_2_8_unrolled_kernelILi64ELi32ELi8E21rocsparse_complex_numIdEEEv20rocsparse_direction_iiPKiS5_PT2_S5_PiS5_S8_21rocsparse_index_base_.private_seg_size, 0
	.set _ZN9rocsparseL26bsric0_2_8_unrolled_kernelILi64ELi32ELi8E21rocsparse_complex_numIdEEEv20rocsparse_direction_iiPKiS5_PT2_S5_PiS5_S8_21rocsparse_index_base_.uses_vcc, 1
	.set _ZN9rocsparseL26bsric0_2_8_unrolled_kernelILi64ELi32ELi8E21rocsparse_complex_numIdEEEv20rocsparse_direction_iiPKiS5_PT2_S5_PiS5_S8_21rocsparse_index_base_.uses_flat_scratch, 0
	.set _ZN9rocsparseL26bsric0_2_8_unrolled_kernelILi64ELi32ELi8E21rocsparse_complex_numIdEEEv20rocsparse_direction_iiPKiS5_PT2_S5_PiS5_S8_21rocsparse_index_base_.has_dyn_sized_stack, 0
	.set _ZN9rocsparseL26bsric0_2_8_unrolled_kernelILi64ELi32ELi8E21rocsparse_complex_numIdEEEv20rocsparse_direction_iiPKiS5_PT2_S5_PiS5_S8_21rocsparse_index_base_.has_recursion, 0
	.set _ZN9rocsparseL26bsric0_2_8_unrolled_kernelILi64ELi32ELi8E21rocsparse_complex_numIdEEEv20rocsparse_direction_iiPKiS5_PT2_S5_PiS5_S8_21rocsparse_index_base_.has_indirect_call, 0
	.section	.AMDGPU.csdata,"",@progbits
; Kernel info:
; codeLenInByte = 14112
; TotalNumSgprs: 39
; NumVgprs: 81
; ScratchSize: 0
; MemoryBound: 1
; FloatMode: 240
; IeeeMode: 1
; LDSByteSize: 4992 bytes/workgroup (compile time only)
; SGPRBlocks: 0
; VGPRBlocks: 5
; NumSGPRsForWavesPerEU: 39
; NumVGPRsForWavesPerEU: 81
; NamedBarCnt: 0
; Occupancy: 10
; WaveLimiterHint : 1
; COMPUTE_PGM_RSRC2:SCRATCH_EN: 0
; COMPUTE_PGM_RSRC2:USER_SGPR: 2
; COMPUTE_PGM_RSRC2:TRAP_HANDLER: 0
; COMPUTE_PGM_RSRC2:TGID_X_EN: 1
; COMPUTE_PGM_RSRC2:TGID_Y_EN: 0
; COMPUTE_PGM_RSRC2:TGID_Z_EN: 0
; COMPUTE_PGM_RSRC2:TIDIG_COMP_CNT: 1
	.section	.text._ZN9rocsparseL18bsric0_9_16_kernelILi64ELi32ELi16E21rocsparse_complex_numIdEEEv20rocsparse_direction_iiPKiS5_PT2_S5_PiS5_S8_21rocsparse_index_base_,"axG",@progbits,_ZN9rocsparseL18bsric0_9_16_kernelILi64ELi32ELi16E21rocsparse_complex_numIdEEEv20rocsparse_direction_iiPKiS5_PT2_S5_PiS5_S8_21rocsparse_index_base_,comdat
	.globl	_ZN9rocsparseL18bsric0_9_16_kernelILi64ELi32ELi16E21rocsparse_complex_numIdEEEv20rocsparse_direction_iiPKiS5_PT2_S5_PiS5_S8_21rocsparse_index_base_ ; -- Begin function _ZN9rocsparseL18bsric0_9_16_kernelILi64ELi32ELi16E21rocsparse_complex_numIdEEEv20rocsparse_direction_iiPKiS5_PT2_S5_PiS5_S8_21rocsparse_index_base_
	.p2align	8
	.type	_ZN9rocsparseL18bsric0_9_16_kernelILi64ELi32ELi16E21rocsparse_complex_numIdEEEv20rocsparse_direction_iiPKiS5_PT2_S5_PiS5_S8_21rocsparse_index_base_,@function
_ZN9rocsparseL18bsric0_9_16_kernelILi64ELi32ELi16E21rocsparse_complex_numIdEEEv20rocsparse_direction_iiPKiS5_PT2_S5_PiS5_S8_21rocsparse_index_base_: ; @_ZN9rocsparseL18bsric0_9_16_kernelILi64ELi32ELi16E21rocsparse_complex_numIdEEEv20rocsparse_direction_iiPKiS5_PT2_S5_PiS5_S8_21rocsparse_index_base_
; %bb.0:
	s_load_b256 s[4:11], s[0:1], 0x28
	s_bfe_u32 s2, ttmp6, 0x4000c
	s_and_b32 s3, ttmp6, 15
	s_add_co_i32 s2, s2, 1
	s_getreg_b32 s12, hwreg(HW_REG_IB_STS2, 6, 4)
	s_mul_i32 s2, ttmp9, s2
	v_and_b32_e32 v16, 0x3ff, v0
	s_add_co_i32 s3, s3, s2
	s_cmp_eq_u32 s12, 0
	v_bfe_u32 v17, v0, 10, 10
	s_cselect_b32 s2, ttmp9, s3
	s_wait_kmcnt 0x0
	s_load_b32 s16, s[8:9], s2 offset:0x0 scale_offset
	s_wait_kmcnt 0x0
	s_ashr_i32 s17, s16, 31
	s_delay_alu instid0(SALU_CYCLE_1) | instskip(NEXT) | instid1(SALU_CYCLE_1)
	s_lshl_b64 s[8:9], s[16:17], 2
	s_add_nc_u64 s[2:3], s[4:5], s[8:9]
	s_load_b32 s28, s[2:3], 0x0
	s_load_b32 s17, s[0:1], 0x48
	s_wait_kmcnt 0x0
	s_cmp_lg_u32 s28, -1
	s_cbranch_scc0 .LBB67_134
; %bb.1:
	s_clause 0x1
	s_load_b128 s[12:15], s[0:1], 0x10
	s_load_b64 s[18:19], s[0:1], 0x20
	v_dual_lshlrev_b32 v0, 2, v17 :: v_dual_lshlrev_b32 v20, 4, v17
	s_wait_kmcnt 0x0
	s_add_nc_u64 s[2:3], s[12:13], s[8:9]
	s_load_b32 s2, s[2:3], 0x0
	s_wait_kmcnt 0x0
	s_sub_co_i32 s31, s2, s17
	s_mov_b32 s2, exec_lo
	v_add3_u32 v0, v0, v16, s31
	s_delay_alu instid0(VALU_DEP_1)
	v_cmpx_ge_i32_e64 s28, v0
	s_cbranch_execz .LBB67_4
; %bb.2:
	v_lshlrev_b32_e32 v1, 2, v16
	s_mov_b32 s3, 0
	s_delay_alu instid0(VALU_DEP_1)
	v_add3_u32 v1, v20, v1, 0x4500
.LBB67_3:                               ; =>This Inner Loop Header: Depth=1
	global_load_b32 v2, v0, s[14:15] scale_offset
	s_wait_xcnt 0x0
	v_add_nc_u32_e32 v0, 64, v0
	s_delay_alu instid0(VALU_DEP_1)
	v_cmp_lt_i32_e32 vcc_lo, s28, v0
	s_or_b32 s3, vcc_lo, s3
	s_wait_loadcnt 0x0
	v_subrev_nc_u32_e32 v2, s17, v2
	ds_store_b32 v1, v2
	v_add_nc_u32_e32 v1, 0x100, v1
	s_and_not1_b32 exec_lo, exec_lo, s3
	s_cbranch_execnz .LBB67_3
.LBB67_4:
	s_or_b32 exec_lo, exec_lo, s2
	v_mul_u32_u24_e32 v18, 0x110, v17
	v_lshlrev_b32_e32 v19, 4, v16
	s_mov_b32 s2, exec_lo
	v_cmpx_gt_u32_e32 16, v16
	s_cbranch_execz .LBB67_7
; %bb.5:
	v_dual_mov_b32 v0, 0 :: v_dual_add_nc_u32 v4, -4, v16
	v_add3_u32 v5, v18, v19, 0x3300
	s_mov_b32 s3, 0
	s_delay_alu instid0(VALU_DEP_2)
	v_dual_mov_b32 v1, v0 :: v_dual_mov_b32 v2, v0
	v_mov_b32_e32 v3, v0
.LBB67_6:                               ; =>This Inner Loop Header: Depth=1
	v_add_nc_u32_e32 v4, 4, v4
	ds_store_b128 v5, v[0:3]
	v_add_nc_u32_e32 v5, 64, v5
	v_cmp_lt_u32_e32 vcc_lo, 11, v4
	s_or_b32 s3, vcc_lo, s3
	s_delay_alu instid0(SALU_CYCLE_1)
	s_and_not1_b32 exec_lo, exec_lo, s3
	s_cbranch_execnz .LBB67_6
.LBB67_7:
	s_or_b32 exec_lo, exec_lo, s2
	s_clause 0x1
	s_load_b32 s29, s[0:1], 0x8
	s_load_b32 s30, s[0:1], 0x0
	s_cmp_ge_i32 s31, s28
	s_wait_dscnt 0x0
	s_wait_kmcnt 0x0
	v_cmp_gt_i32_e64 s0, s29, v16
	s_cbranch_scc1 .LBB67_89
; %bb.8:
	v_mad_u32 v0, s29, s31, v17
	v_mul_lo_u32 v24, s29, v17
	v_mul_lo_u32 v26, v16, s29
	v_or_b32_e32 v1, v16, v17
	v_mad_u32_u24 v22, 0x110, v17, v19
	s_movk_i32 s3, 0x110
	s_movk_i32 s2, 0x1100
	s_cmp_lg_u32 s30, 0
	v_cmp_gt_i32_e64 s1, s29, v17
	v_mad_u32_u24 v21, v17, s3, 0x2200
	v_mad_u32_u24 v23, 0x110, v17, s2
	v_mul_lo_u32 v29, s29, v0
	v_add_nc_u32_e32 v25, 0x1100, v22
	v_add_nc_u32_e32 v27, 0x3300, v22
	v_mad_u32_u24 v28, v16, s3, 0x2200
	v_add_nc_u32_e32 v30, 0x2200, v22
	v_mov_b32_e32 v0, 0
	v_cmp_ne_u32_e64 s2, 0, v1
	s_cselect_b32 s33, -1, 0
	s_cmp_gt_i32 s29, 0
	s_mul_i32 s35, s29, s29
	s_cselect_b32 s34, -1, 0
	s_lshl_b32 s36, s29, 2
	s_mov_b32 s20, s31
	s_branch .LBB67_10
.LBB67_9:                               ;   in Loop: Header=BB67_10 Depth=1
	s_or_b32 exec_lo, exec_lo, s3
	s_add_co_i32 s20, s20, 1
	v_add_nc_u32_e32 v29, s35, v29
	s_cmp_ge_i32 s20, s28
	global_wb scope:SCOPE_DEV
	s_wait_storecnt 0x0
	global_inv scope:SCOPE_DEV
	s_cselect_b32 s3, -1, 0
	s_delay_alu instid0(SALU_CYCLE_1)
	s_and_b32 vcc_lo, exec_lo, s3
	s_cbranch_vccnz .LBB67_89
.LBB67_10:                              ; =>This Loop Header: Depth=1
                                        ;     Child Loop BB67_14 Depth 2
                                        ;     Child Loop BB67_26 Depth 2
	;; [unrolled: 1-line block ×5, first 2 shown]
                                        ;       Child Loop BB67_56 Depth 3
                                        ;     Child Loop BB67_70 Depth 2
                                        ;       Child Loop BB67_75 Depth 3
                                        ;       Child Loop BB67_78 Depth 3
                                        ;     Child Loop BB67_84 Depth 2
	s_ashr_i32 s21, s20, 31
	s_delay_alu instid0(SALU_CYCLE_1) | instskip(NEXT) | instid1(SALU_CYCLE_1)
	s_lshl_b64 s[22:23], s[20:21], 2
	s_add_nc_u64 s[22:23], s[14:15], s[22:23]
	s_load_b32 s37, s[22:23], 0x0
	s_wait_kmcnt 0x0
	s_sub_co_i32 s24, s37, s17
	s_delay_alu instid0(SALU_CYCLE_1) | instskip(SKIP_2) | instid1(SALU_CYCLE_1)
	s_ashr_i32 s25, s24, 31
	s_wait_xcnt 0x0
	s_lshl_b64 s[22:23], s[24:25], 2
	s_add_nc_u64 s[26:27], s[4:5], s[22:23]
	s_load_b32 s3, s[26:27], 0x0
	s_wait_kmcnt 0x0
	s_cmp_eq_u32 s3, -1
	s_cbranch_scc1 .LBB67_88
; %bb.11:                               ;   in Loop: Header=BB67_10 Depth=1
	s_wait_xcnt 0x0
	s_add_nc_u64 s[26:27], s[12:13], s[22:23]
	s_mul_i32 s21, s20, s29
	s_load_b32 s25, s[26:27], 0x0
	s_wait_xcnt 0x0
	s_and_saveexec_b32 s26, s0
	s_cbranch_execz .LBB67_24
; %bb.12:                               ;   in Loop: Header=BB67_10 Depth=1
	v_dual_mov_b32 v8, v25 :: v_dual_mov_b32 v9, v16
	s_mov_b32 s27, 0
	s_branch .LBB67_14
.LBB67_13:                              ;   in Loop: Header=BB67_14 Depth=2
	s_wait_xcnt 0x0
	s_or_b32 exec_lo, exec_lo, s39
	v_dual_mov_b32 v1, v0 :: v_dual_add_nc_u32 v9, 4, v9
	v_dual_mov_b32 v2, v0 :: v_dual_mov_b32 v3, v0
	s_wait_loadcnt 0x0
	ds_store_b128 v8, v[4:7] offset:4352
	ds_store_b128 v8, v[0:3]
	v_cmp_le_i32_e32 vcc_lo, s29, v9
	v_add_nc_u32_e32 v8, 64, v8
	s_or_b32 s27, vcc_lo, s27
	s_delay_alu instid0(SALU_CYCLE_1)
	s_and_not1_b32 exec_lo, exec_lo, s27
	s_cbranch_execz .LBB67_24
.LBB67_14:                              ;   Parent Loop BB67_10 Depth=1
                                        ; =>  This Inner Loop Header: Depth=2
	s_and_b32 vcc_lo, exec_lo, s33
	s_cbranch_vccz .LBB67_21
; %bb.15:                               ;   in Loop: Header=BB67_14 Depth=2
	s_mov_b32 s39, 0
	s_mov_b32 s38, 0
                                        ; implicit-def: $vgpr1
	s_and_saveexec_b32 s40, s1
	s_delay_alu instid0(SALU_CYCLE_1)
	s_xor_b32 s40, exec_lo, s40
; %bb.16:                               ;   in Loop: Header=BB67_14 Depth=2
	v_add_nc_u32_e32 v1, s21, v9
	s_mov_b32 s38, exec_lo
	s_delay_alu instid0(VALU_DEP_1)
	v_mad_u32 v1, v1, s29, v17
; %bb.17:                               ;   in Loop: Header=BB67_14 Depth=2
	s_or_b32 exec_lo, exec_lo, s40
	s_delay_alu instid0(SALU_CYCLE_1)
	s_and_b32 vcc_lo, exec_lo, s39
	s_cbranch_vccz .LBB67_22
.LBB67_18:                              ;   in Loop: Header=BB67_14 Depth=2
                                        ; implicit-def: $vgpr1
	s_and_saveexec_b32 s39, s1
; %bb.19:                               ;   in Loop: Header=BB67_14 Depth=2
	v_add_nc_u32_e32 v1, v29, v9
	s_or_b32 s38, s38, exec_lo
; %bb.20:                               ;   in Loop: Header=BB67_14 Depth=2
	s_or_b32 exec_lo, exec_lo, s39
	v_mov_b64_e32 v[4:5], 0
	v_mov_b64_e32 v[6:7], 0
	s_and_saveexec_b32 s39, s38
	s_cbranch_execz .LBB67_13
	s_branch .LBB67_23
.LBB67_21:                              ;   in Loop: Header=BB67_14 Depth=2
	s_mov_b32 s38, 0
                                        ; implicit-def: $vgpr1
	s_cbranch_execnz .LBB67_18
.LBB67_22:                              ;   in Loop: Header=BB67_14 Depth=2
	v_mov_b64_e32 v[4:5], 0
	v_mov_b64_e32 v[6:7], 0
	s_and_saveexec_b32 s39, s38
	s_cbranch_execz .LBB67_13
.LBB67_23:                              ;   in Loop: Header=BB67_14 Depth=2
	global_load_b128 v[4:7], v1, s[18:19] scale_offset
	s_branch .LBB67_13
.LBB67_24:                              ;   in Loop: Header=BB67_10 Depth=1
	s_or_b32 exec_lo, exec_lo, s26
	ds_load_b32 v1, v0 offset:17664
	s_wait_kmcnt 0x0
	s_sub_co_i32 s26, s25, s17
	s_delay_alu instid0(SALU_CYCLE_1) | instskip(SKIP_4) | instid1(SALU_CYCLE_1)
	s_cmp_le_i32 s26, s3
	s_cselect_b32 s25, -1, 0
	s_wait_dscnt 0x0
	v_cmp_ge_i32_e32 vcc_lo, s24, v1
	s_and_b32 s25, s25, vcc_lo
	s_and_not1_b32 vcc_lo, exec_lo, s25
	s_mov_b32 s25, 0
	s_cbranch_vccnz .LBB67_36
; %bb.25:                               ;   in Loop: Header=BB67_10 Depth=1
	s_mov_b32 s38, 0
	s_mov_b32 s39, 0
.LBB67_26:                              ;   Parent Loop BB67_10 Depth=1
                                        ; =>  This Inner Loop Header: Depth=2
	s_ashr_i32 s27, s26, 31
	s_lshl_b32 s25, s39, 2
	s_wait_xcnt 0x0
	s_lshl_b64 s[40:41], s[26:27], 2
	v_mov_b32_e32 v1, s25
	s_add_nc_u64 s[40:41], s[14:15], s[40:41]
	s_mov_b32 s42, -1
	s_load_b32 s25, s[40:41], 0x0
                                        ; implicit-def: $sgpr41
                                        ; implicit-def: $sgpr40
	ds_load_b32 v1, v1 offset:17664
	s_wait_kmcnt 0x0
	s_sub_co_i32 s43, s25, s17
                                        ; implicit-def: $sgpr25
	s_wait_dscnt 0x0
	v_readfirstlane_b32 s27, v1
	v_cmp_ge_i32_e32 vcc_lo, s43, v1
	s_cbranch_vccz .LBB67_32
; %bb.27:                               ;   in Loop: Header=BB67_26 Depth=2
	s_cmp_le_i32 s43, s27
                                        ; implicit-def: $sgpr25
                                        ; implicit-def: $sgpr41
                                        ; implicit-def: $sgpr40
	s_cbranch_scc0 .LBB67_29
; %bb.28:                               ;   in Loop: Header=BB67_26 Depth=2
	s_add_co_i32 s25, s39, s31
	s_wait_xcnt 0x0
	s_lshl_b32 s40, s38, 2
	s_mul_i32 s25, s25, s35
	s_mul_i32 s41, s26, s35
	s_delay_alu instid0(SALU_CYCLE_1)
	v_dual_mov_b32 v1, s25 :: v_dual_mov_b32 v2, s41
	v_add_nc_u32_e64 v3, 0x4400, s40
	s_add_co_i32 s40, s39, 1
	s_add_co_i32 s41, s26, 1
	s_add_co_i32 s25, s38, 1
	s_mov_b32 s42, 0
	ds_store_2addr_b32 v3, v2, v1 offset1:32
.LBB67_29:                              ;   in Loop: Header=BB67_26 Depth=2
	s_and_not1_b32 vcc_lo, exec_lo, s42
	s_cbranch_vccnz .LBB67_31
; %bb.30:                               ;   in Loop: Header=BB67_26 Depth=2
	s_wait_xcnt 0x0
	s_add_co_i32 s40, s39, 1
	s_mov_b32 s25, s38
	s_mov_b32 s41, s26
.LBB67_31:                              ;   in Loop: Header=BB67_26 Depth=2
	s_mov_b32 s42, 0
.LBB67_32:                              ;   in Loop: Header=BB67_26 Depth=2
	s_delay_alu instid0(SALU_CYCLE_1)
	s_and_not1_b32 vcc_lo, exec_lo, s42
	s_cbranch_vccnz .LBB67_34
; %bb.33:                               ;   in Loop: Header=BB67_26 Depth=2
	s_wait_xcnt 0x0
	s_add_co_i32 s41, s26, 1
	s_mov_b32 s40, s39
	s_mov_b32 s25, s38
.LBB67_34:                              ;   in Loop: Header=BB67_26 Depth=2
	s_cmp_le_i32 s41, s3
	s_cselect_b32 s26, -1, 0
	s_cmp_le_i32 s27, s24
	s_cselect_b32 s27, -1, 0
	s_delay_alu instid0(SALU_CYCLE_1) | instskip(NEXT) | instid1(SALU_CYCLE_1)
	s_and_b32 s26, s26, s27
	s_and_b32 vcc_lo, exec_lo, s26
	s_cbranch_vccz .LBB67_36
; %bb.35:                               ;   in Loop: Header=BB67_26 Depth=2
	s_mov_b32 s38, s25
	s_mov_b32 s26, s41
	;; [unrolled: 1-line block ×3, first 2 shown]
	s_branch .LBB67_26
.LBB67_36:                              ;   in Loop: Header=BB67_10 Depth=1
	s_add_nc_u64 s[22:23], s[6:7], s[22:23]
	s_wait_dscnt 0x0
.LBB67_37:                              ;   Parent Loop BB67_10 Depth=1
                                        ; =>  This Inner Loop Header: Depth=2
	global_load_b32 v1, v0, s[22:23] scope:SCOPE_DEV
	s_wait_loadcnt 0x0
	v_cmp_eq_u32_e32 vcc_lo, 0, v1
	s_cbranch_vccnz .LBB67_37
; %bb.38:                               ;   in Loop: Header=BB67_10 Depth=1
	global_inv scope:SCOPE_DEV
	s_wait_xcnt 0x0
	s_and_saveexec_b32 s22, s0
	s_cbranch_execz .LBB67_51
; %bb.39:                               ;   in Loop: Header=BB67_10 Depth=1
	s_mul_i32 s3, s3, s29
	s_delay_alu instid0(SALU_CYCLE_1) | instskip(SKIP_2) | instid1(VALU_DEP_2)
	v_dual_mov_b32 v7, v16 :: v_dual_add_nc_u32 v1, s3, v17
	v_mov_b32_e32 v6, v22
	s_mov_b32 s23, 0
	v_mul_lo_u32 v1, v1, s29
	s_branch .LBB67_41
.LBB67_40:                              ;   in Loop: Header=BB67_41 Depth=2
	s_wait_xcnt 0x0
	s_or_b32 exec_lo, exec_lo, s26
	v_add_nc_u32_e32 v7, 4, v7
	s_wait_loadcnt 0x0
	ds_store_b128 v6, v[2:5]
	v_add_nc_u32_e32 v6, 64, v6
	v_cmp_le_i32_e32 vcc_lo, s29, v7
	s_or_b32 s23, vcc_lo, s23
	s_delay_alu instid0(SALU_CYCLE_1)
	s_and_not1_b32 exec_lo, exec_lo, s23
	s_cbranch_execz .LBB67_51
.LBB67_41:                              ;   Parent Loop BB67_10 Depth=1
                                        ; =>  This Inner Loop Header: Depth=2
	s_and_b32 vcc_lo, exec_lo, s33
	s_cbranch_vccz .LBB67_48
; %bb.42:                               ;   in Loop: Header=BB67_41 Depth=2
	s_mov_b32 s26, 0
	s_mov_b32 s24, 0
                                        ; implicit-def: $vgpr8
	s_and_saveexec_b32 s27, s1
	s_delay_alu instid0(SALU_CYCLE_1)
	s_xor_b32 s27, exec_lo, s27
; %bb.43:                               ;   in Loop: Header=BB67_41 Depth=2
	v_add_nc_u32_e32 v2, s3, v7
	s_mov_b32 s24, exec_lo
	s_delay_alu instid0(VALU_DEP_1)
	v_mad_u32 v8, v2, s29, v17
; %bb.44:                               ;   in Loop: Header=BB67_41 Depth=2
	s_or_b32 exec_lo, exec_lo, s27
	s_delay_alu instid0(SALU_CYCLE_1)
	s_and_b32 vcc_lo, exec_lo, s26
	s_cbranch_vccz .LBB67_49
.LBB67_45:                              ;   in Loop: Header=BB67_41 Depth=2
                                        ; implicit-def: $vgpr8
	s_and_saveexec_b32 s26, s1
; %bb.46:                               ;   in Loop: Header=BB67_41 Depth=2
	s_delay_alu instid0(VALU_DEP_1)
	v_add_nc_u32_e32 v8, v1, v7
	s_or_b32 s24, s24, exec_lo
; %bb.47:                               ;   in Loop: Header=BB67_41 Depth=2
	s_or_b32 exec_lo, exec_lo, s26
	v_mov_b64_e32 v[2:3], 0
	v_mov_b64_e32 v[4:5], 0
	s_and_saveexec_b32 s26, s24
	s_cbranch_execz .LBB67_40
	s_branch .LBB67_50
.LBB67_48:                              ;   in Loop: Header=BB67_41 Depth=2
	s_mov_b32 s24, 0
                                        ; implicit-def: $vgpr8
	s_cbranch_execnz .LBB67_45
.LBB67_49:                              ;   in Loop: Header=BB67_41 Depth=2
	v_mov_b64_e32 v[2:3], 0
	v_mov_b64_e32 v[4:5], 0
	s_and_saveexec_b32 s26, s24
	s_cbranch_execz .LBB67_40
.LBB67_50:                              ;   in Loop: Header=BB67_41 Depth=2
	global_load_b128 v[2:5], v8, s[18:19] scale_offset
	s_branch .LBB67_40
.LBB67_51:                              ;   in Loop: Header=BB67_10 Depth=1
	s_or_b32 exec_lo, exec_lo, s22
	s_cmp_lt_i32 s25, 2
	s_cbranch_scc1 .LBB67_67
; %bb.52:                               ;   in Loop: Header=BB67_10 Depth=1
	s_add_co_i32 s3, s25, -2
	s_mov_b32 s22, 0
	s_branch .LBB67_54
.LBB67_53:                              ;   in Loop: Header=BB67_54 Depth=2
	s_or_b32 exec_lo, exec_lo, s23
	s_add_co_i32 s23, s22, 1
	s_cmp_eq_u32 s22, s3
	s_mov_b32 s22, s23
	s_cbranch_scc1 .LBB67_67
.LBB67_54:                              ;   Parent Loop BB67_10 Depth=1
                                        ; =>  This Loop Header: Depth=2
                                        ;       Child Loop BB67_56 Depth 3
	s_and_saveexec_b32 s23, s0
	s_cbranch_execz .LBB67_53
; %bb.55:                               ;   in Loop: Header=BB67_54 Depth=2
	s_lshl_b32 s24, s22, 2
	v_mov_b32_e32 v34, v16
	v_add_nc_u32_e64 v1, 0x4400, s24
	s_mov_b32 s24, 0
	ds_load_2addr_b32 v[2:3], v1 offset1:32
	s_wait_dscnt 0x0
	v_dual_add_nc_u32 v1, v3, v24 :: v_dual_add_nc_u32 v31, v17, v3
	v_dual_add_nc_u32 v32, v16, v2 :: v_dual_add_nc_u32 v33, v26, v2
.LBB67_56:                              ;   Parent Loop BB67_10 Depth=1
                                        ;     Parent Loop BB67_54 Depth=2
                                        ; =>    This Inner Loop Header: Depth=3
	v_mov_b64_e32 v[10:11], 0
	v_mov_b64_e32 v[12:13], 0
	s_delay_alu instid0(VALU_DEP_3)
	v_dual_mov_b32 v35, v32 :: v_dual_mov_b32 v36, v31
	s_mov_b32 s25, 0
	s_and_b32 vcc_lo, exec_lo, s33
	s_cbranch_vccnz .LBB67_59
	s_branch .LBB67_58
.LBB67_57:                              ;   in Loop: Header=BB67_56 Depth=3
	s_delay_alu instid0(VALU_DEP_2) | instskip(NEXT) | instid1(VALU_DEP_3)
	v_mov_b64_e32 v[10:11], v[2:3]
	v_mov_b64_e32 v[12:13], v[14:15]
	s_and_b32 vcc_lo, exec_lo, s33
	s_cbranch_vccnz .LBB67_59
.LBB67_58:                              ;   in Loop: Header=BB67_56 Depth=3
                                        ; implicit-def: $vgpr2_vgpr3
                                        ; implicit-def: $vgpr14_vgpr15
	s_cbranch_execz .LBB67_65
	s_branch .LBB67_62
.LBB67_59:                              ;   in Loop: Header=BB67_56 Depth=3
	global_load_b128 v[2:5], v35, s[18:19] scale_offset
	v_mov_b64_e32 v[6:7], 0
	v_mov_b64_e32 v[8:9], 0
	s_wait_xcnt 0x0
	s_and_saveexec_b32 s26, s1
	s_cbranch_execz .LBB67_61
; %bb.60:                               ;   in Loop: Header=BB67_56 Depth=3
	global_load_b128 v[6:9], v36, s[18:19] scale_offset
.LBB67_61:                              ;   in Loop: Header=BB67_56 Depth=3
	s_wait_xcnt 0x0
	s_or_b32 exec_lo, exec_lo, s26
	s_wait_loadcnt 0x0
	v_fma_f64 v[14:15], v[2:3], v[6:7], v[12:13]
	v_fma_f64 v[6:7], v[4:5], v[6:7], v[10:11]
	s_delay_alu instid0(VALU_DEP_2) | instskip(NEXT) | instid1(VALU_DEP_2)
	v_fmac_f64_e32 v[14:15], v[4:5], v[8:9]
	v_fma_f64 v[2:3], v[2:3], -v[8:9], v[6:7]
	s_branch .LBB67_65
.LBB67_62:                              ;   in Loop: Header=BB67_56 Depth=3
	v_add_nc_u32_e32 v2, s25, v33
	v_mov_b64_e32 v[6:7], 0
	v_mov_b64_e32 v[8:9], 0
	global_load_b128 v[2:5], v2, s[18:19] scale_offset
	s_wait_xcnt 0x0
	s_and_saveexec_b32 s26, s1
	s_cbranch_execz .LBB67_64
; %bb.63:                               ;   in Loop: Header=BB67_56 Depth=3
	v_add_nc_u32_e32 v6, s25, v1
	global_load_b128 v[6:9], v6, s[18:19] scale_offset
.LBB67_64:                              ;   in Loop: Header=BB67_56 Depth=3
	s_wait_xcnt 0x0
	s_or_b32 exec_lo, exec_lo, s26
	s_wait_loadcnt 0x0
	v_fmac_f64_e32 v[12:13], v[2:3], v[6:7]
	v_fmac_f64_e32 v[10:11], v[4:5], v[6:7]
	s_delay_alu instid0(VALU_DEP_2) | instskip(NEXT) | instid1(VALU_DEP_2)
	v_fmac_f64_e32 v[12:13], v[4:5], v[8:9]
	v_fma_f64 v[2:3], v[2:3], -v[8:9], v[10:11]
	s_delay_alu instid0(VALU_DEP_2)
	v_mov_b64_e32 v[14:15], v[12:13]
.LBB67_65:                              ;   in Loop: Header=BB67_56 Depth=3
	v_dual_add_nc_u32 v36, s29, v36 :: v_dual_add_nc_u32 v35, s29, v35
	s_add_co_i32 s25, s25, 1
	s_delay_alu instid0(SALU_CYCLE_1)
	s_cmp_eq_u32 s29, s25
	s_cbranch_scc0 .LBB67_57
; %bb.66:                               ;   in Loop: Header=BB67_56 Depth=3
	v_lshl_add_u32 v8, v34, 4, v23
	v_dual_add_nc_u32 v33, s36, v33 :: v_dual_add_nc_u32 v34, 4, v34
	v_add_nc_u32_e32 v32, 4, v32
	ds_load_b128 v[4:7], v8
	v_cmp_le_i32_e32 vcc_lo, s29, v34
	s_or_b32 s24, vcc_lo, s24
	s_wait_dscnt 0x0
	v_add_f64_e32 v[4:5], v[14:15], v[4:5]
	v_add_f64_e32 v[6:7], v[2:3], v[6:7]
	ds_store_b128 v8, v[4:7]
	s_and_not1_b32 exec_lo, exec_lo, s24
	s_cbranch_execnz .LBB67_56
	s_branch .LBB67_53
.LBB67_67:                              ;   in Loop: Header=BB67_10 Depth=1
	s_and_not1_b32 vcc_lo, exec_lo, s34
	s_wait_loadcnt_dscnt 0x0
	s_cbranch_vccnz .LBB67_79
; %bb.68:                               ;   in Loop: Header=BB67_10 Depth=1
	v_mov_b32_e32 v1, v28
	s_mov_b32 s22, 0
	s_mov_b32 s23, 0
	s_branch .LBB67_70
.LBB67_69:                              ;   in Loop: Header=BB67_70 Depth=2
	s_or_b32 exec_lo, exec_lo, s3
	v_add_nc_u32_e32 v1, 16, v1
	s_add_co_i32 s23, s23, 1
	s_addk_co_i32 s22, 0x110
	s_cmp_eq_u32 s23, s29
	s_wait_dscnt 0x0
	s_cbranch_scc1 .LBB67_79
.LBB67_70:                              ;   Parent Loop BB67_10 Depth=1
                                        ; =>  This Loop Header: Depth=2
                                        ;       Child Loop BB67_75 Depth 3
                                        ;       Child Loop BB67_78 Depth 3
	s_lshl_b32 s24, s23, 4
	s_mul_i32 s3, s23, 0x110
	v_add_nc_u32_e32 v14, s24, v21
	s_add_co_i32 s3, s3, s24
	s_delay_alu instid0(SALU_CYCLE_1)
	v_mov_b32_e32 v2, s3
	ds_load_b128 v[6:9], v2
	ds_load_b128 v[2:5], v14
	s_wait_dscnt 0x1
	v_cmp_neq_f64_e32 vcc_lo, 0, v[6:7]
	v_cmp_neq_f64_e64 s3, 0, v[8:9]
	s_or_b32 vcc_lo, vcc_lo, s3
	v_cndmask_b32_e32 v11, 0x3ff00000, v7, vcc_lo
	v_dual_cndmask_b32 v10, 0, v6 :: v_dual_cndmask_b32 v13, 0, v9
	v_cndmask_b32_e32 v12, 0, v8, vcc_lo
	s_nor_b32 s24, vcc_lo, s2
	s_delay_alu instid0(SALU_CYCLE_1)
	s_and_saveexec_b32 s3, s24
	s_cbranch_execz .LBB67_74
; %bb.71:                               ;   in Loop: Header=BB67_70 Depth=2
	v_mbcnt_lo_u32_b32 v6, exec_lo, 0
	s_mov_b32 s24, exec_lo
	s_delay_alu instid0(VALU_DEP_1)
	v_cmpx_eq_u32_e32 0, v6
	s_cbranch_execz .LBB67_73
; %bb.72:                               ;   in Loop: Header=BB67_70 Depth=2
	v_mov_b32_e32 v6, s37
	global_atomic_min_i32 v0, v6, s[10:11] scope:SCOPE_DEV
.LBB67_73:                              ;   in Loop: Header=BB67_70 Depth=2
	s_wait_xcnt 0x0
	s_or_b32 exec_lo, exec_lo, s24
	v_mov_b64_e32 v[12:13], 0
	v_mov_b64_e32 v[10:11], 1.0
.LBB67_74:                              ;   in Loop: Header=BB67_70 Depth=2
	s_or_b32 exec_lo, exec_lo, s3
	v_lshl_add_u32 v6, s23, 4, v23
	v_mov_b32_e32 v15, v21
	s_cmp_eq_u32 s23, 0
	s_mov_b32 s3, s22
	s_mov_b32 s24, s23
	ds_load_b128 v[6:9], v6
	s_cbranch_scc1 .LBB67_76
.LBB67_75:                              ;   Parent Loop BB67_10 Depth=1
                                        ;     Parent Loop BB67_70 Depth=2
                                        ; =>    This Inner Loop Header: Depth=3
	v_mov_b32_e32 v31, s3
	s_add_co_i32 s24, s24, -1
	s_add_co_i32 s3, s3, 16
	s_cmp_eq_u32 s24, 0
	ds_load_b128 v[32:35], v15
	ds_load_b128 v[36:39], v31
	v_add_nc_u32_e32 v15, 16, v15
	s_wait_dscnt 0x0
	v_fmac_f64_e32 v[6:7], v[36:37], v[32:33]
	v_fmac_f64_e32 v[8:9], v[38:39], v[32:33]
	s_delay_alu instid0(VALU_DEP_2) | instskip(NEXT) | instid1(VALU_DEP_2)
	v_fmac_f64_e32 v[6:7], v[38:39], v[34:35]
	v_fma_f64 v[8:9], v[36:37], -v[34:35], v[8:9]
	s_cbranch_scc0 .LBB67_75
.LBB67_76:                              ;   in Loop: Header=BB67_70 Depth=2
	v_mul_f64_e32 v[32:33], v[12:13], v[12:13]
	s_wait_dscnt 0x0
	s_delay_alu instid0(VALU_DEP_2) | instskip(NEXT) | instid1(VALU_DEP_4)
	v_add_f64_e64 v[4:5], v[4:5], -v[8:9]
	v_add_f64_e64 v[2:3], v[2:3], -v[6:7]
	s_delay_alu instid0(VALU_DEP_3) | instskip(NEXT) | instid1(VALU_DEP_3)
	v_fmac_f64_e32 v[32:33], v[10:11], v[10:11]
	v_mul_f64_e32 v[6:7], v[12:13], v[4:5]
	s_delay_alu instid0(VALU_DEP_3) | instskip(NEXT) | instid1(VALU_DEP_3)
	v_mul_f64_e64 v[12:13], v[12:13], -v[2:3]
	v_div_scale_f64 v[34:35], null, v[32:33], v[32:33], 1.0
	v_div_scale_f64 v[40:41], vcc_lo, 1.0, v[32:33], 1.0
	s_delay_alu instid0(VALU_DEP_4) | instskip(NEXT) | instid1(VALU_DEP_4)
	v_fmac_f64_e32 v[6:7], v[2:3], v[10:11]
	v_fmac_f64_e32 v[12:13], v[4:5], v[10:11]
	s_delay_alu instid0(VALU_DEP_4) | instskip(SKIP_1) | instid1(TRANS32_DEP_1)
	v_rcp_f64_e32 v[36:37], v[34:35]
	v_nop
	v_fma_f64 v[38:39], -v[34:35], v[36:37], 1.0
	s_delay_alu instid0(VALU_DEP_1) | instskip(NEXT) | instid1(VALU_DEP_1)
	v_fmac_f64_e32 v[36:37], v[36:37], v[38:39]
	v_fma_f64 v[38:39], -v[34:35], v[36:37], 1.0
	s_delay_alu instid0(VALU_DEP_1) | instskip(NEXT) | instid1(VALU_DEP_1)
	v_fmac_f64_e32 v[36:37], v[36:37], v[38:39]
	v_mul_f64_e32 v[38:39], v[40:41], v[36:37]
	s_delay_alu instid0(VALU_DEP_1) | instskip(NEXT) | instid1(VALU_DEP_1)
	v_fma_f64 v[8:9], -v[34:35], v[38:39], v[40:41]
	v_div_fmas_f64 v[8:9], v[8:9], v[36:37], v[38:39]
	s_delay_alu instid0(VALU_DEP_1) | instskip(NEXT) | instid1(VALU_DEP_1)
	v_div_fixup_f64 v[8:9], v[8:9], v[32:33], 1.0
	v_mul_f64_e32 v[2:3], v[8:9], v[6:7]
	v_mul_f64_e32 v[4:5], v[8:9], v[12:13]
	ds_store_b128 v14, v[2:5]
	s_wait_storecnt_dscnt 0x0
	s_and_saveexec_b32 s3, s0
	s_cbranch_execz .LBB67_69
; %bb.77:                               ;   in Loop: Header=BB67_70 Depth=2
	v_dual_mov_b32 v6, v1 :: v_dual_mov_b32 v7, v27
	v_mov_b32_e32 v8, v16
	s_mov_b32 s24, 0
.LBB67_78:                              ;   Parent Loop BB67_10 Depth=1
                                        ;     Parent Loop BB67_70 Depth=2
                                        ; =>    This Inner Loop Header: Depth=3
	ds_load_b128 v[10:13], v6
	ds_load_b128 v[32:35], v7
	v_add_nc_u32_e32 v8, 4, v8
	v_add_nc_u32_e32 v6, 0x440, v6
	s_delay_alu instid0(VALU_DEP_2) | instskip(SKIP_4) | instid1(VALU_DEP_2)
	v_cmp_le_i32_e32 vcc_lo, s29, v8
	s_or_b32 s24, vcc_lo, s24
	s_wait_dscnt 0x0
	v_fmac_f64_e32 v[32:33], v[2:3], v[10:11]
	v_fmac_f64_e32 v[34:35], v[4:5], v[10:11]
	;; [unrolled: 1-line block ×3, first 2 shown]
	s_delay_alu instid0(VALU_DEP_2)
	v_fma_f64 v[34:35], v[2:3], -v[12:13], v[34:35]
	ds_store_b128 v7, v[32:35]
	v_add_nc_u32_e32 v7, 64, v7
	s_and_not1_b32 exec_lo, exec_lo, s24
	s_cbranch_execnz .LBB67_78
	s_branch .LBB67_69
.LBB67_79:                              ;   in Loop: Header=BB67_10 Depth=1
	s_and_saveexec_b32 s3, s0
	s_cbranch_execz .LBB67_9
; %bb.80:                               ;   in Loop: Header=BB67_10 Depth=1
	v_dual_mov_b32 v1, v30 :: v_dual_mov_b32 v2, v16
	s_mov_b32 s22, 0
	s_branch .LBB67_84
.LBB67_81:                              ;   in Loop: Header=BB67_84 Depth=2
	v_add_nc_u32_e32 v3, v29, v2
.LBB67_82:                              ;   in Loop: Header=BB67_84 Depth=2
	ds_load_2addr_b64 v[4:7], v1 offset1:1
	s_wait_dscnt 0x0
	global_store_b128 v3, v[4:7], s[18:19] scale_offset
.LBB67_83:                              ;   in Loop: Header=BB67_84 Depth=2
	s_wait_xcnt 0x0
	s_or_b32 exec_lo, exec_lo, s23
	v_dual_add_nc_u32 v2, 4, v2 :: v_dual_add_nc_u32 v1, 64, v1
	s_delay_alu instid0(VALU_DEP_1) | instskip(SKIP_1) | instid1(SALU_CYCLE_1)
	v_cmp_le_i32_e32 vcc_lo, s29, v2
	s_or_b32 s22, vcc_lo, s22
	s_and_not1_b32 exec_lo, exec_lo, s22
	s_cbranch_execz .LBB67_9
.LBB67_84:                              ;   Parent Loop BB67_10 Depth=1
                                        ; =>  This Inner Loop Header: Depth=2
	s_and_saveexec_b32 s23, s1
	s_cbranch_execz .LBB67_83
; %bb.85:                               ;   in Loop: Header=BB67_84 Depth=2
	s_and_b32 vcc_lo, exec_lo, s33
	s_cbranch_vccz .LBB67_87
; %bb.86:                               ;   in Loop: Header=BB67_84 Depth=2
	v_add_nc_u32_e32 v3, s21, v2
	s_delay_alu instid0(VALU_DEP_1)
	v_mad_u32 v3, v3, s29, v17
	s_cbranch_execnz .LBB67_82
	s_branch .LBB67_81
.LBB67_87:                              ;   in Loop: Header=BB67_84 Depth=2
                                        ; implicit-def: $vgpr3
	s_branch .LBB67_81
.LBB67_88:                              ;   in Loop: Header=BB67_10 Depth=1
                                        ; implicit-def: $sgpr20
                                        ; implicit-def: $vgpr29
	s_cbranch_execz .LBB67_10
.LBB67_89:
	v_cmp_gt_i32_e64 s0, s29, v16
	s_and_saveexec_b32 s2, s0
	s_cbranch_execz .LBB67_102
; %bb.90:
	s_mul_i32 s3, s28, s29
	v_cmp_gt_i32_e64 s1, s29, v17
	v_dual_add_nc_u32 v0, s3, v17 :: v_dual_mov_b32 v6, v16
	v_add3_u32 v5, v18, v19, 0x2200
	s_cmp_lg_u32 s30, 0
	s_mov_b32 s4, 0
	s_delay_alu instid0(VALU_DEP_2)
	v_mul_lo_u32 v4, v0, s29
	s_cselect_b32 s5, -1, 0
	s_branch .LBB67_92
.LBB67_91:                              ;   in Loop: Header=BB67_92 Depth=1
	s_wait_xcnt 0x0
	s_or_b32 exec_lo, exec_lo, s13
	v_add_nc_u32_e32 v6, 4, v6
	s_wait_loadcnt 0x0
	ds_store_b128 v5, v[0:3]
	v_add_nc_u32_e32 v5, 64, v5
	v_cmp_le_i32_e32 vcc_lo, s29, v6
	s_or_b32 s4, vcc_lo, s4
	s_delay_alu instid0(SALU_CYCLE_1)
	s_and_not1_b32 exec_lo, exec_lo, s4
	s_cbranch_execz .LBB67_102
.LBB67_92:                              ; =>This Inner Loop Header: Depth=1
	s_and_b32 vcc_lo, exec_lo, s5
	s_cbranch_vccz .LBB67_99
; %bb.93:                               ;   in Loop: Header=BB67_92 Depth=1
	s_mov_b32 s13, 0
	s_mov_b32 s12, 0
                                        ; implicit-def: $vgpr7
	s_and_saveexec_b32 s14, s1
	s_delay_alu instid0(SALU_CYCLE_1)
	s_xor_b32 s14, exec_lo, s14
; %bb.94:                               ;   in Loop: Header=BB67_92 Depth=1
	v_add_nc_u32_e32 v0, s3, v6
	s_mov_b32 s12, exec_lo
	s_delay_alu instid0(VALU_DEP_1)
	v_mad_u32 v7, v0, s29, v17
; %bb.95:                               ;   in Loop: Header=BB67_92 Depth=1
	s_or_b32 exec_lo, exec_lo, s14
	s_delay_alu instid0(SALU_CYCLE_1)
	s_and_b32 vcc_lo, exec_lo, s13
	s_cbranch_vccz .LBB67_100
.LBB67_96:                              ;   in Loop: Header=BB67_92 Depth=1
                                        ; implicit-def: $vgpr7
	s_and_saveexec_b32 s13, s1
; %bb.97:                               ;   in Loop: Header=BB67_92 Depth=1
	s_delay_alu instid0(VALU_DEP_1)
	v_add_nc_u32_e32 v7, v4, v6
	s_or_b32 s12, s12, exec_lo
; %bb.98:                               ;   in Loop: Header=BB67_92 Depth=1
	s_or_b32 exec_lo, exec_lo, s13
	v_mov_b64_e32 v[0:1], 0
	v_mov_b64_e32 v[2:3], 0
	s_and_saveexec_b32 s13, s12
	s_cbranch_execz .LBB67_91
	s_branch .LBB67_101
.LBB67_99:                              ;   in Loop: Header=BB67_92 Depth=1
	s_mov_b32 s12, 0
                                        ; implicit-def: $vgpr7
	s_cbranch_execnz .LBB67_96
.LBB67_100:                             ;   in Loop: Header=BB67_92 Depth=1
	v_mov_b64_e32 v[0:1], 0
	v_mov_b64_e32 v[2:3], 0
	s_and_saveexec_b32 s13, s12
	s_cbranch_execz .LBB67_91
.LBB67_101:                             ;   in Loop: Header=BB67_92 Depth=1
	global_load_b128 v[0:3], v7, s[18:19] scale_offset
	s_branch .LBB67_91
.LBB67_102:
	s_or_b32 exec_lo, exec_lo, s2
	s_cmp_lt_i32 s29, 1
	s_wait_loadcnt_dscnt 0x0
	s_cbranch_scc1 .LBB67_121
; %bb.103:
	s_movk_i32 s2, 0x110
	s_movk_i32 s1, 0x3300
	v_mad_u32_u24 v10, v17, s2, 0x2200
	v_or_b32_e32 v0, v16, v17
	v_mad_u32_u24 v11, 0x110, v17, s1
	v_add3_u32 v14, v18, v19, 0x3300
	v_mad_u32_u24 v15, v16, s2, 0x2200
	v_add_nc_u32_e32 v12, v10, v20
	v_cmp_ne_u32_e64 s1, 0, v0
	v_dual_mov_b32 v2, 0 :: v_dual_add_nc_u32 v13, v11, v20
	s_mov_b32 s3, 0
	s_add_co_i32 s4, s16, s17
	s_branch .LBB67_105
.LBB67_104:                             ;   in Loop: Header=BB67_105 Depth=1
	s_or_b32 exec_lo, exec_lo, s2
	v_add_nc_u32_e32 v15, 16, v15
	s_add_co_i32 s3, s3, 1
	s_wait_storecnt_dscnt 0x0
	s_cmp_eq_u32 s3, s29
	s_cbranch_scc1 .LBB67_121
.LBB67_105:                             ; =>This Loop Header: Depth=1
                                        ;     Child Loop BB67_120 Depth 2
	s_mov_b32 s2, exec_lo
	v_cmpx_eq_u32_e64 s3, v17
	s_cbranch_execz .LBB67_113
; %bb.106:                              ;   in Loop: Header=BB67_105 Depth=1
	ds_load_b128 v[4:7], v13
	ds_load_b128 v[20:23], v12
	s_mov_b32 s5, exec_lo
	s_wait_dscnt 0x0
	v_add_f64_e64 v[0:1], v[20:21], -v[4:5]
	v_add_f64_e64 v[8:9], v[22:23], -v[6:7]
                                        ; implicit-def: $vgpr6_vgpr7
	s_delay_alu instid0(VALU_DEP_2) | instskip(SKIP_1) | instid1(VALU_DEP_3)
	v_cmp_gt_f64_e32 vcc_lo, 0, v[0:1]
	v_xor_b32_e32 v3, 0x80000000, v1
	v_xor_b32_e32 v4, 0x80000000, v9
	s_delay_alu instid0(VALU_DEP_2) | instskip(SKIP_1) | instid1(VALU_DEP_3)
	v_cndmask_b32_e32 v1, v1, v3, vcc_lo
	v_cmp_gt_f64_e32 vcc_lo, 0, v[8:9]
	v_dual_cndmask_b32 v5, v9, v4 :: v_dual_mov_b32 v4, v8
	s_delay_alu instid0(VALU_DEP_1)
	v_cmpx_ngt_f64_e32 v[0:1], v[4:5]
	s_xor_b32 s5, exec_lo, s5
	s_cbranch_execz .LBB67_110
; %bb.107:                              ;   in Loop: Header=BB67_105 Depth=1
	v_mov_b64_e32 v[6:7], 0
	s_mov_b32 s12, exec_lo
	v_cmpx_neq_f64_e32 0, v[8:9]
	s_cbranch_execz .LBB67_109
; %bb.108:                              ;   in Loop: Header=BB67_105 Depth=1
	v_div_scale_f64 v[6:7], null, v[4:5], v[4:5], v[0:1]
	v_div_scale_f64 v[22:23], vcc_lo, v[0:1], v[4:5], v[0:1]
	s_delay_alu instid0(VALU_DEP_2) | instskip(SKIP_1) | instid1(TRANS32_DEP_1)
	v_rcp_f64_e32 v[8:9], v[6:7]
	v_nop
	v_fma_f64 v[20:21], -v[6:7], v[8:9], 1.0
	s_delay_alu instid0(VALU_DEP_1) | instskip(NEXT) | instid1(VALU_DEP_1)
	v_fmac_f64_e32 v[8:9], v[8:9], v[20:21]
	v_fma_f64 v[20:21], -v[6:7], v[8:9], 1.0
	s_delay_alu instid0(VALU_DEP_1) | instskip(NEXT) | instid1(VALU_DEP_1)
	v_fmac_f64_e32 v[8:9], v[8:9], v[20:21]
	v_mul_f64_e32 v[20:21], v[22:23], v[8:9]
	s_delay_alu instid0(VALU_DEP_1) | instskip(NEXT) | instid1(VALU_DEP_1)
	v_fma_f64 v[6:7], -v[6:7], v[20:21], v[22:23]
	v_div_fmas_f64 v[6:7], v[6:7], v[8:9], v[20:21]
	s_delay_alu instid0(VALU_DEP_1) | instskip(NEXT) | instid1(VALU_DEP_1)
	v_div_fixup_f64 v[0:1], v[6:7], v[4:5], v[0:1]
	v_fma_f64 v[0:1], v[0:1], v[0:1], 1.0
	s_delay_alu instid0(VALU_DEP_1) | instskip(SKIP_1) | instid1(VALU_DEP_1)
	v_cmp_gt_f64_e32 vcc_lo, 0x10000000, v[0:1]
	v_cndmask_b32_e64 v3, 0, 0x100, vcc_lo
	v_ldexp_f64 v[0:1], v[0:1], v3
	v_cndmask_b32_e64 v3, 0, 0xffffff80, vcc_lo
	s_delay_alu instid0(VALU_DEP_2) | instskip(SKIP_1) | instid1(TRANS32_DEP_1)
	v_rsq_f64_e32 v[6:7], v[0:1]
	v_cmp_class_f64_e64 vcc_lo, v[0:1], 0x260
	v_mul_f64_e32 v[8:9], v[0:1], v[6:7]
	v_mul_f64_e32 v[6:7], 0.5, v[6:7]
	s_delay_alu instid0(VALU_DEP_1) | instskip(NEXT) | instid1(VALU_DEP_1)
	v_fma_f64 v[20:21], -v[6:7], v[8:9], 0.5
	v_fmac_f64_e32 v[8:9], v[8:9], v[20:21]
	v_fmac_f64_e32 v[6:7], v[6:7], v[20:21]
	s_delay_alu instid0(VALU_DEP_2) | instskip(NEXT) | instid1(VALU_DEP_1)
	v_fma_f64 v[20:21], -v[8:9], v[8:9], v[0:1]
	v_fmac_f64_e32 v[8:9], v[20:21], v[6:7]
	s_delay_alu instid0(VALU_DEP_1) | instskip(NEXT) | instid1(VALU_DEP_1)
	v_fma_f64 v[20:21], -v[8:9], v[8:9], v[0:1]
	v_fmac_f64_e32 v[8:9], v[20:21], v[6:7]
	s_delay_alu instid0(VALU_DEP_1) | instskip(NEXT) | instid1(VALU_DEP_1)
	v_ldexp_f64 v[6:7], v[8:9], v3
	v_dual_cndmask_b32 v1, v7, v1 :: v_dual_cndmask_b32 v0, v6, v0
	s_delay_alu instid0(VALU_DEP_1)
	v_mul_f64_e32 v[6:7], v[4:5], v[0:1]
.LBB67_109:                             ;   in Loop: Header=BB67_105 Depth=1
	s_or_b32 exec_lo, exec_lo, s12
                                        ; implicit-def: $vgpr0_vgpr1
                                        ; implicit-def: $vgpr4_vgpr5
.LBB67_110:                             ;   in Loop: Header=BB67_105 Depth=1
	s_and_not1_saveexec_b32 s5, s5
	s_cbranch_execz .LBB67_112
; %bb.111:                              ;   in Loop: Header=BB67_105 Depth=1
	v_div_scale_f64 v[6:7], null, v[0:1], v[0:1], v[4:5]
	v_div_scale_f64 v[22:23], vcc_lo, v[4:5], v[0:1], v[4:5]
	s_delay_alu instid0(VALU_DEP_2) | instskip(SKIP_1) | instid1(TRANS32_DEP_1)
	v_rcp_f64_e32 v[8:9], v[6:7]
	v_nop
	v_fma_f64 v[20:21], -v[6:7], v[8:9], 1.0
	s_delay_alu instid0(VALU_DEP_1) | instskip(NEXT) | instid1(VALU_DEP_1)
	v_fmac_f64_e32 v[8:9], v[8:9], v[20:21]
	v_fma_f64 v[20:21], -v[6:7], v[8:9], 1.0
	s_delay_alu instid0(VALU_DEP_1) | instskip(NEXT) | instid1(VALU_DEP_1)
	v_fmac_f64_e32 v[8:9], v[8:9], v[20:21]
	v_mul_f64_e32 v[20:21], v[22:23], v[8:9]
	s_delay_alu instid0(VALU_DEP_1) | instskip(NEXT) | instid1(VALU_DEP_1)
	v_fma_f64 v[6:7], -v[6:7], v[20:21], v[22:23]
	v_div_fmas_f64 v[6:7], v[6:7], v[8:9], v[20:21]
	s_delay_alu instid0(VALU_DEP_1) | instskip(NEXT) | instid1(VALU_DEP_1)
	v_div_fixup_f64 v[4:5], v[6:7], v[0:1], v[4:5]
	v_fma_f64 v[4:5], v[4:5], v[4:5], 1.0
	s_delay_alu instid0(VALU_DEP_1) | instskip(SKIP_1) | instid1(VALU_DEP_1)
	v_cmp_gt_f64_e32 vcc_lo, 0x10000000, v[4:5]
	v_cndmask_b32_e64 v3, 0, 0x100, vcc_lo
	v_ldexp_f64 v[4:5], v[4:5], v3
	v_cndmask_b32_e64 v3, 0, 0xffffff80, vcc_lo
	s_delay_alu instid0(VALU_DEP_2) | instskip(SKIP_1) | instid1(TRANS32_DEP_1)
	v_rsq_f64_e32 v[6:7], v[4:5]
	v_cmp_class_f64_e64 vcc_lo, v[4:5], 0x260
	v_mul_f64_e32 v[8:9], v[4:5], v[6:7]
	v_mul_f64_e32 v[6:7], 0.5, v[6:7]
	s_delay_alu instid0(VALU_DEP_1) | instskip(NEXT) | instid1(VALU_DEP_1)
	v_fma_f64 v[20:21], -v[6:7], v[8:9], 0.5
	v_fmac_f64_e32 v[8:9], v[8:9], v[20:21]
	v_fmac_f64_e32 v[6:7], v[6:7], v[20:21]
	s_delay_alu instid0(VALU_DEP_2) | instskip(NEXT) | instid1(VALU_DEP_1)
	v_fma_f64 v[20:21], -v[8:9], v[8:9], v[4:5]
	v_fmac_f64_e32 v[8:9], v[20:21], v[6:7]
	s_delay_alu instid0(VALU_DEP_1) | instskip(NEXT) | instid1(VALU_DEP_1)
	v_fma_f64 v[20:21], -v[8:9], v[8:9], v[4:5]
	v_fmac_f64_e32 v[8:9], v[20:21], v[6:7]
	s_delay_alu instid0(VALU_DEP_1) | instskip(NEXT) | instid1(VALU_DEP_1)
	v_ldexp_f64 v[6:7], v[8:9], v3
	v_dual_cndmask_b32 v5, v7, v5 :: v_dual_cndmask_b32 v4, v6, v4
	s_delay_alu instid0(VALU_DEP_1)
	v_mul_f64_e32 v[6:7], v[0:1], v[4:5]
.LBB67_112:                             ;   in Loop: Header=BB67_105 Depth=1
	s_or_b32 exec_lo, exec_lo, s5
	s_delay_alu instid0(VALU_DEP_1) | instskip(SKIP_2) | instid1(VALU_DEP_2)
	v_cmp_gt_f64_e32 vcc_lo, 0x10000000, v[6:7]
	v_cndmask_b32_e64 v0, 0, 0x100, vcc_lo
	v_cndmask_b32_e64 v3, 0, 0xffffff80, vcc_lo
	v_ldexp_f64 v[0:1], v[6:7], v0
	s_delay_alu instid0(VALU_DEP_1) | instskip(SKIP_1) | instid1(TRANS32_DEP_1)
	v_rsq_f64_e32 v[4:5], v[0:1]
	v_cmp_class_f64_e64 vcc_lo, v[0:1], 0x260
	v_mul_f64_e32 v[6:7], v[0:1], v[4:5]
	v_mul_f64_e32 v[4:5], 0.5, v[4:5]
	s_delay_alu instid0(VALU_DEP_1) | instskip(NEXT) | instid1(VALU_DEP_1)
	v_fma_f64 v[8:9], -v[4:5], v[6:7], 0.5
	v_fmac_f64_e32 v[6:7], v[6:7], v[8:9]
	v_fmac_f64_e32 v[4:5], v[4:5], v[8:9]
	s_delay_alu instid0(VALU_DEP_2) | instskip(NEXT) | instid1(VALU_DEP_1)
	v_fma_f64 v[8:9], -v[6:7], v[6:7], v[0:1]
	v_fmac_f64_e32 v[6:7], v[8:9], v[4:5]
	s_delay_alu instid0(VALU_DEP_1) | instskip(NEXT) | instid1(VALU_DEP_1)
	v_fma_f64 v[8:9], -v[6:7], v[6:7], v[0:1]
	v_fmac_f64_e32 v[6:7], v[8:9], v[4:5]
	s_delay_alu instid0(VALU_DEP_1) | instskip(NEXT) | instid1(VALU_DEP_1)
	v_ldexp_f64 v[4:5], v[6:7], v3
	v_dual_mov_b32 v3, v2 :: v_dual_cndmask_b32 v1, v5, v1, vcc_lo
	s_delay_alu instid0(VALU_DEP_2)
	v_cndmask_b32_e32 v0, v4, v0, vcc_lo
	ds_store_b128 v12, v[0:3]
.LBB67_113:                             ;   in Loop: Header=BB67_105 Depth=1
	s_or_b32 exec_lo, exec_lo, s2
	s_lshl_b32 s5, s3, 4
	s_mul_i32 s2, s3, 0x110
	s_wait_dscnt 0x0
	s_add_co_i32 s2, s2, s5
	s_delay_alu instid0(SALU_CYCLE_1)
	v_dual_mov_b32 v0, s2 :: v_dual_add_nc_u32 v3, s5, v10
	ds_load_b128 v[4:7], v3
	ds_load_b128 v[20:23], v0 offset:8704
	s_wait_dscnt 0x0
	v_cmp_neq_f64_e32 vcc_lo, 0, v[20:21]
	v_cmp_neq_f64_e64 s2, 0, v[22:23]
	s_or_b32 vcc_lo, vcc_lo, s2
	v_dual_cndmask_b32 v9, 0, v23 :: v_dual_cndmask_b32 v8, 0, v22
	v_cndmask_b32_e32 v1, 0x3ff00000, v21, vcc_lo
	v_cndmask_b32_e32 v0, 0, v20, vcc_lo
	s_nor_b32 s5, vcc_lo, s1
	s_delay_alu instid0(SALU_CYCLE_1)
	s_and_saveexec_b32 s2, s5
	s_cbranch_execz .LBB67_117
; %bb.114:                              ;   in Loop: Header=BB67_105 Depth=1
	v_mbcnt_lo_u32_b32 v0, exec_lo, 0
	s_mov_b32 s5, exec_lo
	s_delay_alu instid0(VALU_DEP_1)
	v_cmpx_eq_u32_e32 0, v0
	s_cbranch_execz .LBB67_116
; %bb.115:                              ;   in Loop: Header=BB67_105 Depth=1
	v_mov_b32_e32 v0, s4
	global_atomic_min_i32 v2, v0, s[10:11] scope:SCOPE_DEV
.LBB67_116:                             ;   in Loop: Header=BB67_105 Depth=1
	s_wait_xcnt 0x0
	s_or_b32 exec_lo, exec_lo, s5
	v_mov_b64_e32 v[0:1], 1.0
	v_mov_b64_e32 v[8:9], 0
.LBB67_117:                             ;   in Loop: Header=BB67_105 Depth=1
	s_or_b32 exec_lo, exec_lo, s2
	s_delay_alu instid0(SALU_CYCLE_1)
	s_mov_b32 s2, exec_lo
	v_cmpx_lt_u32_e64 s3, v17
	s_cbranch_execz .LBB67_104
; %bb.118:                              ;   in Loop: Header=BB67_105 Depth=1
	s_delay_alu instid0(VALU_DEP_2) | instskip(NEXT) | instid1(VALU_DEP_1)
	v_mul_f64_e32 v[24:25], v[8:9], v[8:9]
	v_fmac_f64_e32 v[24:25], v[0:1], v[0:1]
	s_delay_alu instid0(VALU_DEP_1) | instskip(SKIP_1) | instid1(VALU_DEP_2)
	v_div_scale_f64 v[26:27], null, v[24:25], v[24:25], 1.0
	v_div_scale_f64 v[30:31], vcc_lo, 1.0, v[24:25], 1.0
	v_rcp_f64_e32 v[28:29], v[26:27]
	v_nop
	s_delay_alu instid0(TRANS32_DEP_1) | instskip(NEXT) | instid1(VALU_DEP_1)
	v_fma_f64 v[20:21], -v[26:27], v[28:29], 1.0
	v_fmac_f64_e32 v[28:29], v[28:29], v[20:21]
	s_delay_alu instid0(VALU_DEP_1) | instskip(NEXT) | instid1(VALU_DEP_1)
	v_fma_f64 v[20:21], -v[26:27], v[28:29], 1.0
	v_fmac_f64_e32 v[28:29], v[28:29], v[20:21]
	v_lshl_add_u32 v20, s3, 4, v11
	ds_load_b128 v[20:23], v20
	s_wait_dscnt 0x0
	v_add_f64_e64 v[6:7], v[6:7], -v[22:23]
	v_add_f64_e64 v[4:5], v[4:5], -v[20:21]
	v_mul_f64_e32 v[32:33], v[30:31], v[28:29]
	s_delay_alu instid0(VALU_DEP_3) | instskip(NEXT) | instid1(VALU_DEP_3)
	v_mul_f64_e32 v[20:21], v[8:9], v[6:7]
	v_mul_f64_e64 v[8:9], v[8:9], -v[4:5]
	s_delay_alu instid0(VALU_DEP_3) | instskip(NEXT) | instid1(VALU_DEP_3)
	v_fma_f64 v[22:23], -v[26:27], v[32:33], v[30:31]
	v_fmac_f64_e32 v[20:21], v[4:5], v[0:1]
	s_delay_alu instid0(VALU_DEP_3) | instskip(NEXT) | instid1(VALU_DEP_3)
	v_fmac_f64_e32 v[8:9], v[6:7], v[0:1]
	v_div_fmas_f64 v[22:23], v[22:23], v[28:29], v[32:33]
	s_delay_alu instid0(VALU_DEP_1) | instskip(NEXT) | instid1(VALU_DEP_1)
	v_div_fixup_f64 v[22:23], v[22:23], v[24:25], 1.0
	v_mul_f64_e32 v[4:5], v[22:23], v[20:21]
	s_delay_alu instid0(VALU_DEP_4)
	v_mul_f64_e32 v[6:7], v[22:23], v[8:9]
	ds_store_b128 v3, v[4:7]
	s_wait_storecnt_dscnt 0x0
	s_and_b32 exec_lo, exec_lo, s0
	s_cbranch_execz .LBB67_104
; %bb.119:                              ;   in Loop: Header=BB67_105 Depth=1
	v_dual_mov_b32 v0, v15 :: v_dual_mov_b32 v1, v14
	v_mov_b32_e32 v3, v16
	s_mov_b32 s5, 0
.LBB67_120:                             ;   Parent Loop BB67_105 Depth=1
                                        ; =>  This Inner Loop Header: Depth=2
	ds_load_b128 v[20:23], v0
	ds_load_b128 v[24:27], v1
	v_add_nc_u32_e32 v3, 4, v3
	v_add_nc_u32_e32 v0, 0x440, v0
	s_delay_alu instid0(VALU_DEP_2) | instskip(SKIP_4) | instid1(VALU_DEP_2)
	v_cmp_le_i32_e32 vcc_lo, s29, v3
	s_or_b32 s5, vcc_lo, s5
	s_wait_dscnt 0x0
	v_fmac_f64_e32 v[24:25], v[4:5], v[20:21]
	v_fmac_f64_e32 v[26:27], v[6:7], v[20:21]
	;; [unrolled: 1-line block ×3, first 2 shown]
	s_delay_alu instid0(VALU_DEP_2)
	v_fma_f64 v[26:27], v[4:5], -v[22:23], v[26:27]
	ds_store_b128 v1, v[24:27]
	v_add_nc_u32_e32 v1, 64, v1
	s_and_not1_b32 exec_lo, exec_lo, s5
	s_cbranch_execnz .LBB67_120
	s_branch .LBB67_104
.LBB67_121:
	s_and_saveexec_b32 s1, s0
	s_cbranch_execz .LBB67_130
; %bb.122:
	s_mul_i32 s28, s28, s29
	v_cmp_gt_i32_e64 s0, s29, v17
	v_dual_add_nc_u32 v0, s28, v17 :: v_dual_mov_b32 v2, v16
	v_add3_u32 v1, v18, v19, 0x2200
	s_cmp_lg_u32 s30, 0
	s_mov_b32 s2, 0
	s_delay_alu instid0(VALU_DEP_2)
	v_mul_lo_u32 v0, v0, s29
	s_cselect_b32 s3, -1, 0
	s_branch .LBB67_126
.LBB67_123:                             ;   in Loop: Header=BB67_126 Depth=1
	s_delay_alu instid0(VALU_DEP_1)
	v_add_nc_u32_e32 v3, v0, v2
.LBB67_124:                             ;   in Loop: Header=BB67_126 Depth=1
	ds_load_2addr_b64 v[4:7], v1 offset1:1
	s_wait_dscnt 0x0
	global_store_b128 v3, v[4:7], s[18:19] scale_offset
.LBB67_125:                             ;   in Loop: Header=BB67_126 Depth=1
	s_wait_xcnt 0x0
	s_or_b32 exec_lo, exec_lo, s4
	v_dual_add_nc_u32 v2, 4, v2 :: v_dual_add_nc_u32 v1, 64, v1
	s_delay_alu instid0(VALU_DEP_1) | instskip(SKIP_1) | instid1(SALU_CYCLE_1)
	v_cmp_le_i32_e32 vcc_lo, s29, v2
	s_or_b32 s2, vcc_lo, s2
	s_and_not1_b32 exec_lo, exec_lo, s2
	s_cbranch_execz .LBB67_130
.LBB67_126:                             ; =>This Inner Loop Header: Depth=1
	s_and_saveexec_b32 s4, s0
	s_cbranch_execz .LBB67_125
; %bb.127:                              ;   in Loop: Header=BB67_126 Depth=1
	s_and_b32 vcc_lo, exec_lo, s3
	s_cbranch_vccz .LBB67_129
; %bb.128:                              ;   in Loop: Header=BB67_126 Depth=1
	v_add_nc_u32_e32 v3, s28, v2
	s_delay_alu instid0(VALU_DEP_1)
	v_mad_u32 v3, v3, s29, v17
	s_cbranch_execnz .LBB67_124
	s_branch .LBB67_123
.LBB67_129:                             ;   in Loop: Header=BB67_126 Depth=1
                                        ; implicit-def: $vgpr3
	s_branch .LBB67_123
.LBB67_130:
	s_or_b32 exec_lo, exec_lo, s1
	v_or_b32_e32 v0, v16, v17
	s_mov_b32 s0, 0
	s_mov_b32 s1, exec_lo
	s_delay_alu instid0(VALU_DEP_1)
	v_cmpx_eq_u32_e32 0, v0
	s_cbranch_execz .LBB67_132
; %bb.131:
	v_dual_mov_b32 v0, 0 :: v_dual_mov_b32 v1, 1
	s_add_nc_u64 s[2:3], s[6:7], s[8:9]
	global_wb scope:SCOPE_DEV
	s_wait_storecnt 0x0
	global_store_b32 v0, v1, s[2:3] scope:SCOPE_DEV
.LBB67_132:
	s_wait_xcnt 0x0
	s_or_b32 exec_lo, exec_lo, s1
	s_delay_alu instid0(SALU_CYCLE_1)
	s_and_b32 vcc_lo, exec_lo, s0
	s_cbranch_vccnz .LBB67_135
.LBB67_133:
	s_endpgm
.LBB67_134:
	s_cbranch_execz .LBB67_133
.LBB67_135:
	v_or_b32_e32 v0, v16, v17
	s_mov_b32 s0, exec_lo
	s_delay_alu instid0(VALU_DEP_1)
	v_cmpx_eq_u32_e32 0, v0
	s_cbranch_execz .LBB67_133
; %bb.136:
	v_mbcnt_lo_u32_b32 v0, exec_lo, 0
	s_mov_b32 s0, exec_lo
	s_delay_alu instid0(VALU_DEP_1)
	v_cmpx_eq_u32_e32 0, v0
	s_cbranch_execz .LBB67_138
; %bb.137:
	s_add_co_i32 s1, s16, s17
	s_delay_alu instid0(SALU_CYCLE_1)
	v_dual_mov_b32 v0, 0 :: v_dual_mov_b32 v1, s1
	global_atomic_min_i32 v0, v1, s[10:11] scope:SCOPE_DEV
.LBB67_138:
	s_wait_xcnt 0x0
	s_or_b32 exec_lo, exec_lo, s0
	v_dual_mov_b32 v0, 0 :: v_dual_mov_b32 v1, 1
	s_add_nc_u64 s[0:1], s[6:7], s[8:9]
	global_wb scope:SCOPE_DEV
	s_wait_storecnt 0x0
	global_store_b32 v0, v1, s[0:1] scope:SCOPE_DEV
	s_endpgm
	.section	.rodata,"a",@progbits
	.p2align	6, 0x0
	.amdhsa_kernel _ZN9rocsparseL18bsric0_9_16_kernelILi64ELi32ELi16E21rocsparse_complex_numIdEEEv20rocsparse_direction_iiPKiS5_PT2_S5_PiS5_S8_21rocsparse_index_base_
		.amdhsa_group_segment_fixed_size 17792
		.amdhsa_private_segment_fixed_size 0
		.amdhsa_kernarg_size 76
		.amdhsa_user_sgpr_count 2
		.amdhsa_user_sgpr_dispatch_ptr 0
		.amdhsa_user_sgpr_queue_ptr 0
		.amdhsa_user_sgpr_kernarg_segment_ptr 1
		.amdhsa_user_sgpr_dispatch_id 0
		.amdhsa_user_sgpr_kernarg_preload_length 0
		.amdhsa_user_sgpr_kernarg_preload_offset 0
		.amdhsa_user_sgpr_private_segment_size 0
		.amdhsa_wavefront_size32 1
		.amdhsa_uses_dynamic_stack 0
		.amdhsa_enable_private_segment 0
		.amdhsa_system_sgpr_workgroup_id_x 1
		.amdhsa_system_sgpr_workgroup_id_y 0
		.amdhsa_system_sgpr_workgroup_id_z 0
		.amdhsa_system_sgpr_workgroup_info 0
		.amdhsa_system_vgpr_workitem_id 1
		.amdhsa_next_free_vgpr 113
		.amdhsa_next_free_sgpr 44
		.amdhsa_named_barrier_count 0
		.amdhsa_reserve_vcc 1
		.amdhsa_float_round_mode_32 0
		.amdhsa_float_round_mode_16_64 0
		.amdhsa_float_denorm_mode_32 3
		.amdhsa_float_denorm_mode_16_64 3
		.amdhsa_fp16_overflow 0
		.amdhsa_memory_ordered 1
		.amdhsa_forward_progress 1
		.amdhsa_inst_pref_size 39
		.amdhsa_round_robin_scheduling 0
		.amdhsa_exception_fp_ieee_invalid_op 0
		.amdhsa_exception_fp_denorm_src 0
		.amdhsa_exception_fp_ieee_div_zero 0
		.amdhsa_exception_fp_ieee_overflow 0
		.amdhsa_exception_fp_ieee_underflow 0
		.amdhsa_exception_fp_ieee_inexact 0
		.amdhsa_exception_int_div_zero 0
	.end_amdhsa_kernel
	.section	.text._ZN9rocsparseL18bsric0_9_16_kernelILi64ELi32ELi16E21rocsparse_complex_numIdEEEv20rocsparse_direction_iiPKiS5_PT2_S5_PiS5_S8_21rocsparse_index_base_,"axG",@progbits,_ZN9rocsparseL18bsric0_9_16_kernelILi64ELi32ELi16E21rocsparse_complex_numIdEEEv20rocsparse_direction_iiPKiS5_PT2_S5_PiS5_S8_21rocsparse_index_base_,comdat
.Lfunc_end67:
	.size	_ZN9rocsparseL18bsric0_9_16_kernelILi64ELi32ELi16E21rocsparse_complex_numIdEEEv20rocsparse_direction_iiPKiS5_PT2_S5_PiS5_S8_21rocsparse_index_base_, .Lfunc_end67-_ZN9rocsparseL18bsric0_9_16_kernelILi64ELi32ELi16E21rocsparse_complex_numIdEEEv20rocsparse_direction_iiPKiS5_PT2_S5_PiS5_S8_21rocsparse_index_base_
                                        ; -- End function
	.set _ZN9rocsparseL18bsric0_9_16_kernelILi64ELi32ELi16E21rocsparse_complex_numIdEEEv20rocsparse_direction_iiPKiS5_PT2_S5_PiS5_S8_21rocsparse_index_base_.num_vgpr, 42
	.set _ZN9rocsparseL18bsric0_9_16_kernelILi64ELi32ELi16E21rocsparse_complex_numIdEEEv20rocsparse_direction_iiPKiS5_PT2_S5_PiS5_S8_21rocsparse_index_base_.num_agpr, 0
	.set _ZN9rocsparseL18bsric0_9_16_kernelILi64ELi32ELi16E21rocsparse_complex_numIdEEEv20rocsparse_direction_iiPKiS5_PT2_S5_PiS5_S8_21rocsparse_index_base_.numbered_sgpr, 44
	.set _ZN9rocsparseL18bsric0_9_16_kernelILi64ELi32ELi16E21rocsparse_complex_numIdEEEv20rocsparse_direction_iiPKiS5_PT2_S5_PiS5_S8_21rocsparse_index_base_.num_named_barrier, 0
	.set _ZN9rocsparseL18bsric0_9_16_kernelILi64ELi32ELi16E21rocsparse_complex_numIdEEEv20rocsparse_direction_iiPKiS5_PT2_S5_PiS5_S8_21rocsparse_index_base_.private_seg_size, 0
	.set _ZN9rocsparseL18bsric0_9_16_kernelILi64ELi32ELi16E21rocsparse_complex_numIdEEEv20rocsparse_direction_iiPKiS5_PT2_S5_PiS5_S8_21rocsparse_index_base_.uses_vcc, 1
	.set _ZN9rocsparseL18bsric0_9_16_kernelILi64ELi32ELi16E21rocsparse_complex_numIdEEEv20rocsparse_direction_iiPKiS5_PT2_S5_PiS5_S8_21rocsparse_index_base_.uses_flat_scratch, 0
	.set _ZN9rocsparseL18bsric0_9_16_kernelILi64ELi32ELi16E21rocsparse_complex_numIdEEEv20rocsparse_direction_iiPKiS5_PT2_S5_PiS5_S8_21rocsparse_index_base_.has_dyn_sized_stack, 0
	.set _ZN9rocsparseL18bsric0_9_16_kernelILi64ELi32ELi16E21rocsparse_complex_numIdEEEv20rocsparse_direction_iiPKiS5_PT2_S5_PiS5_S8_21rocsparse_index_base_.has_recursion, 0
	.set _ZN9rocsparseL18bsric0_9_16_kernelILi64ELi32ELi16E21rocsparse_complex_numIdEEEv20rocsparse_direction_iiPKiS5_PT2_S5_PiS5_S8_21rocsparse_index_base_.has_indirect_call, 0
	.section	.AMDGPU.csdata,"",@progbits
; Kernel info:
; codeLenInByte = 4964
; TotalNumSgprs: 46
; NumVgprs: 42
; ScratchSize: 0
; MemoryBound: 1
; FloatMode: 240
; IeeeMode: 1
; LDSByteSize: 17792 bytes/workgroup (compile time only)
; SGPRBlocks: 0
; VGPRBlocks: 7
; NumSGPRsForWavesPerEU: 46
; NumVGPRsForWavesPerEU: 113
; NamedBarCnt: 0
; Occupancy: 8
; WaveLimiterHint : 1
; COMPUTE_PGM_RSRC2:SCRATCH_EN: 0
; COMPUTE_PGM_RSRC2:USER_SGPR: 2
; COMPUTE_PGM_RSRC2:TRAP_HANDLER: 0
; COMPUTE_PGM_RSRC2:TGID_X_EN: 1
; COMPUTE_PGM_RSRC2:TGID_Y_EN: 0
; COMPUTE_PGM_RSRC2:TGID_Z_EN: 0
; COMPUTE_PGM_RSRC2:TIDIG_COMP_CNT: 1
	.section	.text._ZN9rocsparseL19bsric0_17_32_kernelILi64ELi32ELi32E21rocsparse_complex_numIdEEEv20rocsparse_direction_iiPKiS5_PT2_S5_PiS5_S8_21rocsparse_index_base_,"axG",@progbits,_ZN9rocsparseL19bsric0_17_32_kernelILi64ELi32ELi32E21rocsparse_complex_numIdEEEv20rocsparse_direction_iiPKiS5_PT2_S5_PiS5_S8_21rocsparse_index_base_,comdat
	.globl	_ZN9rocsparseL19bsric0_17_32_kernelILi64ELi32ELi32E21rocsparse_complex_numIdEEEv20rocsparse_direction_iiPKiS5_PT2_S5_PiS5_S8_21rocsparse_index_base_ ; -- Begin function _ZN9rocsparseL19bsric0_17_32_kernelILi64ELi32ELi32E21rocsparse_complex_numIdEEEv20rocsparse_direction_iiPKiS5_PT2_S5_PiS5_S8_21rocsparse_index_base_
	.p2align	8
	.type	_ZN9rocsparseL19bsric0_17_32_kernelILi64ELi32ELi32E21rocsparse_complex_numIdEEEv20rocsparse_direction_iiPKiS5_PT2_S5_PiS5_S8_21rocsparse_index_base_,@function
_ZN9rocsparseL19bsric0_17_32_kernelILi64ELi32ELi32E21rocsparse_complex_numIdEEEv20rocsparse_direction_iiPKiS5_PT2_S5_PiS5_S8_21rocsparse_index_base_: ; @_ZN9rocsparseL19bsric0_17_32_kernelILi64ELi32ELi32E21rocsparse_complex_numIdEEEv20rocsparse_direction_iiPKiS5_PT2_S5_PiS5_S8_21rocsparse_index_base_
; %bb.0:
	s_load_b256 s[4:11], s[0:1], 0x28
	s_bfe_u32 s2, ttmp6, 0x4000c
	s_and_b32 s3, ttmp6, 15
	s_add_co_i32 s2, s2, 1
	s_getreg_b32 s12, hwreg(HW_REG_IB_STS2, 6, 4)
	s_mul_i32 s2, ttmp9, s2
	v_and_b32_e32 v16, 0x3ff, v0
	s_add_co_i32 s3, s3, s2
	s_cmp_eq_u32 s12, 0
	v_bfe_u32 v17, v0, 10, 10
	s_cselect_b32 s2, ttmp9, s3
	s_wait_kmcnt 0x0
	s_load_b32 s16, s[8:9], s2 offset:0x0 scale_offset
	s_wait_kmcnt 0x0
	s_ashr_i32 s17, s16, 31
	s_delay_alu instid0(SALU_CYCLE_1) | instskip(NEXT) | instid1(SALU_CYCLE_1)
	s_lshl_b64 s[8:9], s[16:17], 2
	s_add_nc_u64 s[2:3], s[4:5], s[8:9]
	s_load_b32 s28, s[2:3], 0x0
	s_load_b32 s17, s[0:1], 0x48
	s_wait_kmcnt 0x0
	s_cmp_lg_u32 s28, -1
	s_cbranch_scc0 .LBB68_124
; %bb.1:
	s_clause 0x1
	s_load_b128 s[12:15], s[0:1], 0x10
	s_load_b64 s[18:19], s[0:1], 0x20
	v_lshlrev_b32_e32 v0, 1, v17
	s_wait_kmcnt 0x0
	s_add_nc_u64 s[2:3], s[12:13], s[8:9]
	s_load_b32 s2, s[2:3], 0x0
	s_wait_kmcnt 0x0
	s_sub_co_i32 s31, s2, s17
	s_mov_b32 s2, exec_lo
	v_add3_u32 v0, v0, v16, s31
	s_delay_alu instid0(VALU_DEP_1)
	v_cmpx_ge_i32_e64 s28, v0
	s_cbranch_execz .LBB68_4
; %bb.2:
	v_dual_lshlrev_b32 v1, 3, v17 :: v_dual_lshlrev_b32 v2, 2, v16
	s_mov_b32 s3, 0
	s_delay_alu instid0(VALU_DEP_1)
	v_add3_u32 v1, v1, v2, 0xc700
.LBB68_3:                               ; =>This Inner Loop Header: Depth=1
	global_load_b32 v2, v0, s[14:15] scale_offset
	s_wait_xcnt 0x0
	v_add_nc_u32_e32 v0, 64, v0
	s_delay_alu instid0(VALU_DEP_1)
	v_cmp_lt_i32_e32 vcc_lo, s28, v0
	s_or_b32 s3, vcc_lo, s3
	s_wait_loadcnt 0x0
	v_subrev_nc_u32_e32 v2, s17, v2
	ds_store_b32 v1, v2
	v_add_nc_u32_e32 v1, 0x100, v1
	s_and_not1_b32 exec_lo, exec_lo, s3
	s_cbranch_execnz .LBB68_3
.LBB68_4:
	s_or_b32 exec_lo, exec_lo, s2
	v_mul_u32_u24_e32 v18, 0x210, v17
	v_lshlrev_b32_e32 v19, 4, v16
	s_mov_b32 s2, exec_lo
	v_cmpx_gt_u32_e32 32, v16
	s_cbranch_execz .LBB68_7
; %bb.5:
	v_dual_mov_b32 v0, 0 :: v_dual_add_nc_u32 v4, -2, v16
	v_add3_u32 v5, v18, v19, 0x8400
	s_mov_b32 s3, 0
	s_delay_alu instid0(VALU_DEP_2)
	v_dual_mov_b32 v1, v0 :: v_dual_mov_b32 v2, v0
	v_mov_b32_e32 v3, v0
.LBB68_6:                               ; =>This Inner Loop Header: Depth=1
	v_add_nc_u32_e32 v4, 2, v4
	ds_store_b128 v5, v[0:3]
	v_add_nc_u32_e32 v5, 32, v5
	v_cmp_lt_u32_e32 vcc_lo, 29, v4
	s_or_b32 s3, vcc_lo, s3
	s_delay_alu instid0(SALU_CYCLE_1)
	s_and_not1_b32 exec_lo, exec_lo, s3
	s_cbranch_execnz .LBB68_6
.LBB68_7:
	s_or_b32 exec_lo, exec_lo, s2
	s_clause 0x1
	s_load_b32 s29, s[0:1], 0x8
	s_load_b32 s30, s[0:1], 0x0
	s_cmp_ge_i32 s31, s28
	s_wait_dscnt 0x0
	s_wait_kmcnt 0x0
	v_cmp_gt_i32_e64 s0, s29, v16
	s_cbranch_scc1 .LBB68_79
; %bb.8:
	v_mad_u32 v0, s29, s31, v17
	v_mul_lo_u32 v21, s29, v17
	v_mul_lo_u32 v23, v16, s29
	v_or_b32_e32 v1, v16, v17
	v_mad_u32_u24 v22, 0x210, v17, v19
	s_cmp_eq_u32 s30, 0
	s_movk_i32 s3, 0x4200
	s_cselect_b32 s33, -1, 0
	s_cmp_lg_u32 s30, 0
	v_cmp_gt_i32_e64 s1, s29, v17
	v_mad_u32_u24 v20, 0x210, v17, s3
	v_mul_lo_u32 v26, s29, v0
	v_add_nc_u32_e32 v24, 0x8400, v22
	v_mad_u32_u24 v25, 0x210, v16, s3
	v_dual_mov_b32 v0, 0 :: v_dual_add_nc_u32 v27, 0x4200, v22
	v_cmp_ne_u32_e64 s2, 0, v1
	s_cselect_b32 s34, -1, 0
	s_cmp_gt_i32 s29, 0
	s_mul_i32 s36, s29, s29
	s_cselect_b32 s35, -1, 0
	s_lshl_b32 s37, s29, 1
	s_mov_b32 s20, s31
	s_branch .LBB68_10
.LBB68_9:                               ;   in Loop: Header=BB68_10 Depth=1
	s_or_b32 exec_lo, exec_lo, s3
	s_add_co_i32 s20, s20, 1
	v_add_nc_u32_e32 v26, s36, v26
	s_cmp_ge_i32 s20, s28
	global_wb scope:SCOPE_DEV
	s_wait_storecnt 0x0
	global_inv scope:SCOPE_DEV
	s_cselect_b32 s3, -1, 0
	s_delay_alu instid0(SALU_CYCLE_1)
	s_and_b32 vcc_lo, exec_lo, s3
	s_cbranch_vccnz .LBB68_79
.LBB68_10:                              ; =>This Loop Header: Depth=1
                                        ;     Child Loop BB68_14 Depth 2
                                        ;     Child Loop BB68_26 Depth 2
	;; [unrolled: 1-line block ×4, first 2 shown]
                                        ;       Child Loop BB68_43 Depth 3
                                        ;         Child Loop BB68_48 Depth 4
                                        ;     Child Loop BB68_57 Depth 2
                                        ;       Child Loop BB68_64 Depth 3
                                        ;       Child Loop BB68_68 Depth 3
                                        ;     Child Loop BB68_73 Depth 2
	s_ashr_i32 s21, s20, 31
	s_delay_alu instid0(SALU_CYCLE_1) | instskip(NEXT) | instid1(SALU_CYCLE_1)
	s_lshl_b64 s[22:23], s[20:21], 2
	s_add_nc_u64 s[22:23], s[14:15], s[22:23]
	s_load_b32 s38, s[22:23], 0x0
	s_wait_kmcnt 0x0
	s_sub_co_i32 s24, s38, s17
	s_delay_alu instid0(SALU_CYCLE_1) | instskip(SKIP_2) | instid1(SALU_CYCLE_1)
	s_ashr_i32 s25, s24, 31
	s_wait_xcnt 0x0
	s_lshl_b64 s[22:23], s[24:25], 2
	s_add_nc_u64 s[26:27], s[4:5], s[22:23]
	s_load_b32 s3, s[26:27], 0x0
	s_wait_kmcnt 0x0
	s_cmp_eq_u32 s3, -1
	s_cbranch_scc1 .LBB68_78
; %bb.11:                               ;   in Loop: Header=BB68_10 Depth=1
	s_wait_xcnt 0x0
	s_add_nc_u64 s[26:27], s[12:13], s[22:23]
	s_mul_i32 s21, s20, s29
	s_load_b32 s25, s[26:27], 0x0
	s_wait_xcnt 0x0
	s_and_saveexec_b32 s26, s0
	s_cbranch_execz .LBB68_24
; %bb.12:                               ;   in Loop: Header=BB68_10 Depth=1
	v_dual_mov_b32 v8, v22 :: v_dual_mov_b32 v9, v16
	s_mov_b32 s27, 0
	s_branch .LBB68_14
.LBB68_13:                              ;   in Loop: Header=BB68_14 Depth=2
	s_wait_xcnt 0x0
	s_or_b32 exec_lo, exec_lo, s40
	v_dual_mov_b32 v1, v0 :: v_dual_add_nc_u32 v9, 2, v9
	v_dual_mov_b32 v2, v0 :: v_dual_mov_b32 v3, v0
	s_wait_loadcnt 0x0
	ds_store_b128 v8, v[4:7] offset:16896
	ds_store_b128 v8, v[0:3]
	v_cmp_le_i32_e32 vcc_lo, s29, v9
	v_add_nc_u32_e32 v8, 32, v8
	s_or_b32 s27, vcc_lo, s27
	s_delay_alu instid0(SALU_CYCLE_1)
	s_and_not1_b32 exec_lo, exec_lo, s27
	s_cbranch_execz .LBB68_24
.LBB68_14:                              ;   Parent Loop BB68_10 Depth=1
                                        ; =>  This Inner Loop Header: Depth=2
	s_mov_b32 s40, -1
	s_and_b32 vcc_lo, exec_lo, s34
	s_mov_b32 s39, 0
                                        ; implicit-def: $vgpr1
	s_cbranch_vccz .LBB68_19
; %bb.15:                               ;   in Loop: Header=BB68_14 Depth=2
	s_mov_b32 s40, 0
                                        ; implicit-def: $vgpr1
	s_and_saveexec_b32 s41, s1
	s_delay_alu instid0(SALU_CYCLE_1)
	s_xor_b32 s41, exec_lo, s41
; %bb.16:                               ;   in Loop: Header=BB68_14 Depth=2
	v_add_nc_u32_e32 v1, s21, v9
	s_mov_b32 s39, exec_lo
	s_delay_alu instid0(VALU_DEP_1)
	v_mad_u32 v1, v1, s29, v17
; %bb.17:                               ;   in Loop: Header=BB68_14 Depth=2
	s_or_b32 exec_lo, exec_lo, s41
	s_delay_alu instid0(SALU_CYCLE_1)
	s_and_b32 vcc_lo, exec_lo, s40
	s_cbranch_vccnz .LBB68_20
.LBB68_18:                              ;   in Loop: Header=BB68_14 Depth=2
	v_mov_b64_e32 v[4:5], 0
	v_mov_b64_e32 v[6:7], 0
	s_and_saveexec_b32 s40, s39
	s_cbranch_execz .LBB68_13
	s_branch .LBB68_23
.LBB68_19:                              ;   in Loop: Header=BB68_14 Depth=2
	s_and_b32 vcc_lo, exec_lo, s40
	s_cbranch_vccz .LBB68_18
.LBB68_20:                              ;   in Loop: Header=BB68_14 Depth=2
                                        ; implicit-def: $vgpr1
	s_and_saveexec_b32 s40, s1
; %bb.21:                               ;   in Loop: Header=BB68_14 Depth=2
	v_add_nc_u32_e32 v1, v26, v9
	s_or_b32 s39, s39, exec_lo
; %bb.22:                               ;   in Loop: Header=BB68_14 Depth=2
	s_or_b32 exec_lo, exec_lo, s40
	v_mov_b64_e32 v[4:5], 0
	v_mov_b64_e32 v[6:7], 0
	s_and_saveexec_b32 s40, s39
	s_cbranch_execz .LBB68_13
.LBB68_23:                              ;   in Loop: Header=BB68_14 Depth=2
	global_load_b128 v[4:7], v1, s[18:19] scale_offset
	s_branch .LBB68_13
.LBB68_24:                              ;   in Loop: Header=BB68_10 Depth=1
	s_or_b32 exec_lo, exec_lo, s26
	ds_load_b32 v1, v0 offset:50944
	s_wait_kmcnt 0x0
	s_sub_co_i32 s26, s25, s17
	s_mov_b32 s27, 0
	s_cmp_le_i32 s26, s3
	s_cselect_b32 s25, -1, 0
	s_wait_dscnt 0x0
	v_cmp_ge_i32_e32 vcc_lo, s24, v1
	s_and_b32 s25, s25, vcc_lo
	s_delay_alu instid0(SALU_CYCLE_1)
	s_and_not1_b32 vcc_lo, exec_lo, s25
	s_cbranch_vccnz .LBB68_36
; %bb.25:                               ;   in Loop: Header=BB68_10 Depth=1
	s_mov_b32 s25, 0
	s_mov_b32 s39, 0
.LBB68_26:                              ;   Parent Loop BB68_10 Depth=1
                                        ; =>  This Inner Loop Header: Depth=2
	s_ashr_i32 s27, s26, 31
	s_lshl_b32 s42, s39, 2
	s_lshl_b64 s[40:41], s[26:27], 2
	v_mov_b32_e32 v1, s42
	s_add_nc_u64 s[40:41], s[14:15], s[40:41]
	s_mov_b32 s43, -1
	s_load_b32 s27, s[40:41], 0x0
                                        ; implicit-def: $sgpr42
                                        ; implicit-def: $sgpr41
	ds_load_b32 v1, v1 offset:50944
	s_wait_kmcnt 0x0
	s_sub_co_i32 s44, s27, s17
                                        ; implicit-def: $sgpr27
	s_wait_dscnt 0x0
	s_wait_xcnt 0x0
	v_readfirstlane_b32 s40, v1
	v_cmp_ge_i32_e32 vcc_lo, s44, v1
	s_cbranch_vccz .LBB68_32
; %bb.27:                               ;   in Loop: Header=BB68_26 Depth=2
	s_cmp_le_i32 s44, s40
                                        ; implicit-def: $sgpr27
                                        ; implicit-def: $sgpr42
                                        ; implicit-def: $sgpr41
	s_cbranch_scc0 .LBB68_29
; %bb.28:                               ;   in Loop: Header=BB68_26 Depth=2
	s_add_co_i32 s27, s39, s31
	s_lshl_b32 s41, s25, 2
	s_mul_i32 s27, s27, s36
	s_mul_i32 s42, s26, s36
	s_delay_alu instid0(SALU_CYCLE_1)
	v_dual_mov_b32 v1, s27 :: v_dual_mov_b32 v2, s42
	v_add_nc_u32_e64 v3, 0xc400, s41
	s_add_co_i32 s41, s39, 1
	s_add_co_i32 s42, s26, 1
	;; [unrolled: 1-line block ×3, first 2 shown]
	s_mov_b32 s43, 0
	ds_store_2addr_b32 v3, v2, v1 offset0:128 offset1:160
.LBB68_29:                              ;   in Loop: Header=BB68_26 Depth=2
	s_and_not1_b32 vcc_lo, exec_lo, s43
	s_cbranch_vccnz .LBB68_31
; %bb.30:                               ;   in Loop: Header=BB68_26 Depth=2
	s_add_co_i32 s41, s39, 1
	s_mov_b32 s27, s25
	s_mov_b32 s42, s26
.LBB68_31:                              ;   in Loop: Header=BB68_26 Depth=2
	s_mov_b32 s43, 0
.LBB68_32:                              ;   in Loop: Header=BB68_26 Depth=2
	s_delay_alu instid0(SALU_CYCLE_1)
	s_and_not1_b32 vcc_lo, exec_lo, s43
	s_cbranch_vccnz .LBB68_34
; %bb.33:                               ;   in Loop: Header=BB68_26 Depth=2
	s_add_co_i32 s42, s26, 1
	s_mov_b32 s41, s39
	s_mov_b32 s27, s25
.LBB68_34:                              ;   in Loop: Header=BB68_26 Depth=2
	s_cmp_le_i32 s42, s3
	s_cselect_b32 s25, -1, 0
	s_cmp_le_i32 s40, s24
	s_cselect_b32 s26, -1, 0
	s_delay_alu instid0(SALU_CYCLE_1) | instskip(NEXT) | instid1(SALU_CYCLE_1)
	s_and_b32 s25, s25, s26
	s_and_b32 vcc_lo, exec_lo, s25
	s_cbranch_vccz .LBB68_36
; %bb.35:                               ;   in Loop: Header=BB68_26 Depth=2
	s_mov_b32 s25, s27
	s_mov_b32 s26, s42
	;; [unrolled: 1-line block ×3, first 2 shown]
	s_branch .LBB68_26
.LBB68_36:                              ;   in Loop: Header=BB68_10 Depth=1
	s_add_nc_u64 s[22:23], s[6:7], s[22:23]
	s_wait_dscnt 0x0
.LBB68_37:                              ;   Parent Loop BB68_10 Depth=1
                                        ; =>  This Inner Loop Header: Depth=2
	global_load_b32 v1, v0, s[22:23] scope:SCOPE_DEV
	s_wait_loadcnt 0x0
	v_cmp_eq_u32_e32 vcc_lo, 0, v1
	s_cbranch_vccnz .LBB68_37
; %bb.38:                               ;   in Loop: Header=BB68_10 Depth=1
	s_cmp_lt_i32 s27, 2
	global_inv scope:SCOPE_DEV
	s_cbranch_scc1 .LBB68_54
; %bb.39:                               ;   in Loop: Header=BB68_10 Depth=1
	s_wait_xcnt 0x0
	s_add_co_i32 s22, s27, -2
	s_mov_b32 s23, 0
	s_branch .LBB68_41
.LBB68_40:                              ;   in Loop: Header=BB68_41 Depth=2
	s_or_b32 exec_lo, exec_lo, s24
	s_add_co_i32 s24, s23, 1
	s_cmp_eq_u32 s23, s22
	s_mov_b32 s23, s24
	s_cbranch_scc1 .LBB68_54
.LBB68_41:                              ;   Parent Loop BB68_10 Depth=1
                                        ; =>  This Loop Header: Depth=2
                                        ;       Child Loop BB68_43 Depth 3
                                        ;         Child Loop BB68_48 Depth 4
	s_and_saveexec_b32 s24, s0
	s_cbranch_execz .LBB68_40
; %bb.42:                               ;   in Loop: Header=BB68_41 Depth=2
	s_lshl_b32 s25, s23, 2
	v_mov_b32_e32 v31, v16
	v_add_nc_u32_e64 v1, 0xc400, s25
	s_mov_b32 s25, 0
	ds_load_2addr_b32 v[2:3], v1 offset0:128 offset1:160
	s_wait_dscnt 0x0
	v_dual_add_nc_u32 v1, v3, v21 :: v_dual_add_nc_u32 v28, v17, v3
	v_dual_add_nc_u32 v29, v16, v2 :: v_dual_add_nc_u32 v30, v23, v2
.LBB68_43:                              ;   Parent Loop BB68_10 Depth=1
                                        ;     Parent Loop BB68_41 Depth=2
                                        ; =>    This Loop Header: Depth=3
                                        ;         Child Loop BB68_48 Depth 4
	v_mov_b64_e32 v[10:11], 0
	v_mov_b64_e32 v[12:13], 0
	s_delay_alu instid0(VALU_DEP_3)
	v_dual_mov_b32 v32, v29 :: v_dual_mov_b32 v33, v28
	s_mov_b32 s26, 0
	s_and_b32 vcc_lo, exec_lo, s34
	s_mov_b32 s27, -1
                                        ; implicit-def: $vgpr2_vgpr3
                                        ; implicit-def: $vgpr14_vgpr15
	s_cbranch_vccz .LBB68_48
	s_branch .LBB68_45
.LBB68_44:                              ;   in Loop: Header=BB68_48 Depth=4
	s_delay_alu instid0(VALU_DEP_2) | instskip(NEXT) | instid1(VALU_DEP_3)
	v_mov_b64_e32 v[10:11], v[2:3]
	v_mov_b64_e32 v[12:13], v[14:15]
	s_and_b32 vcc_lo, exec_lo, s34
	s_mov_b32 s27, -1
                                        ; implicit-def: $vgpr2_vgpr3
                                        ; implicit-def: $vgpr14_vgpr15
	s_cbranch_vccz .LBB68_48
.LBB68_45:                              ;   in Loop: Header=BB68_43 Depth=3
	global_load_b128 v[2:5], v32, s[18:19] scale_offset
	v_mov_b64_e32 v[6:7], 0
	v_mov_b64_e32 v[8:9], 0
	s_wait_xcnt 0x0
	s_and_saveexec_b32 s27, s1
	s_cbranch_execz .LBB68_47
; %bb.46:                               ;   in Loop: Header=BB68_43 Depth=3
	global_load_b128 v[6:9], v33, s[18:19] scale_offset
.LBB68_47:                              ;   in Loop: Header=BB68_43 Depth=3
	s_wait_xcnt 0x0
	s_or_b32 exec_lo, exec_lo, s27
	s_wait_loadcnt 0x0
	v_fma_f64 v[14:15], v[2:3], v[6:7], v[12:13]
	v_fma_f64 v[6:7], v[4:5], v[6:7], v[10:11]
	s_mov_b32 s27, 0
	s_delay_alu instid0(VALU_DEP_2) | instskip(NEXT) | instid1(VALU_DEP_2)
	v_fmac_f64_e32 v[14:15], v[4:5], v[8:9]
	v_fma_f64 v[2:3], v[2:3], -v[8:9], v[6:7]
.LBB68_48:                              ;   Parent Loop BB68_10 Depth=1
                                        ;     Parent Loop BB68_41 Depth=2
                                        ;       Parent Loop BB68_43 Depth=3
                                        ; =>      This Inner Loop Header: Depth=4
	s_and_b32 vcc_lo, exec_lo, s27
	s_cbranch_vccz .LBB68_52
; %bb.49:                               ;   in Loop: Header=BB68_48 Depth=4
	v_add_nc_u32_e32 v2, s26, v30
	v_mov_b64_e32 v[6:7], 0
	v_mov_b64_e32 v[8:9], 0
	global_load_b128 v[2:5], v2, s[18:19] scale_offset
	s_wait_xcnt 0x0
	s_and_saveexec_b32 s27, s1
	s_cbranch_execz .LBB68_51
; %bb.50:                               ;   in Loop: Header=BB68_48 Depth=4
	v_add_nc_u32_e32 v6, s26, v1
	global_load_b128 v[6:9], v6, s[18:19] scale_offset
.LBB68_51:                              ;   in Loop: Header=BB68_48 Depth=4
	s_wait_xcnt 0x0
	s_or_b32 exec_lo, exec_lo, s27
	s_wait_loadcnt 0x0
	v_fmac_f64_e32 v[12:13], v[2:3], v[6:7]
	v_fmac_f64_e32 v[10:11], v[4:5], v[6:7]
	s_delay_alu instid0(VALU_DEP_2) | instskip(NEXT) | instid1(VALU_DEP_2)
	v_fmac_f64_e32 v[12:13], v[4:5], v[8:9]
	v_fma_f64 v[2:3], v[2:3], -v[8:9], v[10:11]
	s_delay_alu instid0(VALU_DEP_2)
	v_mov_b64_e32 v[14:15], v[12:13]
.LBB68_52:                              ;   in Loop: Header=BB68_48 Depth=4
	v_dual_add_nc_u32 v33, s29, v33 :: v_dual_add_nc_u32 v32, s29, v32
	s_add_co_i32 s26, s26, 1
	s_delay_alu instid0(SALU_CYCLE_1)
	s_cmp_eq_u32 s29, s26
	s_cbranch_scc0 .LBB68_44
; %bb.53:                               ;   in Loop: Header=BB68_43 Depth=3
	v_lshl_add_u32 v8, v31, 4, v18
	v_dual_add_nc_u32 v30, s37, v30 :: v_dual_add_nc_u32 v31, 2, v31
	v_add_nc_u32_e32 v29, 2, v29
	ds_load_b128 v[4:7], v8
	v_cmp_le_i32_e32 vcc_lo, s29, v31
	s_or_b32 s25, vcc_lo, s25
	s_wait_dscnt 0x0
	v_add_f64_e32 v[4:5], v[14:15], v[4:5]
	v_add_f64_e32 v[6:7], v[2:3], v[6:7]
	ds_store_b128 v8, v[4:7]
	s_and_not1_b32 exec_lo, exec_lo, s25
	s_cbranch_execnz .LBB68_43
	s_branch .LBB68_40
.LBB68_54:                              ;   in Loop: Header=BB68_10 Depth=1
	s_and_not1_b32 vcc_lo, exec_lo, s35
	s_wait_loadcnt_dscnt 0x0
	s_cbranch_vccnz .LBB68_69
; %bb.55:                               ;   in Loop: Header=BB68_10 Depth=1
	v_mov_b32_e32 v1, v25
	s_wait_xcnt 0x0
	s_mul_i32 s22, s36, s3
	s_mov_b32 s23, 0
	s_mov_b32 s24, s22
	s_branch .LBB68_57
.LBB68_56:                              ;   in Loop: Header=BB68_57 Depth=2
	s_or_b32 exec_lo, exec_lo, s3
	v_add_nc_u32_e32 v1, 16, v1
	s_add_co_i32 s23, s23, 1
	s_add_co_i32 s24, s24, 1
	s_cmp_eq_u32 s23, s29
	s_wait_dscnt 0x0
	s_cbranch_scc1 .LBB68_69
.LBB68_57:                              ;   Parent Loop BB68_10 Depth=1
                                        ; =>  This Loop Header: Depth=2
                                        ;       Child Loop BB68_64 Depth 3
                                        ;       Child Loop BB68_68 Depth 3
	s_mul_i32 s25, s23, s29
	v_lshl_add_u32 v14, s23, 4, v20
	s_add_co_i32 s25, s25, s22
	s_delay_alu instid0(SALU_CYCLE_1) | instskip(NEXT) | instid1(SALU_CYCLE_1)
	s_add_co_i32 s3, s25, s23
	v_mov_b32_e32 v2, s3
	global_load_b128 v[6:9], v2, s[18:19] scale_offset
	s_wait_xcnt 0x0
	ds_load_b128 v[2:5], v14
	s_wait_loadcnt 0x0
	v_cmp_neq_f64_e32 vcc_lo, 0, v[6:7]
	v_cmp_neq_f64_e64 s3, 0, v[8:9]
	s_or_b32 vcc_lo, vcc_lo, s3
	v_cndmask_b32_e32 v11, 0x3ff00000, v7, vcc_lo
	v_dual_cndmask_b32 v10, 0, v6 :: v_dual_cndmask_b32 v13, 0, v9
	v_cndmask_b32_e32 v12, 0, v8, vcc_lo
	s_nor_b32 s26, vcc_lo, s2
	s_delay_alu instid0(SALU_CYCLE_1)
	s_and_saveexec_b32 s3, s26
	s_cbranch_execz .LBB68_61
; %bb.58:                               ;   in Loop: Header=BB68_57 Depth=2
	v_mbcnt_lo_u32_b32 v6, exec_lo, 0
	s_mov_b32 s26, exec_lo
	s_delay_alu instid0(VALU_DEP_1)
	v_cmpx_eq_u32_e32 0, v6
	s_cbranch_execz .LBB68_60
; %bb.59:                               ;   in Loop: Header=BB68_57 Depth=2
	v_mov_b32_e32 v6, s38
	global_atomic_min_i32 v0, v6, s[10:11] scope:SCOPE_DEV
.LBB68_60:                              ;   in Loop: Header=BB68_57 Depth=2
	s_wait_xcnt 0x0
	s_or_b32 exec_lo, exec_lo, s26
	v_mov_b64_e32 v[12:13], 0
	v_mov_b64_e32 v[10:11], 1.0
.LBB68_61:                              ;   in Loop: Header=BB68_57 Depth=2
	s_or_b32 exec_lo, exec_lo, s3
	v_lshl_add_u32 v6, s23, 4, v18
	s_cmp_eq_u32 s23, 0
	ds_load_b128 v[6:9], v6
	s_cbranch_scc1 .LBB68_66
; %bb.62:                               ;   in Loop: Header=BB68_57 Depth=2
	v_mov_b32_e32 v15, v20
	s_mov_b32 s3, 0
	s_mov_b32 s26, s23
	;; [unrolled: 1-line block ×3, first 2 shown]
	s_branch .LBB68_64
.LBB68_63:                              ;   in Loop: Header=BB68_64 Depth=3
	s_wait_xcnt 0x0
	v_mov_b32_e32 v28, s39
	ds_load_b128 v[32:35], v15
	v_add_nc_u32_e32 v15, 16, v15
	s_add_co_i32 s26, s26, -1
	s_add_co_i32 s3, s3, 1
	global_load_b128 v[28:31], v28, s[18:19] scale_offset
	s_add_co_i32 s27, s27, s29
	s_cmp_eq_u32 s26, 0
	s_wait_loadcnt_dscnt 0x0
	v_fmac_f64_e32 v[6:7], v[28:29], v[32:33]
	v_fmac_f64_e32 v[8:9], v[30:31], v[32:33]
	s_delay_alu instid0(VALU_DEP_2) | instskip(NEXT) | instid1(VALU_DEP_2)
	v_fmac_f64_e32 v[6:7], v[30:31], v[34:35]
	v_fma_f64 v[8:9], v[28:29], -v[34:35], v[8:9]
	s_cbranch_scc1 .LBB68_66
.LBB68_64:                              ;   Parent Loop BB68_10 Depth=1
                                        ;     Parent Loop BB68_57 Depth=2
                                        ; =>    This Inner Loop Header: Depth=3
	s_and_not1_b32 vcc_lo, exec_lo, s33
	s_mov_b32 s39, s27
	s_cbranch_vccnz .LBB68_63
; %bb.65:                               ;   in Loop: Header=BB68_64 Depth=3
	s_add_co_i32 s39, s3, s25
	s_branch .LBB68_63
.LBB68_66:                              ;   in Loop: Header=BB68_57 Depth=2
	s_wait_xcnt 0x0
	v_mul_f64_e32 v[28:29], v[12:13], v[12:13]
	s_wait_dscnt 0x0
	s_delay_alu instid0(VALU_DEP_2) | instskip(NEXT) | instid1(VALU_DEP_4)
	v_add_f64_e64 v[4:5], v[4:5], -v[8:9]
	v_add_f64_e64 v[2:3], v[2:3], -v[6:7]
	s_delay_alu instid0(VALU_DEP_3) | instskip(NEXT) | instid1(VALU_DEP_3)
	v_fmac_f64_e32 v[28:29], v[10:11], v[10:11]
	v_mul_f64_e32 v[6:7], v[12:13], v[4:5]
	s_delay_alu instid0(VALU_DEP_3) | instskip(NEXT) | instid1(VALU_DEP_3)
	v_mul_f64_e64 v[12:13], v[12:13], -v[2:3]
	v_div_scale_f64 v[30:31], null, v[28:29], v[28:29], 1.0
	v_div_scale_f64 v[36:37], vcc_lo, 1.0, v[28:29], 1.0
	s_delay_alu instid0(VALU_DEP_4) | instskip(NEXT) | instid1(VALU_DEP_4)
	v_fmac_f64_e32 v[6:7], v[2:3], v[10:11]
	v_fmac_f64_e32 v[12:13], v[4:5], v[10:11]
	s_delay_alu instid0(VALU_DEP_4) | instskip(SKIP_1) | instid1(TRANS32_DEP_1)
	v_rcp_f64_e32 v[32:33], v[30:31]
	v_nop
	v_fma_f64 v[34:35], -v[30:31], v[32:33], 1.0
	s_delay_alu instid0(VALU_DEP_1) | instskip(NEXT) | instid1(VALU_DEP_1)
	v_fmac_f64_e32 v[32:33], v[32:33], v[34:35]
	v_fma_f64 v[34:35], -v[30:31], v[32:33], 1.0
	s_delay_alu instid0(VALU_DEP_1) | instskip(NEXT) | instid1(VALU_DEP_1)
	v_fmac_f64_e32 v[32:33], v[32:33], v[34:35]
	v_mul_f64_e32 v[34:35], v[36:37], v[32:33]
	s_delay_alu instid0(VALU_DEP_1) | instskip(NEXT) | instid1(VALU_DEP_1)
	v_fma_f64 v[8:9], -v[30:31], v[34:35], v[36:37]
	v_div_fmas_f64 v[8:9], v[8:9], v[32:33], v[34:35]
	s_delay_alu instid0(VALU_DEP_1) | instskip(NEXT) | instid1(VALU_DEP_1)
	v_div_fixup_f64 v[8:9], v[8:9], v[28:29], 1.0
	v_mul_f64_e32 v[2:3], v[8:9], v[6:7]
	v_mul_f64_e32 v[4:5], v[8:9], v[12:13]
	ds_store_b128 v14, v[2:5]
	s_wait_storecnt_dscnt 0x0
	s_and_saveexec_b32 s3, s0
	s_cbranch_execz .LBB68_56
; %bb.67:                               ;   in Loop: Header=BB68_57 Depth=2
	v_dual_mov_b32 v6, v1 :: v_dual_mov_b32 v7, v24
	v_mov_b32_e32 v8, v16
	s_mov_b32 s25, 0
.LBB68_68:                              ;   Parent Loop BB68_10 Depth=1
                                        ;     Parent Loop BB68_57 Depth=2
                                        ; =>    This Inner Loop Header: Depth=3
	ds_load_b128 v[10:13], v6
	ds_load_b128 v[28:31], v7
	v_add_nc_u32_e32 v8, 2, v8
	v_add_nc_u32_e32 v6, 0x420, v6
	s_delay_alu instid0(VALU_DEP_2) | instskip(SKIP_4) | instid1(VALU_DEP_2)
	v_cmp_le_i32_e32 vcc_lo, s29, v8
	s_or_b32 s25, vcc_lo, s25
	s_wait_dscnt 0x0
	v_fmac_f64_e32 v[28:29], v[2:3], v[10:11]
	v_fmac_f64_e32 v[30:31], v[4:5], v[10:11]
	;; [unrolled: 1-line block ×3, first 2 shown]
	s_delay_alu instid0(VALU_DEP_2)
	v_fma_f64 v[30:31], v[2:3], -v[12:13], v[30:31]
	ds_store_b128 v7, v[28:31]
	v_add_nc_u32_e32 v7, 32, v7
	s_and_not1_b32 exec_lo, exec_lo, s25
	s_cbranch_execnz .LBB68_68
	s_branch .LBB68_56
.LBB68_69:                              ;   in Loop: Header=BB68_10 Depth=1
	s_wait_xcnt 0x0
	s_and_saveexec_b32 s3, s0
	s_cbranch_execz .LBB68_9
; %bb.70:                               ;   in Loop: Header=BB68_10 Depth=1
	v_dual_mov_b32 v1, v27 :: v_dual_mov_b32 v2, v16
	s_mov_b32 s22, 0
	s_branch .LBB68_73
.LBB68_71:                              ;   in Loop: Header=BB68_73 Depth=2
	ds_load_2addr_b64 v[4:7], v1 offset1:1
	s_wait_dscnt 0x0
	global_store_b128 v3, v[4:7], s[18:19] scale_offset
.LBB68_72:                              ;   in Loop: Header=BB68_73 Depth=2
	s_wait_xcnt 0x0
	s_or_b32 exec_lo, exec_lo, s23
	v_dual_add_nc_u32 v2, 2, v2 :: v_dual_add_nc_u32 v1, 32, v1
	s_delay_alu instid0(VALU_DEP_1) | instskip(SKIP_1) | instid1(SALU_CYCLE_1)
	v_cmp_le_i32_e32 vcc_lo, s29, v2
	s_or_b32 s22, vcc_lo, s22
	s_and_not1_b32 exec_lo, exec_lo, s22
	s_cbranch_execz .LBB68_9
.LBB68_73:                              ;   Parent Loop BB68_10 Depth=1
                                        ; =>  This Inner Loop Header: Depth=2
	s_and_saveexec_b32 s23, s1
	s_cbranch_execz .LBB68_72
; %bb.74:                               ;   in Loop: Header=BB68_73 Depth=2
	s_and_b32 vcc_lo, exec_lo, s34
	s_mov_b32 s24, -1
                                        ; implicit-def: $vgpr3
	s_cbranch_vccz .LBB68_76
; %bb.75:                               ;   in Loop: Header=BB68_73 Depth=2
	v_add_nc_u32_e32 v3, s21, v2
	s_mov_b32 s24, 0
	s_delay_alu instid0(VALU_DEP_1)
	v_mad_u32 v3, v3, s29, v17
.LBB68_76:                              ;   in Loop: Header=BB68_73 Depth=2
	s_and_not1_b32 vcc_lo, exec_lo, s24
	s_cbranch_vccnz .LBB68_71
; %bb.77:                               ;   in Loop: Header=BB68_73 Depth=2
	v_add_nc_u32_e32 v3, v26, v2
	s_branch .LBB68_71
.LBB68_78:                              ;   in Loop: Header=BB68_10 Depth=1
                                        ; implicit-def: $sgpr20
                                        ; implicit-def: $vgpr26
	s_cbranch_execz .LBB68_10
.LBB68_79:
	v_cmp_gt_i32_e64 s0, s29, v16
	s_and_saveexec_b32 s2, s0
	s_cbranch_execz .LBB68_92
; %bb.80:
	s_mul_i32 s3, s28, s29
	v_cmp_gt_i32_e64 s1, s29, v17
	v_dual_add_nc_u32 v0, s3, v17 :: v_dual_mov_b32 v6, v16
	v_add3_u32 v5, v18, v19, 0x4200
	s_cmp_lg_u32 s30, 0
	s_mov_b32 s4, 0
	s_delay_alu instid0(VALU_DEP_2)
	v_mul_lo_u32 v4, v0, s29
	s_cselect_b32 s5, -1, 0
	s_branch .LBB68_82
.LBB68_81:                              ;   in Loop: Header=BB68_82 Depth=1
	s_wait_xcnt 0x0
	s_or_b32 exec_lo, exec_lo, s13
	v_add_nc_u32_e32 v6, 2, v6
	s_wait_loadcnt 0x0
	ds_store_b128 v5, v[0:3]
	v_add_nc_u32_e32 v5, 32, v5
	v_cmp_le_i32_e32 vcc_lo, s29, v6
	s_or_b32 s4, vcc_lo, s4
	s_delay_alu instid0(SALU_CYCLE_1)
	s_and_not1_b32 exec_lo, exec_lo, s4
	s_cbranch_execz .LBB68_92
.LBB68_82:                              ; =>This Inner Loop Header: Depth=1
	s_and_b32 vcc_lo, exec_lo, s5
	s_cbranch_vccz .LBB68_89
; %bb.83:                               ;   in Loop: Header=BB68_82 Depth=1
	s_mov_b32 s13, 0
	s_mov_b32 s12, 0
                                        ; implicit-def: $vgpr7
	s_and_saveexec_b32 s14, s1
	s_delay_alu instid0(SALU_CYCLE_1)
	s_xor_b32 s14, exec_lo, s14
; %bb.84:                               ;   in Loop: Header=BB68_82 Depth=1
	v_add_nc_u32_e32 v0, s3, v6
	s_mov_b32 s12, exec_lo
	s_delay_alu instid0(VALU_DEP_1)
	v_mad_u32 v7, v0, s29, v17
; %bb.85:                               ;   in Loop: Header=BB68_82 Depth=1
	s_or_b32 exec_lo, exec_lo, s14
	s_delay_alu instid0(SALU_CYCLE_1)
	s_and_b32 vcc_lo, exec_lo, s13
	s_cbranch_vccz .LBB68_90
.LBB68_86:                              ;   in Loop: Header=BB68_82 Depth=1
                                        ; implicit-def: $vgpr7
	s_and_saveexec_b32 s13, s1
; %bb.87:                               ;   in Loop: Header=BB68_82 Depth=1
	s_delay_alu instid0(VALU_DEP_1)
	v_add_nc_u32_e32 v7, v4, v6
	s_or_b32 s12, s12, exec_lo
; %bb.88:                               ;   in Loop: Header=BB68_82 Depth=1
	s_or_b32 exec_lo, exec_lo, s13
	v_mov_b64_e32 v[0:1], 0
	v_mov_b64_e32 v[2:3], 0
	s_and_saveexec_b32 s13, s12
	s_cbranch_execz .LBB68_81
	s_branch .LBB68_91
.LBB68_89:                              ;   in Loop: Header=BB68_82 Depth=1
	s_mov_b32 s12, 0
                                        ; implicit-def: $vgpr7
	s_cbranch_execnz .LBB68_86
.LBB68_90:                              ;   in Loop: Header=BB68_82 Depth=1
	v_mov_b64_e32 v[0:1], 0
	v_mov_b64_e32 v[2:3], 0
	s_and_saveexec_b32 s13, s12
	s_cbranch_execz .LBB68_81
.LBB68_91:                              ;   in Loop: Header=BB68_82 Depth=1
	global_load_b128 v[0:3], v7, s[18:19] scale_offset
	s_branch .LBB68_81
.LBB68_92:
	s_or_b32 exec_lo, exec_lo, s2
	s_cmp_lt_i32 s29, 1
	s_wait_loadcnt_dscnt 0x0
	s_cbranch_scc1 .LBB68_111
; %bb.93:
	s_movk_i32 s2, 0x210
	s_mov_b32 s1, 0x8400
	v_dual_lshlrev_b32 v1, 4, v17 :: v_dual_bitop2_b32 v0, v16, v17 bitop3:0x54
	v_mad_u32_u24 v10, v17, s2, 0x4200
	v_mad_u32_u24 v11, 0x210, v17, s1
	v_add3_u32 v14, v18, v19, 0x8400
	s_delay_alu instid0(VALU_DEP_4) | instskip(SKIP_1) | instid1(VALU_DEP_4)
	v_cmp_ne_u32_e64 s1, 0, v0
	v_mad_u32_u24 v15, v16, s2, 0x4200
	v_dual_add_nc_u32 v12, v10, v1 :: v_dual_add_nc_u32 v13, v11, v1
	v_mov_b32_e32 v2, 0
	s_mov_b32 s3, 0
	s_add_co_i32 s4, s16, s17
	s_branch .LBB68_95
.LBB68_94:                              ;   in Loop: Header=BB68_95 Depth=1
	s_or_b32 exec_lo, exec_lo, s2
	v_add_nc_u32_e32 v15, 16, v15
	s_add_co_i32 s3, s3, 1
	s_wait_storecnt_dscnt 0x0
	s_cmp_eq_u32 s3, s29
	s_cbranch_scc1 .LBB68_111
.LBB68_95:                              ; =>This Loop Header: Depth=1
                                        ;     Child Loop BB68_110 Depth 2
	s_mov_b32 s2, exec_lo
	v_cmpx_eq_u32_e64 s3, v17
	s_cbranch_execz .LBB68_103
; %bb.96:                               ;   in Loop: Header=BB68_95 Depth=1
	ds_load_b128 v[4:7], v13
	ds_load_b128 v[20:23], v12
	s_mov_b32 s5, exec_lo
	s_wait_dscnt 0x0
	v_add_f64_e64 v[0:1], v[20:21], -v[4:5]
	v_add_f64_e64 v[8:9], v[22:23], -v[6:7]
                                        ; implicit-def: $vgpr6_vgpr7
	s_delay_alu instid0(VALU_DEP_2) | instskip(SKIP_1) | instid1(VALU_DEP_3)
	v_cmp_gt_f64_e32 vcc_lo, 0, v[0:1]
	v_xor_b32_e32 v3, 0x80000000, v1
	v_xor_b32_e32 v4, 0x80000000, v9
	s_delay_alu instid0(VALU_DEP_2) | instskip(SKIP_1) | instid1(VALU_DEP_3)
	v_cndmask_b32_e32 v1, v1, v3, vcc_lo
	v_cmp_gt_f64_e32 vcc_lo, 0, v[8:9]
	v_dual_cndmask_b32 v5, v9, v4 :: v_dual_mov_b32 v4, v8
	s_delay_alu instid0(VALU_DEP_1)
	v_cmpx_ngt_f64_e32 v[0:1], v[4:5]
	s_xor_b32 s5, exec_lo, s5
	s_cbranch_execz .LBB68_100
; %bb.97:                               ;   in Loop: Header=BB68_95 Depth=1
	v_mov_b64_e32 v[6:7], 0
	s_mov_b32 s12, exec_lo
	v_cmpx_neq_f64_e32 0, v[8:9]
	s_cbranch_execz .LBB68_99
; %bb.98:                               ;   in Loop: Header=BB68_95 Depth=1
	v_div_scale_f64 v[6:7], null, v[4:5], v[4:5], v[0:1]
	v_div_scale_f64 v[22:23], vcc_lo, v[0:1], v[4:5], v[0:1]
	s_delay_alu instid0(VALU_DEP_2) | instskip(SKIP_1) | instid1(TRANS32_DEP_1)
	v_rcp_f64_e32 v[8:9], v[6:7]
	v_nop
	v_fma_f64 v[20:21], -v[6:7], v[8:9], 1.0
	s_delay_alu instid0(VALU_DEP_1) | instskip(NEXT) | instid1(VALU_DEP_1)
	v_fmac_f64_e32 v[8:9], v[8:9], v[20:21]
	v_fma_f64 v[20:21], -v[6:7], v[8:9], 1.0
	s_delay_alu instid0(VALU_DEP_1) | instskip(NEXT) | instid1(VALU_DEP_1)
	v_fmac_f64_e32 v[8:9], v[8:9], v[20:21]
	v_mul_f64_e32 v[20:21], v[22:23], v[8:9]
	s_delay_alu instid0(VALU_DEP_1) | instskip(NEXT) | instid1(VALU_DEP_1)
	v_fma_f64 v[6:7], -v[6:7], v[20:21], v[22:23]
	v_div_fmas_f64 v[6:7], v[6:7], v[8:9], v[20:21]
	s_delay_alu instid0(VALU_DEP_1) | instskip(NEXT) | instid1(VALU_DEP_1)
	v_div_fixup_f64 v[0:1], v[6:7], v[4:5], v[0:1]
	v_fma_f64 v[0:1], v[0:1], v[0:1], 1.0
	s_delay_alu instid0(VALU_DEP_1) | instskip(SKIP_1) | instid1(VALU_DEP_1)
	v_cmp_gt_f64_e32 vcc_lo, 0x10000000, v[0:1]
	v_cndmask_b32_e64 v3, 0, 0x100, vcc_lo
	v_ldexp_f64 v[0:1], v[0:1], v3
	v_cndmask_b32_e64 v3, 0, 0xffffff80, vcc_lo
	s_delay_alu instid0(VALU_DEP_2) | instskip(SKIP_1) | instid1(TRANS32_DEP_1)
	v_rsq_f64_e32 v[6:7], v[0:1]
	v_cmp_class_f64_e64 vcc_lo, v[0:1], 0x260
	v_mul_f64_e32 v[8:9], v[0:1], v[6:7]
	v_mul_f64_e32 v[6:7], 0.5, v[6:7]
	s_delay_alu instid0(VALU_DEP_1) | instskip(NEXT) | instid1(VALU_DEP_1)
	v_fma_f64 v[20:21], -v[6:7], v[8:9], 0.5
	v_fmac_f64_e32 v[8:9], v[8:9], v[20:21]
	v_fmac_f64_e32 v[6:7], v[6:7], v[20:21]
	s_delay_alu instid0(VALU_DEP_2) | instskip(NEXT) | instid1(VALU_DEP_1)
	v_fma_f64 v[20:21], -v[8:9], v[8:9], v[0:1]
	v_fmac_f64_e32 v[8:9], v[20:21], v[6:7]
	s_delay_alu instid0(VALU_DEP_1) | instskip(NEXT) | instid1(VALU_DEP_1)
	v_fma_f64 v[20:21], -v[8:9], v[8:9], v[0:1]
	v_fmac_f64_e32 v[8:9], v[20:21], v[6:7]
	s_delay_alu instid0(VALU_DEP_1) | instskip(NEXT) | instid1(VALU_DEP_1)
	v_ldexp_f64 v[6:7], v[8:9], v3
	v_dual_cndmask_b32 v1, v7, v1 :: v_dual_cndmask_b32 v0, v6, v0
	s_delay_alu instid0(VALU_DEP_1)
	v_mul_f64_e32 v[6:7], v[4:5], v[0:1]
.LBB68_99:                              ;   in Loop: Header=BB68_95 Depth=1
	s_or_b32 exec_lo, exec_lo, s12
                                        ; implicit-def: $vgpr0_vgpr1
                                        ; implicit-def: $vgpr4_vgpr5
.LBB68_100:                             ;   in Loop: Header=BB68_95 Depth=1
	s_and_not1_saveexec_b32 s5, s5
	s_cbranch_execz .LBB68_102
; %bb.101:                              ;   in Loop: Header=BB68_95 Depth=1
	v_div_scale_f64 v[6:7], null, v[0:1], v[0:1], v[4:5]
	v_div_scale_f64 v[22:23], vcc_lo, v[4:5], v[0:1], v[4:5]
	s_delay_alu instid0(VALU_DEP_2) | instskip(SKIP_1) | instid1(TRANS32_DEP_1)
	v_rcp_f64_e32 v[8:9], v[6:7]
	v_nop
	v_fma_f64 v[20:21], -v[6:7], v[8:9], 1.0
	s_delay_alu instid0(VALU_DEP_1) | instskip(NEXT) | instid1(VALU_DEP_1)
	v_fmac_f64_e32 v[8:9], v[8:9], v[20:21]
	v_fma_f64 v[20:21], -v[6:7], v[8:9], 1.0
	s_delay_alu instid0(VALU_DEP_1) | instskip(NEXT) | instid1(VALU_DEP_1)
	v_fmac_f64_e32 v[8:9], v[8:9], v[20:21]
	v_mul_f64_e32 v[20:21], v[22:23], v[8:9]
	s_delay_alu instid0(VALU_DEP_1) | instskip(NEXT) | instid1(VALU_DEP_1)
	v_fma_f64 v[6:7], -v[6:7], v[20:21], v[22:23]
	v_div_fmas_f64 v[6:7], v[6:7], v[8:9], v[20:21]
	s_delay_alu instid0(VALU_DEP_1) | instskip(NEXT) | instid1(VALU_DEP_1)
	v_div_fixup_f64 v[4:5], v[6:7], v[0:1], v[4:5]
	v_fma_f64 v[4:5], v[4:5], v[4:5], 1.0
	s_delay_alu instid0(VALU_DEP_1) | instskip(SKIP_1) | instid1(VALU_DEP_1)
	v_cmp_gt_f64_e32 vcc_lo, 0x10000000, v[4:5]
	v_cndmask_b32_e64 v3, 0, 0x100, vcc_lo
	v_ldexp_f64 v[4:5], v[4:5], v3
	v_cndmask_b32_e64 v3, 0, 0xffffff80, vcc_lo
	s_delay_alu instid0(VALU_DEP_2) | instskip(SKIP_1) | instid1(TRANS32_DEP_1)
	v_rsq_f64_e32 v[6:7], v[4:5]
	v_cmp_class_f64_e64 vcc_lo, v[4:5], 0x260
	v_mul_f64_e32 v[8:9], v[4:5], v[6:7]
	v_mul_f64_e32 v[6:7], 0.5, v[6:7]
	s_delay_alu instid0(VALU_DEP_1) | instskip(NEXT) | instid1(VALU_DEP_1)
	v_fma_f64 v[20:21], -v[6:7], v[8:9], 0.5
	v_fmac_f64_e32 v[8:9], v[8:9], v[20:21]
	v_fmac_f64_e32 v[6:7], v[6:7], v[20:21]
	s_delay_alu instid0(VALU_DEP_2) | instskip(NEXT) | instid1(VALU_DEP_1)
	v_fma_f64 v[20:21], -v[8:9], v[8:9], v[4:5]
	v_fmac_f64_e32 v[8:9], v[20:21], v[6:7]
	s_delay_alu instid0(VALU_DEP_1) | instskip(NEXT) | instid1(VALU_DEP_1)
	v_fma_f64 v[20:21], -v[8:9], v[8:9], v[4:5]
	v_fmac_f64_e32 v[8:9], v[20:21], v[6:7]
	s_delay_alu instid0(VALU_DEP_1) | instskip(NEXT) | instid1(VALU_DEP_1)
	v_ldexp_f64 v[6:7], v[8:9], v3
	v_dual_cndmask_b32 v5, v7, v5 :: v_dual_cndmask_b32 v4, v6, v4
	s_delay_alu instid0(VALU_DEP_1)
	v_mul_f64_e32 v[6:7], v[0:1], v[4:5]
.LBB68_102:                             ;   in Loop: Header=BB68_95 Depth=1
	s_or_b32 exec_lo, exec_lo, s5
	s_delay_alu instid0(VALU_DEP_1) | instskip(SKIP_2) | instid1(VALU_DEP_2)
	v_cmp_gt_f64_e32 vcc_lo, 0x10000000, v[6:7]
	v_cndmask_b32_e64 v0, 0, 0x100, vcc_lo
	v_cndmask_b32_e64 v3, 0, 0xffffff80, vcc_lo
	v_ldexp_f64 v[0:1], v[6:7], v0
	s_delay_alu instid0(VALU_DEP_1) | instskip(SKIP_1) | instid1(TRANS32_DEP_1)
	v_rsq_f64_e32 v[4:5], v[0:1]
	v_cmp_class_f64_e64 vcc_lo, v[0:1], 0x260
	v_mul_f64_e32 v[6:7], v[0:1], v[4:5]
	v_mul_f64_e32 v[4:5], 0.5, v[4:5]
	s_delay_alu instid0(VALU_DEP_1) | instskip(NEXT) | instid1(VALU_DEP_1)
	v_fma_f64 v[8:9], -v[4:5], v[6:7], 0.5
	v_fmac_f64_e32 v[6:7], v[6:7], v[8:9]
	v_fmac_f64_e32 v[4:5], v[4:5], v[8:9]
	s_delay_alu instid0(VALU_DEP_2) | instskip(NEXT) | instid1(VALU_DEP_1)
	v_fma_f64 v[8:9], -v[6:7], v[6:7], v[0:1]
	v_fmac_f64_e32 v[6:7], v[8:9], v[4:5]
	s_delay_alu instid0(VALU_DEP_1) | instskip(NEXT) | instid1(VALU_DEP_1)
	v_fma_f64 v[8:9], -v[6:7], v[6:7], v[0:1]
	v_fmac_f64_e32 v[6:7], v[8:9], v[4:5]
	s_delay_alu instid0(VALU_DEP_1) | instskip(NEXT) | instid1(VALU_DEP_1)
	v_ldexp_f64 v[4:5], v[6:7], v3
	v_dual_mov_b32 v3, v2 :: v_dual_cndmask_b32 v1, v5, v1, vcc_lo
	s_delay_alu instid0(VALU_DEP_2)
	v_cndmask_b32_e32 v0, v4, v0, vcc_lo
	ds_store_b128 v12, v[0:3]
.LBB68_103:                             ;   in Loop: Header=BB68_95 Depth=1
	s_or_b32 exec_lo, exec_lo, s2
	s_lshl_b32 s5, s3, 4
	s_mul_i32 s2, s3, 0x210
	s_wait_dscnt 0x0
	s_add_co_i32 s2, s2, s5
	s_delay_alu instid0(SALU_CYCLE_1)
	v_dual_mov_b32 v0, s2 :: v_dual_add_nc_u32 v3, s5, v10
	ds_load_b128 v[4:7], v3
	ds_load_b128 v[20:23], v0 offset:16896
	s_wait_dscnt 0x0
	v_cmp_neq_f64_e32 vcc_lo, 0, v[20:21]
	v_cmp_neq_f64_e64 s2, 0, v[22:23]
	s_or_b32 vcc_lo, vcc_lo, s2
	v_dual_cndmask_b32 v9, 0, v23 :: v_dual_cndmask_b32 v8, 0, v22
	v_cndmask_b32_e32 v1, 0x3ff00000, v21, vcc_lo
	v_cndmask_b32_e32 v0, 0, v20, vcc_lo
	s_nor_b32 s5, vcc_lo, s1
	s_delay_alu instid0(SALU_CYCLE_1)
	s_and_saveexec_b32 s2, s5
	s_cbranch_execz .LBB68_107
; %bb.104:                              ;   in Loop: Header=BB68_95 Depth=1
	v_mbcnt_lo_u32_b32 v0, exec_lo, 0
	s_mov_b32 s5, exec_lo
	s_delay_alu instid0(VALU_DEP_1)
	v_cmpx_eq_u32_e32 0, v0
	s_cbranch_execz .LBB68_106
; %bb.105:                              ;   in Loop: Header=BB68_95 Depth=1
	v_mov_b32_e32 v0, s4
	global_atomic_min_i32 v2, v0, s[10:11] scope:SCOPE_DEV
.LBB68_106:                             ;   in Loop: Header=BB68_95 Depth=1
	s_wait_xcnt 0x0
	s_or_b32 exec_lo, exec_lo, s5
	v_mov_b64_e32 v[0:1], 1.0
	v_mov_b64_e32 v[8:9], 0
.LBB68_107:                             ;   in Loop: Header=BB68_95 Depth=1
	s_or_b32 exec_lo, exec_lo, s2
	s_delay_alu instid0(SALU_CYCLE_1)
	s_mov_b32 s2, exec_lo
	v_cmpx_lt_u32_e64 s3, v17
	s_cbranch_execz .LBB68_94
; %bb.108:                              ;   in Loop: Header=BB68_95 Depth=1
	s_delay_alu instid0(VALU_DEP_2) | instskip(NEXT) | instid1(VALU_DEP_1)
	v_mul_f64_e32 v[24:25], v[8:9], v[8:9]
	v_fmac_f64_e32 v[24:25], v[0:1], v[0:1]
	s_delay_alu instid0(VALU_DEP_1) | instskip(SKIP_1) | instid1(VALU_DEP_2)
	v_div_scale_f64 v[26:27], null, v[24:25], v[24:25], 1.0
	v_div_scale_f64 v[30:31], vcc_lo, 1.0, v[24:25], 1.0
	v_rcp_f64_e32 v[28:29], v[26:27]
	v_nop
	s_delay_alu instid0(TRANS32_DEP_1) | instskip(NEXT) | instid1(VALU_DEP_1)
	v_fma_f64 v[20:21], -v[26:27], v[28:29], 1.0
	v_fmac_f64_e32 v[28:29], v[28:29], v[20:21]
	s_delay_alu instid0(VALU_DEP_1) | instskip(NEXT) | instid1(VALU_DEP_1)
	v_fma_f64 v[20:21], -v[26:27], v[28:29], 1.0
	v_fmac_f64_e32 v[28:29], v[28:29], v[20:21]
	v_lshl_add_u32 v20, s3, 4, v11
	ds_load_b128 v[20:23], v20
	s_wait_dscnt 0x0
	v_add_f64_e64 v[6:7], v[6:7], -v[22:23]
	v_add_f64_e64 v[4:5], v[4:5], -v[20:21]
	v_mul_f64_e32 v[32:33], v[30:31], v[28:29]
	s_delay_alu instid0(VALU_DEP_3) | instskip(NEXT) | instid1(VALU_DEP_3)
	v_mul_f64_e32 v[20:21], v[8:9], v[6:7]
	v_mul_f64_e64 v[8:9], v[8:9], -v[4:5]
	s_delay_alu instid0(VALU_DEP_3) | instskip(NEXT) | instid1(VALU_DEP_3)
	v_fma_f64 v[22:23], -v[26:27], v[32:33], v[30:31]
	v_fmac_f64_e32 v[20:21], v[4:5], v[0:1]
	s_delay_alu instid0(VALU_DEP_3) | instskip(NEXT) | instid1(VALU_DEP_3)
	v_fmac_f64_e32 v[8:9], v[6:7], v[0:1]
	v_div_fmas_f64 v[22:23], v[22:23], v[28:29], v[32:33]
	s_delay_alu instid0(VALU_DEP_1) | instskip(NEXT) | instid1(VALU_DEP_1)
	v_div_fixup_f64 v[22:23], v[22:23], v[24:25], 1.0
	v_mul_f64_e32 v[4:5], v[22:23], v[20:21]
	s_delay_alu instid0(VALU_DEP_4)
	v_mul_f64_e32 v[6:7], v[22:23], v[8:9]
	ds_store_b128 v3, v[4:7]
	s_wait_storecnt_dscnt 0x0
	s_and_b32 exec_lo, exec_lo, s0
	s_cbranch_execz .LBB68_94
; %bb.109:                              ;   in Loop: Header=BB68_95 Depth=1
	v_dual_mov_b32 v0, v15 :: v_dual_mov_b32 v1, v14
	v_mov_b32_e32 v3, v16
	s_mov_b32 s5, 0
.LBB68_110:                             ;   Parent Loop BB68_95 Depth=1
                                        ; =>  This Inner Loop Header: Depth=2
	ds_load_b128 v[20:23], v0
	ds_load_b128 v[24:27], v1
	v_add_nc_u32_e32 v3, 2, v3
	v_add_nc_u32_e32 v0, 0x420, v0
	s_delay_alu instid0(VALU_DEP_2) | instskip(SKIP_4) | instid1(VALU_DEP_2)
	v_cmp_le_i32_e32 vcc_lo, s29, v3
	s_or_b32 s5, vcc_lo, s5
	s_wait_dscnt 0x0
	v_fmac_f64_e32 v[24:25], v[4:5], v[20:21]
	v_fmac_f64_e32 v[26:27], v[6:7], v[20:21]
	;; [unrolled: 1-line block ×3, first 2 shown]
	s_delay_alu instid0(VALU_DEP_2)
	v_fma_f64 v[26:27], v[4:5], -v[22:23], v[26:27]
	ds_store_b128 v1, v[24:27]
	v_add_nc_u32_e32 v1, 32, v1
	s_and_not1_b32 exec_lo, exec_lo, s5
	s_cbranch_execnz .LBB68_110
	s_branch .LBB68_94
.LBB68_111:
	s_and_saveexec_b32 s1, s0
	s_cbranch_execz .LBB68_120
; %bb.112:
	s_mul_i32 s28, s28, s29
	v_cmp_gt_i32_e64 s0, s29, v17
	v_dual_add_nc_u32 v0, s28, v17 :: v_dual_mov_b32 v2, v16
	v_add3_u32 v1, v18, v19, 0x4200
	s_cmp_lg_u32 s30, 0
	s_mov_b32 s2, 0
	s_delay_alu instid0(VALU_DEP_2)
	v_mul_lo_u32 v0, v0, s29
	s_cselect_b32 s3, -1, 0
	s_branch .LBB68_116
.LBB68_113:                             ;   in Loop: Header=BB68_116 Depth=1
	s_delay_alu instid0(VALU_DEP_1)
	v_add_nc_u32_e32 v3, v0, v2
.LBB68_114:                             ;   in Loop: Header=BB68_116 Depth=1
	ds_load_2addr_b64 v[4:7], v1 offset1:1
	s_wait_dscnt 0x0
	global_store_b128 v3, v[4:7], s[18:19] scale_offset
.LBB68_115:                             ;   in Loop: Header=BB68_116 Depth=1
	s_wait_xcnt 0x0
	s_or_b32 exec_lo, exec_lo, s4
	v_dual_add_nc_u32 v2, 2, v2 :: v_dual_add_nc_u32 v1, 32, v1
	s_delay_alu instid0(VALU_DEP_1) | instskip(SKIP_1) | instid1(SALU_CYCLE_1)
	v_cmp_le_i32_e32 vcc_lo, s29, v2
	s_or_b32 s2, vcc_lo, s2
	s_and_not1_b32 exec_lo, exec_lo, s2
	s_cbranch_execz .LBB68_120
.LBB68_116:                             ; =>This Inner Loop Header: Depth=1
	s_and_saveexec_b32 s4, s0
	s_cbranch_execz .LBB68_115
; %bb.117:                              ;   in Loop: Header=BB68_116 Depth=1
	s_and_b32 vcc_lo, exec_lo, s3
	s_cbranch_vccz .LBB68_119
; %bb.118:                              ;   in Loop: Header=BB68_116 Depth=1
	v_add_nc_u32_e32 v3, s28, v2
	s_delay_alu instid0(VALU_DEP_1)
	v_mad_u32 v3, v3, s29, v17
	s_cbranch_execnz .LBB68_114
	s_branch .LBB68_113
.LBB68_119:                             ;   in Loop: Header=BB68_116 Depth=1
                                        ; implicit-def: $vgpr3
	s_branch .LBB68_113
.LBB68_120:
	s_or_b32 exec_lo, exec_lo, s1
	v_or_b32_e32 v0, v16, v17
	s_mov_b32 s0, 0
	s_mov_b32 s1, exec_lo
	s_delay_alu instid0(VALU_DEP_1)
	v_cmpx_eq_u32_e32 0, v0
	s_cbranch_execz .LBB68_122
; %bb.121:
	v_dual_mov_b32 v0, 0 :: v_dual_mov_b32 v1, 1
	s_add_nc_u64 s[2:3], s[6:7], s[8:9]
	global_wb scope:SCOPE_DEV
	s_wait_storecnt 0x0
	global_store_b32 v0, v1, s[2:3] scope:SCOPE_DEV
.LBB68_122:
	s_wait_xcnt 0x0
	s_or_b32 exec_lo, exec_lo, s1
	s_delay_alu instid0(SALU_CYCLE_1)
	s_and_b32 vcc_lo, exec_lo, s0
	s_cbranch_vccnz .LBB68_125
.LBB68_123:
	s_endpgm
.LBB68_124:
	s_cbranch_execz .LBB68_123
.LBB68_125:
	v_or_b32_e32 v0, v16, v17
	s_mov_b32 s0, exec_lo
	s_delay_alu instid0(VALU_DEP_1)
	v_cmpx_eq_u32_e32 0, v0
	s_cbranch_execz .LBB68_123
; %bb.126:
	v_mbcnt_lo_u32_b32 v0, exec_lo, 0
	s_mov_b32 s0, exec_lo
	s_delay_alu instid0(VALU_DEP_1)
	v_cmpx_eq_u32_e32 0, v0
	s_cbranch_execz .LBB68_128
; %bb.127:
	s_add_co_i32 s1, s16, s17
	s_delay_alu instid0(SALU_CYCLE_1)
	v_dual_mov_b32 v0, 0 :: v_dual_mov_b32 v1, s1
	global_atomic_min_i32 v0, v1, s[10:11] scope:SCOPE_DEV
.LBB68_128:
	s_wait_xcnt 0x0
	s_or_b32 exec_lo, exec_lo, s0
	v_dual_mov_b32 v0, 0 :: v_dual_mov_b32 v1, 1
	s_add_nc_u64 s[0:1], s[6:7], s[8:9]
	global_wb scope:SCOPE_DEV
	s_wait_storecnt 0x0
	global_store_b32 v0, v1, s[0:1] scope:SCOPE_DEV
	s_endpgm
	.section	.rodata,"a",@progbits
	.p2align	6, 0x0
	.amdhsa_kernel _ZN9rocsparseL19bsric0_17_32_kernelILi64ELi32ELi32E21rocsparse_complex_numIdEEEv20rocsparse_direction_iiPKiS5_PT2_S5_PiS5_S8_21rocsparse_index_base_
		.amdhsa_group_segment_fixed_size 51072
		.amdhsa_private_segment_fixed_size 0
		.amdhsa_kernarg_size 76
		.amdhsa_user_sgpr_count 2
		.amdhsa_user_sgpr_dispatch_ptr 0
		.amdhsa_user_sgpr_queue_ptr 0
		.amdhsa_user_sgpr_kernarg_segment_ptr 1
		.amdhsa_user_sgpr_dispatch_id 0
		.amdhsa_user_sgpr_kernarg_preload_length 0
		.amdhsa_user_sgpr_kernarg_preload_offset 0
		.amdhsa_user_sgpr_private_segment_size 0
		.amdhsa_wavefront_size32 1
		.amdhsa_uses_dynamic_stack 0
		.amdhsa_enable_private_segment 0
		.amdhsa_system_sgpr_workgroup_id_x 1
		.amdhsa_system_sgpr_workgroup_id_y 0
		.amdhsa_system_sgpr_workgroup_id_z 0
		.amdhsa_system_sgpr_workgroup_info 0
		.amdhsa_system_vgpr_workitem_id 1
		.amdhsa_next_free_vgpr 257
		.amdhsa_next_free_sgpr 45
		.amdhsa_named_barrier_count 0
		.amdhsa_reserve_vcc 1
		.amdhsa_float_round_mode_32 0
		.amdhsa_float_round_mode_16_64 0
		.amdhsa_float_denorm_mode_32 3
		.amdhsa_float_denorm_mode_16_64 3
		.amdhsa_fp16_overflow 0
		.amdhsa_memory_ordered 1
		.amdhsa_forward_progress 1
		.amdhsa_inst_pref_size 38
		.amdhsa_round_robin_scheduling 0
		.amdhsa_exception_fp_ieee_invalid_op 0
		.amdhsa_exception_fp_denorm_src 0
		.amdhsa_exception_fp_ieee_div_zero 0
		.amdhsa_exception_fp_ieee_overflow 0
		.amdhsa_exception_fp_ieee_underflow 0
		.amdhsa_exception_fp_ieee_inexact 0
		.amdhsa_exception_int_div_zero 0
	.end_amdhsa_kernel
	.section	.text._ZN9rocsparseL19bsric0_17_32_kernelILi64ELi32ELi32E21rocsparse_complex_numIdEEEv20rocsparse_direction_iiPKiS5_PT2_S5_PiS5_S8_21rocsparse_index_base_,"axG",@progbits,_ZN9rocsparseL19bsric0_17_32_kernelILi64ELi32ELi32E21rocsparse_complex_numIdEEEv20rocsparse_direction_iiPKiS5_PT2_S5_PiS5_S8_21rocsparse_index_base_,comdat
.Lfunc_end68:
	.size	_ZN9rocsparseL19bsric0_17_32_kernelILi64ELi32ELi32E21rocsparse_complex_numIdEEEv20rocsparse_direction_iiPKiS5_PT2_S5_PiS5_S8_21rocsparse_index_base_, .Lfunc_end68-_ZN9rocsparseL19bsric0_17_32_kernelILi64ELi32ELi32E21rocsparse_complex_numIdEEEv20rocsparse_direction_iiPKiS5_PT2_S5_PiS5_S8_21rocsparse_index_base_
                                        ; -- End function
	.set _ZN9rocsparseL19bsric0_17_32_kernelILi64ELi32ELi32E21rocsparse_complex_numIdEEEv20rocsparse_direction_iiPKiS5_PT2_S5_PiS5_S8_21rocsparse_index_base_.num_vgpr, 38
	.set _ZN9rocsparseL19bsric0_17_32_kernelILi64ELi32ELi32E21rocsparse_complex_numIdEEEv20rocsparse_direction_iiPKiS5_PT2_S5_PiS5_S8_21rocsparse_index_base_.num_agpr, 0
	.set _ZN9rocsparseL19bsric0_17_32_kernelILi64ELi32ELi32E21rocsparse_complex_numIdEEEv20rocsparse_direction_iiPKiS5_PT2_S5_PiS5_S8_21rocsparse_index_base_.numbered_sgpr, 45
	.set _ZN9rocsparseL19bsric0_17_32_kernelILi64ELi32ELi32E21rocsparse_complex_numIdEEEv20rocsparse_direction_iiPKiS5_PT2_S5_PiS5_S8_21rocsparse_index_base_.num_named_barrier, 0
	.set _ZN9rocsparseL19bsric0_17_32_kernelILi64ELi32ELi32E21rocsparse_complex_numIdEEEv20rocsparse_direction_iiPKiS5_PT2_S5_PiS5_S8_21rocsparse_index_base_.private_seg_size, 0
	.set _ZN9rocsparseL19bsric0_17_32_kernelILi64ELi32ELi32E21rocsparse_complex_numIdEEEv20rocsparse_direction_iiPKiS5_PT2_S5_PiS5_S8_21rocsparse_index_base_.uses_vcc, 1
	.set _ZN9rocsparseL19bsric0_17_32_kernelILi64ELi32ELi32E21rocsparse_complex_numIdEEEv20rocsparse_direction_iiPKiS5_PT2_S5_PiS5_S8_21rocsparse_index_base_.uses_flat_scratch, 0
	.set _ZN9rocsparseL19bsric0_17_32_kernelILi64ELi32ELi32E21rocsparse_complex_numIdEEEv20rocsparse_direction_iiPKiS5_PT2_S5_PiS5_S8_21rocsparse_index_base_.has_dyn_sized_stack, 0
	.set _ZN9rocsparseL19bsric0_17_32_kernelILi64ELi32ELi32E21rocsparse_complex_numIdEEEv20rocsparse_direction_iiPKiS5_PT2_S5_PiS5_S8_21rocsparse_index_base_.has_recursion, 0
	.set _ZN9rocsparseL19bsric0_17_32_kernelILi64ELi32ELi32E21rocsparse_complex_numIdEEEv20rocsparse_direction_iiPKiS5_PT2_S5_PiS5_S8_21rocsparse_index_base_.has_indirect_call, 0
	.section	.AMDGPU.csdata,"",@progbits
; Kernel info:
; codeLenInByte = 4796
; TotalNumSgprs: 47
; NumVgprs: 38
; ScratchSize: 0
; MemoryBound: 1
; FloatMode: 240
; IeeeMode: 1
; LDSByteSize: 51072 bytes/workgroup (compile time only)
; SGPRBlocks: 0
; VGPRBlocks: 16
; NumSGPRsForWavesPerEU: 47
; NumVGPRsForWavesPerEU: 257
; NamedBarCnt: 0
; Occupancy: 3
; WaveLimiterHint : 1
; COMPUTE_PGM_RSRC2:SCRATCH_EN: 0
; COMPUTE_PGM_RSRC2:USER_SGPR: 2
; COMPUTE_PGM_RSRC2:TRAP_HANDLER: 0
; COMPUTE_PGM_RSRC2:TGID_X_EN: 1
; COMPUTE_PGM_RSRC2:TGID_Y_EN: 0
; COMPUTE_PGM_RSRC2:TGID_Z_EN: 0
; COMPUTE_PGM_RSRC2:TIDIG_COMP_CNT: 1
	.section	.text._ZN9rocsparseL23bsric0_binsearch_kernelILj64ELj64ELb0E21rocsparse_complex_numIdEEEv20rocsparse_direction_iiPKiS5_PT2_S5_PiS5_S8_21rocsparse_index_base_,"axG",@progbits,_ZN9rocsparseL23bsric0_binsearch_kernelILj64ELj64ELb0E21rocsparse_complex_numIdEEEv20rocsparse_direction_iiPKiS5_PT2_S5_PiS5_S8_21rocsparse_index_base_,comdat
	.globl	_ZN9rocsparseL23bsric0_binsearch_kernelILj64ELj64ELb0E21rocsparse_complex_numIdEEEv20rocsparse_direction_iiPKiS5_PT2_S5_PiS5_S8_21rocsparse_index_base_ ; -- Begin function _ZN9rocsparseL23bsric0_binsearch_kernelILj64ELj64ELb0E21rocsparse_complex_numIdEEEv20rocsparse_direction_iiPKiS5_PT2_S5_PiS5_S8_21rocsparse_index_base_
	.p2align	8
	.type	_ZN9rocsparseL23bsric0_binsearch_kernelILj64ELj64ELb0E21rocsparse_complex_numIdEEEv20rocsparse_direction_iiPKiS5_PT2_S5_PiS5_S8_21rocsparse_index_base_,@function
_ZN9rocsparseL23bsric0_binsearch_kernelILj64ELj64ELb0E21rocsparse_complex_numIdEEEv20rocsparse_direction_iiPKiS5_PT2_S5_PiS5_S8_21rocsparse_index_base_: ; @_ZN9rocsparseL23bsric0_binsearch_kernelILj64ELj64ELb0E21rocsparse_complex_numIdEEEv20rocsparse_direction_iiPKiS5_PT2_S5_PiS5_S8_21rocsparse_index_base_
; %bb.0:
	s_load_b256 s[8:15], s[0:1], 0x28
	s_bfe_u32 s2, ttmp6, 0x4000c
	s_and_b32 s3, ttmp6, 15
	s_add_co_i32 s2, s2, 1
	s_getreg_b32 s4, hwreg(HW_REG_IB_STS2, 6, 4)
	s_mul_i32 s2, ttmp9, s2
	s_load_b32 s7, s[0:1], 0x48
	s_add_co_i32 s3, s3, s2
	s_cmp_eq_u32 s4, 0
	s_cselect_b32 s2, ttmp9, s3
	s_delay_alu instid0(SALU_CYCLE_1)
	v_mov_b32_e32 v1, s2
	s_wait_kmcnt 0x0
	global_load_b32 v10, v1, s[12:13] scale_offset
	s_wait_loadcnt 0x0
	global_load_b32 v1, v10, s[8:9] scale_offset
	v_ashrrev_i32_e32 v11, 31, v10
	s_wait_loadcnt 0x0
	v_readfirstlane_b32 s2, v1
	s_cmp_lg_u32 s2, -1
	s_cselect_b32 s2, -1, 0
	s_delay_alu instid0(SALU_CYCLE_1) | instskip(NEXT) | instid1(SALU_CYCLE_1)
	s_and_saveexec_b32 s3, s2
	s_xor_b32 s20, exec_lo, s3
	s_cbranch_execz .LBB69_76
; %bb.1:
	s_load_b32 s21, s[0:1], 0x8
	s_mov_b32 s22, exec_lo
	s_wait_kmcnt 0x0
	v_cmpx_gt_i32_e64 s21, v0
	s_cbranch_execz .LBB69_73
; %bb.2:
	s_clause 0x2
	s_load_b128 s[16:19], s[0:1], 0x10
	s_load_b32 s5, s[0:1], 0x0
	s_load_b64 s[12:13], s[0:1], 0x20
	s_mul_i32 s23, s21, s21
	s_wait_xcnt 0x0
	v_cmp_ne_u32_e64 s0, 0, v0
	v_mul_lo_u32 v32, v1, s23
	s_mov_b32 s24, 0
	v_add_nc_u32_e32 v30, s7, v10
	s_wait_kmcnt 0x0
	v_lshl_add_u64 v[2:3], v[10:11], 2, s[16:17]
	s_cmp_eq_u32 s5, 0
	s_cselect_b32 s1, -1, 0
	s_cmp_lg_u32 s5, 0
	global_load_b64 v[2:3], v[2:3], off
	s_cselect_b32 s25, -1, 0
	s_wait_loadcnt 0x0
	v_subrev_nc_u32_e32 v28, s7, v2
	v_xad_u32 v29, s7, -1, v3
	s_delay_alu instid0(VALU_DEP_2) | instskip(NEXT) | instid1(VALU_DEP_2)
	v_mul_lo_u32 v31, s23, v28
	v_dual_add_nc_u32 v2, v29, v28 :: v_dual_mov_b32 v4, 0
	v_cmp_lt_i32_e64 s2, v28, v1
	v_cmp_ge_i32_e64 s3, v28, v1
	v_cmp_lt_i32_e64 s4, v28, v29
	s_delay_alu instid0(VALU_DEP_4) | instskip(NEXT) | instid1(VALU_DEP_1)
	v_ashrrev_i32_e32 v12, 1, v2
	v_ashrrev_i32_e32 v13, 31, v12
	v_add_nc_u32_e32 v33, v31, v0
	s_delay_alu instid0(VALU_DEP_2)
	v_lshl_add_u64 v[14:15], v[12:13], 2, s[18:19]
	v_mov_b32_e32 v13, v0
	s_branch .LBB69_4
.LBB69_3:                               ;   in Loop: Header=BB69_4 Depth=1
	v_add_nc_u32_e32 v13, 64, v13
	v_add_nc_u32_e32 v33, 64, v33
	s_delay_alu instid0(VALU_DEP_2) | instskip(SKIP_1) | instid1(SALU_CYCLE_1)
	v_cmp_le_i32_e32 vcc_lo, s21, v13
	s_or_b32 s24, vcc_lo, s24
	s_and_not1_b32 exec_lo, exec_lo, s24
	s_cbranch_execz .LBB69_73
.LBB69_4:                               ; =>This Loop Header: Depth=1
                                        ;     Child Loop BB69_10 Depth 2
                                        ;       Child Loop BB69_13 Depth 3
                                        ;       Child Loop BB69_17 Depth 3
                                        ;         Child Loop BB69_19 Depth 4
                                        ;         Child Loop BB69_26 Depth 4
                                        ;           Child Loop BB69_28 Depth 5
                                        ;           Child Loop BB69_34 Depth 5
                                        ;     Child Loop BB69_41 Depth 2
                                        ;       Child Loop BB69_51 Depth 3
                                        ;       Child Loop BB69_59 Depth 3
                                        ;         Child Loop BB69_61 Depth 4
                                        ;       Child Loop BB69_69 Depth 3
	s_delay_alu instid0(VALU_DEP_1) | instskip(SKIP_1) | instid1(SALU_CYCLE_1)
	v_mul_lo_u32 v34, v13, s21
	s_and_saveexec_b32 s5, s3
	s_xor_b32 s5, exec_lo, s5
; %bb.5:                                ;   in Loop: Header=BB69_4 Depth=1
	v_mul_lo_u32 v34, v13, s21
; %bb.6:                                ;   in Loop: Header=BB69_4 Depth=1
	s_or_saveexec_b32 s26, s5
	v_mov_b64_e32 v[16:17], 0
	v_mov_b64_e32 v[18:19], 0
	s_xor_b32 exec_lo, exec_lo, s26
	s_cbranch_execz .LBB69_38
; %bb.7:                                ;   in Loop: Header=BB69_4 Depth=1
	v_mov_b64_e32 v[16:17], 0
	v_mov_b64_e32 v[18:19], 0
	v_mov_b32_e32 v5, v28
	s_mov_b32 s27, 0
                                        ; implicit-def: $sgpr28
	s_branch .LBB69_10
.LBB69_8:                               ;   in Loop: Header=BB69_10 Depth=2
	v_add_nc_u32_e32 v5, 1, v5
	s_and_not1_b32 s5, s28, exec_lo
	s_delay_alu instid0(VALU_DEP_1) | instskip(SKIP_1) | instid1(SALU_CYCLE_1)
	v_cmp_ge_i32_e32 vcc_lo, v5, v1
	s_and_b32 s6, vcc_lo, exec_lo
	s_or_b32 s28, s5, s6
.LBB69_9:                               ;   in Loop: Header=BB69_10 Depth=2
	s_wait_xcnt 0x0
	s_or_b32 exec_lo, exec_lo, s29
	s_delay_alu instid0(SALU_CYCLE_1) | instskip(NEXT) | instid1(SALU_CYCLE_1)
	s_and_b32 s5, exec_lo, s28
	s_or_b32 s27, s5, s27
	s_delay_alu instid0(SALU_CYCLE_1)
	s_and_not1_b32 exec_lo, exec_lo, s27
	s_cbranch_execz .LBB69_37
.LBB69_10:                              ;   Parent Loop BB69_4 Depth=1
                                        ; =>  This Loop Header: Depth=2
                                        ;       Child Loop BB69_13 Depth 3
                                        ;       Child Loop BB69_17 Depth 3
                                        ;         Child Loop BB69_19 Depth 4
                                        ;         Child Loop BB69_26 Depth 4
                                        ;           Child Loop BB69_28 Depth 5
                                        ;           Child Loop BB69_34 Depth 5
	global_load_b32 v35, v5, s[18:19] scale_offset
	s_or_b32 s28, s28, exec_lo
	s_mov_b32 s29, exec_lo
	s_wait_loadcnt 0x0
	v_subrev_nc_u32_e32 v2, s7, v35
	global_load_b32 v36, v2, s[8:9] scale_offset
	s_wait_loadcnt 0x0
	s_wait_xcnt 0x0
	v_cmpx_ne_u32_e32 -1, v36
	s_cbranch_execz .LBB69_9
; %bb.11:                               ;   in Loop: Header=BB69_10 Depth=2
	v_ashrrev_i32_e32 v3, 31, v2
	s_mov_b32 s5, exec_lo
	s_delay_alu instid0(VALU_DEP_1) | instskip(NEXT) | instid1(VALU_DEP_1)
	v_lshlrev_b64_e32 v[6:7], 2, v[2:3]
	v_add_nc_u64_e32 v[8:9], s[16:17], v[6:7]
	v_add_nc_u64_e32 v[6:7], s[10:11], v[6:7]
	global_load_b32 v3, v[8:9], off
	global_load_b32 v20, v[6:7], off scope:SCOPE_DEV
	s_wait_loadcnt 0x0
	s_wait_xcnt 0x0
	v_cmpx_eq_u32_e32 0, v20
	s_cbranch_execz .LBB69_14
; %bb.12:                               ;   in Loop: Header=BB69_10 Depth=2
	s_mov_b32 s6, 0
.LBB69_13:                              ;   Parent Loop BB69_4 Depth=1
                                        ;     Parent Loop BB69_10 Depth=2
                                        ; =>    This Inner Loop Header: Depth=3
	global_load_b32 v8, v[6:7], off scope:SCOPE_DEV
	s_wait_loadcnt 0x0
	v_cmp_ne_u32_e32 vcc_lo, 0, v8
	s_or_b32 s6, vcc_lo, s6
	s_wait_xcnt 0x0
	s_and_not1_b32 exec_lo, exec_lo, s6
	s_cbranch_execnz .LBB69_13
.LBB69_14:                              ;   in Loop: Header=BB69_10 Depth=2
	s_or_b32 exec_lo, exec_lo, s5
	v_mul_lo_u32 v6, v5, s23
	v_subrev_nc_u32_e32 v37, s7, v3
	v_mul_lo_u32 v38, v2, s21
	v_mul_lo_u32 v39, v36, s23
	s_mov_b32 s30, 0
	global_inv scope:SCOPE_DEV
	v_mul_lo_u32 v40, s23, v37
	v_cmp_le_i32_e64 s5, v37, v36
	v_dual_add_nc_u32 v41, v6, v13 :: v_dual_add_nc_u32 v42, v6, v34
	s_branch .LBB69_17
.LBB69_15:                              ;   in Loop: Header=BB69_17 Depth=3
	s_or_b32 exec_lo, exec_lo, s33
.LBB69_16:                              ;   in Loop: Header=BB69_17 Depth=3
	s_delay_alu instid0(SALU_CYCLE_1) | instskip(SKIP_4) | instid1(VALU_DEP_3)
	s_or_b32 exec_lo, exec_lo, s6
	v_dual_mul_f64 v[44:45], v[20:21], v[20:21] :: v_dual_ashrrev_i32 v27, 31, v26
	s_wait_loadcnt 0x0
	v_dual_add_f64 v[8:9], v[8:9], -v[22:23] :: v_dual_add_nc_u32 v40, 1, v40
	v_add_f64_e64 v[6:7], v[6:7], -v[24:25]
	v_lshl_add_u64 v[26:27], v[26:27], 4, s[12:13]
	s_add_co_i32 s30, s30, 1
	s_delay_alu instid0(SALU_CYCLE_1) | instskip(NEXT) | instid1(VALU_DEP_4)
	s_cmp_eq_u32 s30, s21
	v_fmac_f64_e32 v[44:45], v[2:3], v[2:3]
	s_delay_alu instid0(VALU_DEP_4) | instskip(NEXT) | instid1(VALU_DEP_4)
	v_mul_f64_e32 v[24:25], v[20:21], v[8:9]
	v_mul_f64_e64 v[20:21], v[20:21], -v[6:7]
	s_delay_alu instid0(VALU_DEP_3) | instskip(SKIP_1) | instid1(VALU_DEP_4)
	v_div_scale_f64 v[46:47], null, v[44:45], v[44:45], 1.0
	v_div_scale_f64 v[52:53], vcc_lo, 1.0, v[44:45], 1.0
	v_fmac_f64_e32 v[24:25], v[6:7], v[2:3]
	s_delay_alu instid0(VALU_DEP_4) | instskip(NEXT) | instid1(VALU_DEP_4)
	v_fmac_f64_e32 v[20:21], v[8:9], v[2:3]
	v_rcp_f64_e32 v[48:49], v[46:47]
	v_nop
	s_delay_alu instid0(TRANS32_DEP_1) | instskip(NEXT) | instid1(VALU_DEP_1)
	v_fma_f64 v[50:51], -v[46:47], v[48:49], 1.0
	v_fmac_f64_e32 v[48:49], v[48:49], v[50:51]
	s_delay_alu instid0(VALU_DEP_1) | instskip(NEXT) | instid1(VALU_DEP_1)
	v_fma_f64 v[50:51], -v[46:47], v[48:49], 1.0
	v_fmac_f64_e32 v[48:49], v[48:49], v[50:51]
	s_delay_alu instid0(VALU_DEP_1) | instskip(NEXT) | instid1(VALU_DEP_1)
	v_mul_f64_e32 v[50:51], v[52:53], v[48:49]
	v_fma_f64 v[22:23], -v[46:47], v[50:51], v[52:53]
	s_delay_alu instid0(VALU_DEP_1) | instskip(NEXT) | instid1(VALU_DEP_1)
	v_div_fmas_f64 v[22:23], v[22:23], v[48:49], v[50:51]
	v_div_fixup_f64 v[22:23], v[22:23], v[44:45], 1.0
	s_delay_alu instid0(VALU_DEP_1) | instskip(SKIP_1) | instid1(VALU_DEP_2)
	v_mul_f64_e32 v[6:7], v[22:23], v[24:25]
	v_mul_f64_e32 v[8:9], v[22:23], v[20:21]
	v_fmac_f64_e32 v[18:19], v[6:7], v[6:7]
	s_delay_alu instid0(VALU_DEP_2)
	v_fmac_f64_e32 v[16:17], v[8:9], v[6:7]
	global_store_b128 v[26:27], v[6:9], off
	v_fmac_f64_e32 v[18:19], v[8:9], v[8:9]
	v_fma_f64 v[16:17], v[6:7], -v[8:9], v[16:17]
	s_cbranch_scc1 .LBB69_8
.LBB69_17:                              ;   Parent Loop BB69_4 Depth=1
                                        ;     Parent Loop BB69_10 Depth=2
                                        ; =>    This Loop Header: Depth=3
                                        ;         Child Loop BB69_19 Depth 4
                                        ;         Child Loop BB69_26 Depth 4
                                        ;           Child Loop BB69_28 Depth 5
                                        ;           Child Loop BB69_34 Depth 5
	s_mul_i32 s31, s30, s21
	s_delay_alu instid0(SALU_CYCLE_1)
	v_add3_u32 v2, s31, s30, v39
	global_load_b128 v[6:9], v2, s[12:13] scale_offset
	s_wait_loadcnt 0x0
	v_cmp_neq_f64_e32 vcc_lo, 0, v[6:7]
	v_cmp_neq_f64_e64 s6, 0, v[8:9]
	s_or_b32 vcc_lo, vcc_lo, s6
	v_cndmask_b32_e32 v3, 0x3ff00000, v7, vcc_lo
	s_wait_xcnt 0x0
	v_dual_cndmask_b32 v2, 0, v6 :: v_dual_cndmask_b32 v21, 0, v9
	v_cndmask_b32_e32 v20, 0, v8, vcc_lo
	s_nor_b32 s33, vcc_lo, s0
	s_delay_alu instid0(SALU_CYCLE_1)
	s_and_saveexec_b32 s6, s33
	s_cbranch_execz .LBB69_23
; %bb.18:                               ;   in Loop: Header=BB69_17 Depth=3
	s_mov_b32 s34, exec_lo
	s_brev_b32 s33, -2
.LBB69_19:                              ;   Parent Loop BB69_4 Depth=1
                                        ;     Parent Loop BB69_10 Depth=2
                                        ;       Parent Loop BB69_17 Depth=3
                                        ; =>      This Inner Loop Header: Depth=4
	s_ctz_i32_b32 s35, s34
	s_delay_alu instid0(SALU_CYCLE_1) | instskip(SKIP_1) | instid1(SALU_CYCLE_1)
	v_readlane_b32 s36, v35, s35
	s_lshl_b32 s35, 1, s35
	s_and_not1_b32 s34, s34, s35
	s_min_i32 s33, s33, s36
	s_cmp_lg_u32 s34, 0
	s_cbranch_scc1 .LBB69_19
; %bb.20:                               ;   in Loop: Header=BB69_17 Depth=3
	v_mbcnt_lo_u32_b32 v2, exec_lo, 0
	s_mov_b32 s34, exec_lo
	s_delay_alu instid0(VALU_DEP_1)
	v_cmpx_eq_u32_e32 0, v2
	s_xor_b32 s34, exec_lo, s34
	s_cbranch_execz .LBB69_22
; %bb.21:                               ;   in Loop: Header=BB69_17 Depth=3
	v_mov_b32_e32 v2, s33
	global_atomic_min_i32 v4, v2, s[14:15] scope:SCOPE_DEV
.LBB69_22:                              ;   in Loop: Header=BB69_17 Depth=3
	s_wait_xcnt 0x0
	s_or_b32 exec_lo, exec_lo, s34
	v_mov_b64_e32 v[2:3], 1.0
	v_mov_b64_e32 v[20:21], 0
.LBB69_23:                              ;   in Loop: Header=BB69_17 Depth=3
	s_or_b32 exec_lo, exec_lo, s6
	v_dual_add_nc_u32 v6, s30, v42 :: v_dual_add_nc_u32 v7, s31, v41
	v_mov_b64_e32 v[22:23], 0
	v_mov_b64_e32 v[24:25], 0
	s_delay_alu instid0(VALU_DEP_3)
	v_cndmask_b32_e64 v26, v7, v6, s1
	global_load_b128 v[6:9], v26, s[12:13] scale_offset
	s_wait_xcnt 0x0
	s_and_saveexec_b32 s6, s5
	s_cbranch_execz .LBB69_16
; %bb.24:                               ;   in Loop: Header=BB69_17 Depth=3
	global_load_b32 v27, v[14:15], off
	v_mov_b64_e32 v[22:23], 0
	v_mov_b64_e32 v[24:25], 0
	v_dual_mov_b32 v44, v40 :: v_dual_add_nc_u32 v43, s30, v38
	v_mov_b32_e32 v45, v37
	s_mov_b32 s33, 0
	s_branch .LBB69_26
.LBB69_25:                              ;   in Loop: Header=BB69_26 Depth=4
	s_or_b32 exec_lo, exec_lo, s34
	v_dual_add_nc_u32 v46, 1, v45 :: v_dual_add_nc_u32 v44, s23, v44
	v_cmp_ge_i32_e32 vcc_lo, v45, v36
	s_delay_alu instid0(VALU_DEP_2) | instskip(SKIP_1) | instid1(SALU_CYCLE_1)
	v_mov_b32_e32 v45, v46
	s_or_b32 s33, vcc_lo, s33
	s_and_not1_b32 exec_lo, exec_lo, s33
	s_cbranch_execz .LBB69_15
.LBB69_26:                              ;   Parent Loop BB69_4 Depth=1
                                        ;     Parent Loop BB69_10 Depth=2
                                        ;       Parent Loop BB69_17 Depth=3
                                        ; =>      This Loop Header: Depth=4
                                        ;           Child Loop BB69_28 Depth 5
                                        ;           Child Loop BB69_34 Depth 5
	global_load_b32 v46, v45, s[18:19] scale_offset
	s_wait_loadcnt 0x1
	v_dual_mov_b32 v48, v27 :: v_dual_mov_b32 v47, v12
	s_wait_xcnt 0x0
	s_and_saveexec_b32 s34, s4
	s_cbranch_execz .LBB69_30
; %bb.27:                               ;   in Loop: Header=BB69_26 Depth=4
	v_dual_mov_b32 v48, v27 :: v_dual_mov_b32 v47, v12
	v_dual_mov_b32 v49, v28 :: v_dual_mov_b32 v50, v29
	s_mov_b32 s35, 0
.LBB69_28:                              ;   Parent Loop BB69_4 Depth=1
                                        ;     Parent Loop BB69_10 Depth=2
                                        ;       Parent Loop BB69_17 Depth=3
                                        ;         Parent Loop BB69_26 Depth=4
                                        ; =>        This Inner Loop Header: Depth=5
	s_wait_loadcnt 0x0
	s_delay_alu instid0(VALU_DEP_2) | instskip(NEXT) | instid1(VALU_DEP_2)
	v_cmp_lt_i32_e32 vcc_lo, v48, v46
	v_dual_cndmask_b32 v50, v47, v50 :: v_dual_add_nc_u32 v51, 1, v47
	s_delay_alu instid0(VALU_DEP_1) | instskip(NEXT) | instid1(VALU_DEP_1)
	v_cndmask_b32_e32 v49, v49, v51, vcc_lo
	v_add_nc_u32_e32 v47, v50, v49
	v_cmp_ge_i32_e32 vcc_lo, v49, v50
	s_delay_alu instid0(VALU_DEP_2)
	v_ashrrev_i32_e32 v47, 1, v47
	s_or_b32 s35, vcc_lo, s35
	global_load_b32 v48, v47, s[18:19] scale_offset
	s_wait_xcnt 0x0
	s_and_not1_b32 exec_lo, exec_lo, s35
	s_cbranch_execnz .LBB69_28
; %bb.29:                               ;   in Loop: Header=BB69_26 Depth=4
	s_or_b32 exec_lo, exec_lo, s35
.LBB69_30:                              ;   in Loop: Header=BB69_26 Depth=4
	s_delay_alu instid0(SALU_CYCLE_1) | instskip(NEXT) | instid1(SALU_CYCLE_1)
	s_or_b32 exec_lo, exec_lo, s34
	s_mov_b32 s34, exec_lo
	s_wait_loadcnt 0x0
	v_cmpx_eq_u32_e64 v48, v46
	s_cbranch_execz .LBB69_25
; %bb.31:                               ;   in Loop: Header=BB69_26 Depth=4
	v_mul_lo_u32 v49, v47, s23
	v_subrev_nc_u32_e32 v47, s7, v46
	v_mad_u32 v46, v45, s23, s31
	s_mov_b32 s35, 0
	v_mov_b32_e32 v50, v44
	s_delay_alu instid0(VALU_DEP_3)
	v_mul_lo_u32 v47, v47, s21
	v_add_nc_u32_e32 v48, v49, v34
	v_add_nc_u32_e32 v49, v13, v49
	s_branch .LBB69_34
.LBB69_32:                              ;   in Loop: Header=BB69_34 Depth=5
	s_clause 0x1
	global_load_b128 v[54:57], v51, s[12:13] scale_offset
	global_load_b128 v[58:61], v52, s[12:13] scale_offset
	s_wait_loadcnt 0x0
	v_fmac_f64_e32 v[24:25], v[54:55], v[58:59]
	v_fmac_f64_e32 v[22:23], v[56:57], v[58:59]
	s_delay_alu instid0(VALU_DEP_2) | instskip(NEXT) | instid1(VALU_DEP_2)
	v_fmac_f64_e32 v[24:25], v[56:57], v[60:61]
	v_fma_f64 v[22:23], v[54:55], -v[60:61], v[22:23]
.LBB69_33:                              ;   in Loop: Header=BB69_34 Depth=5
	s_wait_xcnt 0x0
	s_or_b32 exec_lo, exec_lo, s36
	v_dual_add_nc_u32 v49, s21, v49 :: v_dual_add_nc_u32 v50, s21, v50
	s_add_co_i32 s35, s35, 1
	s_delay_alu instid0(SALU_CYCLE_1)
	s_cmp_lg_u32 s21, s35
	s_cbranch_scc0 .LBB69_25
.LBB69_34:                              ;   Parent Loop BB69_4 Depth=1
                                        ;     Parent Loop BB69_10 Depth=2
                                        ;       Parent Loop BB69_17 Depth=3
                                        ;         Parent Loop BB69_26 Depth=4
                                        ; =>        This Inner Loop Header: Depth=5
	s_delay_alu instid0(VALU_DEP_3) | instskip(SKIP_1) | instid1(VALU_DEP_1)
	v_add_nc_u32_e32 v51, s35, v47
	s_mov_b32 s36, exec_lo
	v_cmpx_lt_i32_e64 v51, v43
	s_cbranch_execz .LBB69_33
; %bb.35:                               ;   in Loop: Header=BB69_34 Depth=5
	v_dual_mov_b32 v52, v49 :: v_dual_mov_b32 v51, v50
	s_and_not1_b32 vcc_lo, exec_lo, s1
	s_cbranch_vccnz .LBB69_32
; %bb.36:                               ;   in Loop: Header=BB69_34 Depth=5
	v_dual_add_nc_u32 v51, s35, v46 :: v_dual_add_nc_u32 v52, s35, v48
	s_branch .LBB69_32
.LBB69_37:                              ;   in Loop: Header=BB69_4 Depth=1
	s_or_b32 exec_lo, exec_lo, s27
.LBB69_38:                              ;   in Loop: Header=BB69_4 Depth=1
	s_delay_alu instid0(SALU_CYCLE_1) | instskip(NEXT) | instid1(VALU_DEP_3)
	s_or_b32 exec_lo, exec_lo, s26
	v_dual_mov_b32 v36, v31 :: v_dual_add_nc_u32 v35, v34, v32
	s_mov_b32 s6, 0
	s_branch .LBB69_41
.LBB69_39:                              ;   in Loop: Header=BB69_41 Depth=2
	s_wait_xcnt 0x0
	v_mul_f64_e32 v[38:39], v[2:3], v[2:3]
	s_wait_loadcnt 0x0
	s_delay_alu instid0(VALU_DEP_2) | instskip(NEXT) | instid1(VALU_DEP_4)
	v_add_f64_e64 v[8:9], v[8:9], -v[24:25]
	v_add_f64_e64 v[6:7], v[6:7], -v[22:23]
	s_delay_alu instid0(VALU_DEP_3) | instskip(NEXT) | instid1(VALU_DEP_3)
	v_fmac_f64_e32 v[38:39], v[20:21], v[20:21]
	v_mul_f64_e32 v[22:23], v[2:3], v[8:9]
	s_delay_alu instid0(VALU_DEP_3) | instskip(NEXT) | instid1(VALU_DEP_3)
	v_mul_f64_e64 v[2:3], v[2:3], -v[6:7]
	v_div_scale_f64 v[40:41], null, v[38:39], v[38:39], 1.0
	v_div_scale_f64 v[46:47], vcc_lo, 1.0, v[38:39], 1.0
	s_delay_alu instid0(VALU_DEP_4) | instskip(NEXT) | instid1(VALU_DEP_4)
	v_fmac_f64_e32 v[22:23], v[6:7], v[20:21]
	v_fmac_f64_e32 v[2:3], v[8:9], v[20:21]
	s_delay_alu instid0(VALU_DEP_4) | instskip(SKIP_1) | instid1(TRANS32_DEP_1)
	v_rcp_f64_e32 v[42:43], v[40:41]
	v_nop
	v_fma_f64 v[44:45], -v[40:41], v[42:43], 1.0
	s_delay_alu instid0(VALU_DEP_1) | instskip(NEXT) | instid1(VALU_DEP_1)
	v_fmac_f64_e32 v[42:43], v[42:43], v[44:45]
	v_fma_f64 v[44:45], -v[40:41], v[42:43], 1.0
	s_delay_alu instid0(VALU_DEP_1) | instskip(NEXT) | instid1(VALU_DEP_1)
	v_fmac_f64_e32 v[42:43], v[42:43], v[44:45]
	v_mul_f64_e32 v[44:45], v[46:47], v[42:43]
	s_delay_alu instid0(VALU_DEP_1) | instskip(NEXT) | instid1(VALU_DEP_1)
	v_fma_f64 v[24:25], -v[40:41], v[44:45], v[46:47]
	v_div_fmas_f64 v[24:25], v[24:25], v[42:43], v[44:45]
	s_delay_alu instid0(VALU_DEP_1) | instskip(NEXT) | instid1(VALU_DEP_1)
	v_div_fixup_f64 v[24:25], v[24:25], v[38:39], 1.0
	v_mul_f64_e32 v[6:7], v[24:25], v[22:23]
	v_mul_f64_e32 v[8:9], v[24:25], v[2:3]
	s_delay_alu instid0(VALU_DEP_2) | instskip(NEXT) | instid1(VALU_DEP_2)
	v_fmac_f64_e32 v[18:19], v[6:7], v[6:7]
	v_fmac_f64_e32 v[16:17], v[8:9], v[6:7]
	global_store_b128 v[26:27], v[6:9], off
	v_fmac_f64_e32 v[18:19], v[8:9], v[8:9]
	v_fma_f64 v[16:17], v[6:7], -v[8:9], v[16:17]
.LBB69_40:                              ;   in Loop: Header=BB69_41 Depth=2
	s_wait_xcnt 0x0
	s_or_b32 exec_lo, exec_lo, s5
	v_add_nc_u32_e32 v36, 1, v36
	s_add_co_i32 s6, s6, 1
	global_wb scope:SCOPE_DEV
	s_wait_storecnt 0x0
	global_inv scope:SCOPE_DEV
	s_cmp_eq_u32 s6, s21
	s_cbranch_scc1 .LBB69_3
.LBB69_41:                              ;   Parent Loop BB69_4 Depth=1
                                        ; =>  This Loop Header: Depth=2
                                        ;       Child Loop BB69_51 Depth 3
                                        ;       Child Loop BB69_59 Depth 3
                                        ;         Child Loop BB69_61 Depth 4
                                        ;       Child Loop BB69_69 Depth 3
	s_mul_i32 s26, s6, s21
	s_mov_b32 s5, exec_lo
	v_add_nc_u32_e32 v37, s26, v32
	s_delay_alu instid0(VALU_DEP_1) | instskip(NEXT) | instid1(VALU_DEP_1)
	v_add_nc_u32_e32 v2, s6, v37
	v_ashrrev_i32_e32 v3, 31, v2
	s_delay_alu instid0(VALU_DEP_1)
	v_lshl_add_u64 v[6:7], v[2:3], 4, s[12:13]
	v_cmpx_eq_u32_e64 s6, v13
	s_cbranch_execz .LBB69_49
; %bb.42:                               ;   in Loop: Header=BB69_41 Depth=2
	global_load_b128 v[20:23], v[6:7], off
	s_mov_b32 s27, exec_lo
	s_wait_loadcnt 0x0
	v_add_f64_e64 v[22:23], v[22:23], -v[16:17]
	s_delay_alu instid0(VALU_DEP_1) | instskip(SKIP_1) | instid1(VALU_DEP_1)
	v_xor_b32_e32 v8, 0x80000000, v23
	v_add_f64_e64 v[2:3], v[20:21], -v[18:19]
                                        ; implicit-def: $vgpr20_vgpr21
	v_cmp_gt_f64_e32 vcc_lo, 0, v[2:3]
	v_xor_b32_e32 v5, 0x80000000, v3
	s_delay_alu instid0(VALU_DEP_1) | instskip(SKIP_3) | instid1(VALU_DEP_1)
	v_cndmask_b32_e32 v3, v3, v5, vcc_lo
	v_cmp_gt_f64_e32 vcc_lo, 0, v[22:23]
	v_dual_cndmask_b32 v9, v23, v8 :: v_dual_mov_b32 v8, v22
	s_wait_xcnt 0x0
	v_cmpx_ngt_f64_e32 v[2:3], v[8:9]
	s_xor_b32 s27, exec_lo, s27
	s_cbranch_execz .LBB69_46
; %bb.43:                               ;   in Loop: Header=BB69_41 Depth=2
	v_mov_b64_e32 v[20:21], 0
	s_mov_b32 s28, exec_lo
	v_cmpx_neq_f64_e32 0, v[22:23]
	s_cbranch_execz .LBB69_45
; %bb.44:                               ;   in Loop: Header=BB69_41 Depth=2
	v_div_scale_f64 v[20:21], null, v[8:9], v[8:9], v[2:3]
	v_div_scale_f64 v[26:27], vcc_lo, v[2:3], v[8:9], v[2:3]
	s_delay_alu instid0(VALU_DEP_2) | instskip(SKIP_1) | instid1(TRANS32_DEP_1)
	v_rcp_f64_e32 v[22:23], v[20:21]
	v_nop
	v_fma_f64 v[24:25], -v[20:21], v[22:23], 1.0
	s_delay_alu instid0(VALU_DEP_1) | instskip(NEXT) | instid1(VALU_DEP_1)
	v_fmac_f64_e32 v[22:23], v[22:23], v[24:25]
	v_fma_f64 v[24:25], -v[20:21], v[22:23], 1.0
	s_delay_alu instid0(VALU_DEP_1) | instskip(NEXT) | instid1(VALU_DEP_1)
	v_fmac_f64_e32 v[22:23], v[22:23], v[24:25]
	v_mul_f64_e32 v[24:25], v[26:27], v[22:23]
	s_delay_alu instid0(VALU_DEP_1) | instskip(NEXT) | instid1(VALU_DEP_1)
	v_fma_f64 v[20:21], -v[20:21], v[24:25], v[26:27]
	v_div_fmas_f64 v[20:21], v[20:21], v[22:23], v[24:25]
	s_delay_alu instid0(VALU_DEP_1) | instskip(NEXT) | instid1(VALU_DEP_1)
	v_div_fixup_f64 v[2:3], v[20:21], v[8:9], v[2:3]
	v_fma_f64 v[2:3], v[2:3], v[2:3], 1.0
	s_delay_alu instid0(VALU_DEP_1) | instskip(SKIP_1) | instid1(VALU_DEP_1)
	v_cmp_gt_f64_e32 vcc_lo, 0x10000000, v[2:3]
	v_cndmask_b32_e64 v5, 0, 0x100, vcc_lo
	v_ldexp_f64 v[2:3], v[2:3], v5
	v_cndmask_b32_e64 v5, 0, 0xffffff80, vcc_lo
	s_delay_alu instid0(VALU_DEP_2) | instskip(SKIP_1) | instid1(TRANS32_DEP_1)
	v_rsq_f64_e32 v[20:21], v[2:3]
	v_cmp_class_f64_e64 vcc_lo, v[2:3], 0x260
	v_mul_f64_e32 v[22:23], v[2:3], v[20:21]
	v_mul_f64_e32 v[20:21], 0.5, v[20:21]
	s_delay_alu instid0(VALU_DEP_1) | instskip(NEXT) | instid1(VALU_DEP_1)
	v_fma_f64 v[24:25], -v[20:21], v[22:23], 0.5
	v_fmac_f64_e32 v[22:23], v[22:23], v[24:25]
	v_fmac_f64_e32 v[20:21], v[20:21], v[24:25]
	s_delay_alu instid0(VALU_DEP_2) | instskip(NEXT) | instid1(VALU_DEP_1)
	v_fma_f64 v[24:25], -v[22:23], v[22:23], v[2:3]
	v_fmac_f64_e32 v[22:23], v[24:25], v[20:21]
	s_delay_alu instid0(VALU_DEP_1) | instskip(NEXT) | instid1(VALU_DEP_1)
	v_fma_f64 v[24:25], -v[22:23], v[22:23], v[2:3]
	v_fmac_f64_e32 v[22:23], v[24:25], v[20:21]
	s_delay_alu instid0(VALU_DEP_1) | instskip(NEXT) | instid1(VALU_DEP_1)
	v_ldexp_f64 v[20:21], v[22:23], v5
	v_dual_cndmask_b32 v3, v21, v3 :: v_dual_cndmask_b32 v2, v20, v2
	s_delay_alu instid0(VALU_DEP_1)
	v_mul_f64_e32 v[20:21], v[8:9], v[2:3]
.LBB69_45:                              ;   in Loop: Header=BB69_41 Depth=2
	s_or_b32 exec_lo, exec_lo, s28
                                        ; implicit-def: $vgpr2_vgpr3
                                        ; implicit-def: $vgpr8_vgpr9
.LBB69_46:                              ;   in Loop: Header=BB69_41 Depth=2
	s_and_not1_saveexec_b32 s27, s27
	s_cbranch_execz .LBB69_48
; %bb.47:                               ;   in Loop: Header=BB69_41 Depth=2
	v_div_scale_f64 v[20:21], null, v[2:3], v[2:3], v[8:9]
	v_div_scale_f64 v[26:27], vcc_lo, v[8:9], v[2:3], v[8:9]
	s_delay_alu instid0(VALU_DEP_2) | instskip(SKIP_1) | instid1(TRANS32_DEP_1)
	v_rcp_f64_e32 v[22:23], v[20:21]
	v_nop
	v_fma_f64 v[24:25], -v[20:21], v[22:23], 1.0
	s_delay_alu instid0(VALU_DEP_1) | instskip(NEXT) | instid1(VALU_DEP_1)
	v_fmac_f64_e32 v[22:23], v[22:23], v[24:25]
	v_fma_f64 v[24:25], -v[20:21], v[22:23], 1.0
	s_delay_alu instid0(VALU_DEP_1) | instskip(NEXT) | instid1(VALU_DEP_1)
	v_fmac_f64_e32 v[22:23], v[22:23], v[24:25]
	v_mul_f64_e32 v[24:25], v[26:27], v[22:23]
	s_delay_alu instid0(VALU_DEP_1) | instskip(NEXT) | instid1(VALU_DEP_1)
	v_fma_f64 v[20:21], -v[20:21], v[24:25], v[26:27]
	v_div_fmas_f64 v[20:21], v[20:21], v[22:23], v[24:25]
	s_delay_alu instid0(VALU_DEP_1) | instskip(NEXT) | instid1(VALU_DEP_1)
	v_div_fixup_f64 v[8:9], v[20:21], v[2:3], v[8:9]
	v_fma_f64 v[8:9], v[8:9], v[8:9], 1.0
	s_delay_alu instid0(VALU_DEP_1) | instskip(SKIP_1) | instid1(VALU_DEP_1)
	v_cmp_gt_f64_e32 vcc_lo, 0x10000000, v[8:9]
	v_cndmask_b32_e64 v5, 0, 0x100, vcc_lo
	v_ldexp_f64 v[8:9], v[8:9], v5
	v_cndmask_b32_e64 v5, 0, 0xffffff80, vcc_lo
	s_delay_alu instid0(VALU_DEP_2) | instskip(SKIP_1) | instid1(TRANS32_DEP_1)
	v_rsq_f64_e32 v[20:21], v[8:9]
	v_cmp_class_f64_e64 vcc_lo, v[8:9], 0x260
	v_mul_f64_e32 v[22:23], v[8:9], v[20:21]
	v_mul_f64_e32 v[20:21], 0.5, v[20:21]
	s_delay_alu instid0(VALU_DEP_1) | instskip(NEXT) | instid1(VALU_DEP_1)
	v_fma_f64 v[24:25], -v[20:21], v[22:23], 0.5
	v_fmac_f64_e32 v[22:23], v[22:23], v[24:25]
	v_fmac_f64_e32 v[20:21], v[20:21], v[24:25]
	s_delay_alu instid0(VALU_DEP_2) | instskip(NEXT) | instid1(VALU_DEP_1)
	v_fma_f64 v[24:25], -v[22:23], v[22:23], v[8:9]
	v_fmac_f64_e32 v[22:23], v[24:25], v[20:21]
	s_delay_alu instid0(VALU_DEP_1) | instskip(NEXT) | instid1(VALU_DEP_1)
	v_fma_f64 v[24:25], -v[22:23], v[22:23], v[8:9]
	v_fmac_f64_e32 v[22:23], v[24:25], v[20:21]
	s_delay_alu instid0(VALU_DEP_1) | instskip(NEXT) | instid1(VALU_DEP_1)
	v_ldexp_f64 v[20:21], v[22:23], v5
	v_dual_cndmask_b32 v9, v21, v9 :: v_dual_cndmask_b32 v8, v20, v8
	s_delay_alu instid0(VALU_DEP_1)
	v_mul_f64_e32 v[20:21], v[2:3], v[8:9]
.LBB69_48:                              ;   in Loop: Header=BB69_41 Depth=2
	s_or_b32 exec_lo, exec_lo, s27
	s_delay_alu instid0(VALU_DEP_1) | instskip(SKIP_2) | instid1(VALU_DEP_2)
	v_cmp_gt_f64_e32 vcc_lo, 0x10000000, v[20:21]
	v_cndmask_b32_e64 v2, 0, 0x100, vcc_lo
	v_cndmask_b32_e64 v5, 0, 0xffffff80, vcc_lo
	v_ldexp_f64 v[2:3], v[20:21], v2
	s_delay_alu instid0(VALU_DEP_1) | instskip(SKIP_1) | instid1(TRANS32_DEP_1)
	v_rsq_f64_e32 v[8:9], v[2:3]
	v_cmp_class_f64_e64 vcc_lo, v[2:3], 0x260
	v_mul_f64_e32 v[20:21], v[2:3], v[8:9]
	v_mul_f64_e32 v[8:9], 0.5, v[8:9]
	s_delay_alu instid0(VALU_DEP_1) | instskip(NEXT) | instid1(VALU_DEP_1)
	v_fma_f64 v[22:23], -v[8:9], v[20:21], 0.5
	v_fmac_f64_e32 v[20:21], v[20:21], v[22:23]
	v_fmac_f64_e32 v[8:9], v[8:9], v[22:23]
	s_delay_alu instid0(VALU_DEP_2) | instskip(NEXT) | instid1(VALU_DEP_1)
	v_fma_f64 v[22:23], -v[20:21], v[20:21], v[2:3]
	v_fmac_f64_e32 v[20:21], v[22:23], v[8:9]
	s_delay_alu instid0(VALU_DEP_1) | instskip(NEXT) | instid1(VALU_DEP_1)
	v_fma_f64 v[22:23], -v[20:21], v[20:21], v[2:3]
	v_fmac_f64_e32 v[20:21], v[22:23], v[8:9]
	s_delay_alu instid0(VALU_DEP_1) | instskip(NEXT) | instid1(VALU_DEP_1)
	v_ldexp_f64 v[8:9], v[20:21], v5
	v_dual_mov_b32 v5, v4 :: v_dual_cndmask_b32 v3, v9, v3, vcc_lo
	s_delay_alu instid0(VALU_DEP_2)
	v_cndmask_b32_e32 v2, v8, v2, vcc_lo
	global_store_b128 v[6:7], v[2:5], off
.LBB69_49:                              ;   in Loop: Header=BB69_41 Depth=2
	s_wait_xcnt 0x0
	s_or_b32 exec_lo, exec_lo, s5
	global_wb scope:SCOPE_DEV
	s_wait_storecnt 0x0
	global_inv scope:SCOPE_DEV
	global_load_b128 v[6:9], v[6:7], off
	s_wait_loadcnt 0x0
	v_cmp_neq_f64_e32 vcc_lo, 0, v[6:7]
	v_cmp_neq_f64_e64 s5, 0, v[8:9]
	s_or_b32 vcc_lo, vcc_lo, s5
	v_dual_cndmask_b32 v3, 0, v9 :: v_dual_cndmask_b32 v2, 0, v8
	v_cndmask_b32_e32 v21, 0x3ff00000, v7, vcc_lo
	v_cndmask_b32_e32 v20, 0, v6, vcc_lo
	s_nor_b32 s27, vcc_lo, s0
	s_wait_xcnt 0x0
	s_and_saveexec_b32 s5, s27
	s_cbranch_execz .LBB69_55
; %bb.50:                               ;   in Loop: Header=BB69_41 Depth=2
	s_mov_b32 s28, exec_lo
	s_brev_b32 s27, -2
.LBB69_51:                              ;   Parent Loop BB69_4 Depth=1
                                        ;     Parent Loop BB69_41 Depth=2
                                        ; =>    This Inner Loop Header: Depth=3
	s_ctz_i32_b32 s29, s28
	s_delay_alu instid0(SALU_CYCLE_1) | instskip(SKIP_1) | instid1(SALU_CYCLE_1)
	v_readlane_b32 s30, v30, s29
	s_lshl_b32 s29, 1, s29
	s_and_not1_b32 s28, s28, s29
	s_min_i32 s27, s27, s30
	s_cmp_lg_u32 s28, 0
	s_cbranch_scc1 .LBB69_51
; %bb.52:                               ;   in Loop: Header=BB69_41 Depth=2
	v_mbcnt_lo_u32_b32 v2, exec_lo, 0
	s_mov_b32 s28, exec_lo
	s_delay_alu instid0(VALU_DEP_1)
	v_cmpx_eq_u32_e32 0, v2
	s_xor_b32 s28, exec_lo, s28
	s_cbranch_execz .LBB69_54
; %bb.53:                               ;   in Loop: Header=BB69_41 Depth=2
	v_mov_b32_e32 v2, s27
	global_atomic_min_i32 v4, v2, s[14:15] scope:SCOPE_DEV
.LBB69_54:                              ;   in Loop: Header=BB69_41 Depth=2
	s_wait_xcnt 0x0
	s_or_b32 exec_lo, exec_lo, s28
	v_mov_b64_e32 v[2:3], 0
	v_mov_b64_e32 v[20:21], 1.0
.LBB69_55:                              ;   in Loop: Header=BB69_41 Depth=2
	s_or_b32 exec_lo, exec_lo, s5
	s_delay_alu instid0(SALU_CYCLE_1)
	s_mov_b32 s5, exec_lo
	v_cmpx_lt_i32_e64 s6, v13
	s_cbranch_execz .LBB69_40
; %bb.56:                               ;   in Loop: Header=BB69_41 Depth=2
	v_dual_add_nc_u32 v5, s6, v35 :: v_dual_add_nc_u32 v6, v37, v13
	v_mov_b64_e32 v[22:23], 0
	v_mov_b64_e32 v[24:25], 0
	s_delay_alu instid0(VALU_DEP_3)
	v_cndmask_b32_e64 v26, v6, v5, s1
	global_load_b128 v[6:9], v26, s[12:13] scale_offset
	s_wait_xcnt 0x0
	s_and_saveexec_b32 s27, s2
	s_cbranch_execz .LBB69_66
; %bb.57:                               ;   in Loop: Header=BB69_41 Depth=2
	v_mov_b64_e32 v[22:23], 0
	v_mov_b64_e32 v[24:25], 0
	v_dual_mov_b32 v5, v36 :: v_dual_mov_b32 v27, v33
	v_mov_b32_e32 v38, v28
	s_mov_b32 s28, 0
	s_branch .LBB69_59
.LBB69_58:                              ;   in Loop: Header=BB69_59 Depth=3
	v_dual_add_nc_u32 v38, 1, v38 :: v_dual_add_nc_u32 v27, s23, v27
	v_add_nc_u32_e32 v5, s23, v5
	s_delay_alu instid0(VALU_DEP_2)
	v_cmp_ge_i32_e32 vcc_lo, v38, v1
	s_or_b32 s28, vcc_lo, s28
	s_wait_xcnt 0x0
	s_and_not1_b32 exec_lo, exec_lo, s28
	s_cbranch_execz .LBB69_65
.LBB69_59:                              ;   Parent Loop BB69_4 Depth=1
                                        ;     Parent Loop BB69_41 Depth=2
                                        ; =>    This Loop Header: Depth=3
                                        ;         Child Loop BB69_61 Depth 4
	s_delay_alu instid0(VALU_DEP_1) | instskip(SKIP_3) | instid1(VALU_DEP_1)
	v_mul_lo_u32 v40, v38, s23
	s_mov_b32 s29, s21
	s_mov_b32 s30, 0
	;; [unrolled: 1-line block ×3, first 2 shown]
	v_dual_add_nc_u32 v39, s26, v40 :: v_dual_add_nc_u32 v40, v40, v34
	s_branch .LBB69_61
.LBB69_60:                              ;   in Loop: Header=BB69_61 Depth=4
	s_clause 0x1
	global_load_b128 v[44:47], v42, s[12:13] scale_offset
	global_load_b128 v[48:51], v41, s[12:13] scale_offset
	s_add_co_i32 s29, s29, -1
	s_add_co_i32 s31, s31, 1
	s_add_co_i32 s30, s30, s21
	s_cmp_eq_u32 s29, 0
	s_wait_loadcnt 0x0
	v_fmac_f64_e32 v[22:23], v[48:49], v[44:45]
	v_fmac_f64_e32 v[24:25], v[50:51], v[44:45]
	s_delay_alu instid0(VALU_DEP_2) | instskip(NEXT) | instid1(VALU_DEP_2)
	v_fmac_f64_e32 v[22:23], v[50:51], v[46:47]
	v_fma_f64 v[24:25], v[48:49], -v[46:47], v[24:25]
	s_cbranch_scc1 .LBB69_58
.LBB69_61:                              ;   Parent Loop BB69_4 Depth=1
                                        ;     Parent Loop BB69_41 Depth=2
                                        ;       Parent Loop BB69_59 Depth=3
                                        ; =>      This Inner Loop Header: Depth=4
	s_and_b32 vcc_lo, exec_lo, s25
	s_mov_b32 s33, -1
                                        ; implicit-def: $vgpr42
                                        ; implicit-def: $vgpr41
	s_cbranch_vccz .LBB69_63
; %bb.62:                               ;   in Loop: Header=BB69_61 Depth=4
	s_wait_xcnt 0x0
	v_dual_add_nc_u32 v41, s30, v5 :: v_dual_add_nc_u32 v42, s30, v27
	s_mov_b32 s33, 0
.LBB69_63:                              ;   in Loop: Header=BB69_61 Depth=4
	s_delay_alu instid0(SALU_CYCLE_1)
	s_and_not1_b32 vcc_lo, exec_lo, s33
	s_cbranch_vccnz .LBB69_60
; %bb.64:                               ;   in Loop: Header=BB69_61 Depth=4
	s_wait_xcnt 0x0
	v_dual_add_nc_u32 v41, s31, v39 :: v_dual_add_nc_u32 v42, s31, v40
	s_branch .LBB69_60
.LBB69_65:                              ;   in Loop: Header=BB69_41 Depth=2
	s_or_b32 exec_lo, exec_lo, s28
.LBB69_66:                              ;   in Loop: Header=BB69_41 Depth=2
	s_delay_alu instid0(SALU_CYCLE_1) | instskip(SKIP_2) | instid1(VALU_DEP_1)
	s_or_b32 exec_lo, exec_lo, s27
	v_ashrrev_i32_e32 v27, 31, v26
	s_cmp_eq_u32 s6, 0
	v_lshl_add_u64 v[26:27], v[26:27], 4, s[12:13]
	s_cbranch_scc1 .LBB69_39
; %bb.67:                               ;   in Loop: Header=BB69_41 Depth=2
	v_mov_b32_e32 v5, v32
	s_mov_b32 s26, 0
	s_branch .LBB69_69
.LBB69_68:                              ;   in Loop: Header=BB69_69 Depth=3
	s_clause 0x1
	global_load_b128 v[40:43], v39, s[12:13] scale_offset
	global_load_b128 v[44:47], v38, s[12:13] scale_offset
	s_add_co_i32 s26, s26, 1
	v_add_nc_u32_e32 v5, s21, v5
	s_cmp_eq_u32 s6, s26
	s_wait_loadcnt 0x0
	v_fmac_f64_e32 v[22:23], v[44:45], v[40:41]
	v_fmac_f64_e32 v[24:25], v[46:47], v[40:41]
	s_delay_alu instid0(VALU_DEP_2) | instskip(NEXT) | instid1(VALU_DEP_2)
	v_fmac_f64_e32 v[22:23], v[46:47], v[42:43]
	v_fma_f64 v[24:25], v[44:45], -v[42:43], v[24:25]
	s_cbranch_scc1 .LBB69_39
.LBB69_69:                              ;   Parent Loop BB69_4 Depth=1
                                        ;     Parent Loop BB69_41 Depth=2
                                        ; =>    This Inner Loop Header: Depth=3
	s_and_b32 vcc_lo, exec_lo, s25
	s_mov_b32 s27, -1
                                        ; implicit-def: $vgpr39
                                        ; implicit-def: $vgpr38
	s_cbranch_vccz .LBB69_71
; %bb.70:                               ;   in Loop: Header=BB69_69 Depth=3
	s_wait_xcnt 0x0
	v_dual_add_nc_u32 v38, s6, v5 :: v_dual_add_nc_u32 v39, v13, v5
	s_mov_b32 s27, 0
.LBB69_71:                              ;   in Loop: Header=BB69_69 Depth=3
	s_delay_alu instid0(SALU_CYCLE_1)
	s_and_not1_b32 vcc_lo, exec_lo, s27
	s_cbranch_vccnz .LBB69_68
; %bb.72:                               ;   in Loop: Header=BB69_69 Depth=3
	s_wait_xcnt 0x0
	v_dual_add_nc_u32 v38, s26, v37 :: v_dual_add_nc_u32 v39, s26, v35
	s_branch .LBB69_68
.LBB69_73:
	s_or_b32 exec_lo, exec_lo, s22
	s_delay_alu instid0(SALU_CYCLE_1)
	s_mov_b32 s0, exec_lo
	v_cmpx_eq_u32_e32 63, v0
	s_cbranch_execz .LBB69_75
; %bb.74:
	v_lshl_add_u64 v[0:1], v[10:11], 2, s[10:11]
	v_mov_b32_e32 v2, 1
	global_wb scope:SCOPE_DEV
	s_wait_loadcnt 0x0
	s_wait_storecnt 0x0
	global_store_b32 v[0:1], v2, off scope:SCOPE_DEV
.LBB69_75:
	s_wait_xcnt 0x0
	s_or_b32 exec_lo, exec_lo, s0
                                        ; implicit-def: $vgpr0
                                        ; implicit-def: $vgpr10_vgpr11
.LBB69_76:
	s_and_not1_saveexec_b32 s0, s20
	s_cbranch_execz .LBB69_83
; %bb.77:
	s_mov_b32 s0, exec_lo
	v_cmpx_eq_u32_e32 63, v0
	s_cbranch_execz .LBB69_83
; %bb.78:
	v_add_nc_u32_e32 v0, s7, v10
	s_mov_b32 s1, exec_lo
	s_brev_b32 s0, -2
.LBB69_79:                              ; =>This Inner Loop Header: Depth=1
	s_ctz_i32_b32 s2, s1
	s_delay_alu instid0(VALU_DEP_1) | instid1(SALU_CYCLE_1)
	v_readlane_b32 s3, v0, s2
	s_lshl_b32 s2, 1, s2
	s_delay_alu instid0(SALU_CYCLE_1)
	s_and_not1_b32 s1, s1, s2
	s_min_i32 s0, s0, s3
	s_cmp_lg_u32 s1, 0
	s_cbranch_scc1 .LBB69_79
; %bb.80:
	v_mbcnt_lo_u32_b32 v0, exec_lo, 0
	s_mov_b32 s1, exec_lo
	s_delay_alu instid0(VALU_DEP_1)
	v_cmpx_eq_u32_e32 0, v0
	s_xor_b32 s1, exec_lo, s1
	s_cbranch_execz .LBB69_82
; %bb.81:
	v_dual_mov_b32 v0, 0 :: v_dual_mov_b32 v1, s0
	global_atomic_min_i32 v0, v1, s[14:15] scope:SCOPE_DEV
.LBB69_82:
	s_wait_xcnt 0x0
	s_or_b32 exec_lo, exec_lo, s1
	v_lshl_add_u64 v[0:1], v[10:11], 2, s[10:11]
	v_mov_b32_e32 v2, 1
	global_wb scope:SCOPE_DEV
	s_wait_loadcnt 0x0
	s_wait_storecnt 0x0
	global_store_b32 v[0:1], v2, off scope:SCOPE_DEV
.LBB69_83:
	s_endpgm
	.section	.rodata,"a",@progbits
	.p2align	6, 0x0
	.amdhsa_kernel _ZN9rocsparseL23bsric0_binsearch_kernelILj64ELj64ELb0E21rocsparse_complex_numIdEEEv20rocsparse_direction_iiPKiS5_PT2_S5_PiS5_S8_21rocsparse_index_base_
		.amdhsa_group_segment_fixed_size 0
		.amdhsa_private_segment_fixed_size 0
		.amdhsa_kernarg_size 76
		.amdhsa_user_sgpr_count 2
		.amdhsa_user_sgpr_dispatch_ptr 0
		.amdhsa_user_sgpr_queue_ptr 0
		.amdhsa_user_sgpr_kernarg_segment_ptr 1
		.amdhsa_user_sgpr_dispatch_id 0
		.amdhsa_user_sgpr_kernarg_preload_length 0
		.amdhsa_user_sgpr_kernarg_preload_offset 0
		.amdhsa_user_sgpr_private_segment_size 0
		.amdhsa_wavefront_size32 1
		.amdhsa_uses_dynamic_stack 0
		.amdhsa_enable_private_segment 0
		.amdhsa_system_sgpr_workgroup_id_x 1
		.amdhsa_system_sgpr_workgroup_id_y 0
		.amdhsa_system_sgpr_workgroup_id_z 0
		.amdhsa_system_sgpr_workgroup_info 0
		.amdhsa_system_vgpr_workitem_id 0
		.amdhsa_next_free_vgpr 62
		.amdhsa_next_free_sgpr 37
		.amdhsa_named_barrier_count 0
		.amdhsa_reserve_vcc 1
		.amdhsa_float_round_mode_32 0
		.amdhsa_float_round_mode_16_64 0
		.amdhsa_float_denorm_mode_32 3
		.amdhsa_float_denorm_mode_16_64 3
		.amdhsa_fp16_overflow 0
		.amdhsa_memory_ordered 1
		.amdhsa_forward_progress 1
		.amdhsa_inst_pref_size 30
		.amdhsa_round_robin_scheduling 0
		.amdhsa_exception_fp_ieee_invalid_op 0
		.amdhsa_exception_fp_denorm_src 0
		.amdhsa_exception_fp_ieee_div_zero 0
		.amdhsa_exception_fp_ieee_overflow 0
		.amdhsa_exception_fp_ieee_underflow 0
		.amdhsa_exception_fp_ieee_inexact 0
		.amdhsa_exception_int_div_zero 0
	.end_amdhsa_kernel
	.section	.text._ZN9rocsparseL23bsric0_binsearch_kernelILj64ELj64ELb0E21rocsparse_complex_numIdEEEv20rocsparse_direction_iiPKiS5_PT2_S5_PiS5_S8_21rocsparse_index_base_,"axG",@progbits,_ZN9rocsparseL23bsric0_binsearch_kernelILj64ELj64ELb0E21rocsparse_complex_numIdEEEv20rocsparse_direction_iiPKiS5_PT2_S5_PiS5_S8_21rocsparse_index_base_,comdat
.Lfunc_end69:
	.size	_ZN9rocsparseL23bsric0_binsearch_kernelILj64ELj64ELb0E21rocsparse_complex_numIdEEEv20rocsparse_direction_iiPKiS5_PT2_S5_PiS5_S8_21rocsparse_index_base_, .Lfunc_end69-_ZN9rocsparseL23bsric0_binsearch_kernelILj64ELj64ELb0E21rocsparse_complex_numIdEEEv20rocsparse_direction_iiPKiS5_PT2_S5_PiS5_S8_21rocsparse_index_base_
                                        ; -- End function
	.set _ZN9rocsparseL23bsric0_binsearch_kernelILj64ELj64ELb0E21rocsparse_complex_numIdEEEv20rocsparse_direction_iiPKiS5_PT2_S5_PiS5_S8_21rocsparse_index_base_.num_vgpr, 62
	.set _ZN9rocsparseL23bsric0_binsearch_kernelILj64ELj64ELb0E21rocsparse_complex_numIdEEEv20rocsparse_direction_iiPKiS5_PT2_S5_PiS5_S8_21rocsparse_index_base_.num_agpr, 0
	.set _ZN9rocsparseL23bsric0_binsearch_kernelILj64ELj64ELb0E21rocsparse_complex_numIdEEEv20rocsparse_direction_iiPKiS5_PT2_S5_PiS5_S8_21rocsparse_index_base_.numbered_sgpr, 37
	.set _ZN9rocsparseL23bsric0_binsearch_kernelILj64ELj64ELb0E21rocsparse_complex_numIdEEEv20rocsparse_direction_iiPKiS5_PT2_S5_PiS5_S8_21rocsparse_index_base_.num_named_barrier, 0
	.set _ZN9rocsparseL23bsric0_binsearch_kernelILj64ELj64ELb0E21rocsparse_complex_numIdEEEv20rocsparse_direction_iiPKiS5_PT2_S5_PiS5_S8_21rocsparse_index_base_.private_seg_size, 0
	.set _ZN9rocsparseL23bsric0_binsearch_kernelILj64ELj64ELb0E21rocsparse_complex_numIdEEEv20rocsparse_direction_iiPKiS5_PT2_S5_PiS5_S8_21rocsparse_index_base_.uses_vcc, 1
	.set _ZN9rocsparseL23bsric0_binsearch_kernelILj64ELj64ELb0E21rocsparse_complex_numIdEEEv20rocsparse_direction_iiPKiS5_PT2_S5_PiS5_S8_21rocsparse_index_base_.uses_flat_scratch, 0
	.set _ZN9rocsparseL23bsric0_binsearch_kernelILj64ELj64ELb0E21rocsparse_complex_numIdEEEv20rocsparse_direction_iiPKiS5_PT2_S5_PiS5_S8_21rocsparse_index_base_.has_dyn_sized_stack, 0
	.set _ZN9rocsparseL23bsric0_binsearch_kernelILj64ELj64ELb0E21rocsparse_complex_numIdEEEv20rocsparse_direction_iiPKiS5_PT2_S5_PiS5_S8_21rocsparse_index_base_.has_recursion, 0
	.set _ZN9rocsparseL23bsric0_binsearch_kernelILj64ELj64ELb0E21rocsparse_complex_numIdEEEv20rocsparse_direction_iiPKiS5_PT2_S5_PiS5_S8_21rocsparse_index_base_.has_indirect_call, 0
	.section	.AMDGPU.csdata,"",@progbits
; Kernel info:
; codeLenInByte = 3800
; TotalNumSgprs: 39
; NumVgprs: 62
; ScratchSize: 0
; MemoryBound: 0
; FloatMode: 240
; IeeeMode: 1
; LDSByteSize: 0 bytes/workgroup (compile time only)
; SGPRBlocks: 0
; VGPRBlocks: 3
; NumSGPRsForWavesPerEU: 39
; NumVGPRsForWavesPerEU: 62
; NamedBarCnt: 0
; Occupancy: 16
; WaveLimiterHint : 1
; COMPUTE_PGM_RSRC2:SCRATCH_EN: 0
; COMPUTE_PGM_RSRC2:USER_SGPR: 2
; COMPUTE_PGM_RSRC2:TRAP_HANDLER: 0
; COMPUTE_PGM_RSRC2:TGID_X_EN: 1
; COMPUTE_PGM_RSRC2:TGID_Y_EN: 0
; COMPUTE_PGM_RSRC2:TGID_Z_EN: 0
; COMPUTE_PGM_RSRC2:TIDIG_COMP_CNT: 0
	.section	.text._ZN9rocsparseL17bsric0_2_8_kernelILi64ELi64ELi8E21rocsparse_complex_numIdEEEv20rocsparse_direction_iiPKiS5_PT2_S5_PiS5_S8_21rocsparse_index_base_,"axG",@progbits,_ZN9rocsparseL17bsric0_2_8_kernelILi64ELi64ELi8E21rocsparse_complex_numIdEEEv20rocsparse_direction_iiPKiS5_PT2_S5_PiS5_S8_21rocsparse_index_base_,comdat
	.globl	_ZN9rocsparseL17bsric0_2_8_kernelILi64ELi64ELi8E21rocsparse_complex_numIdEEEv20rocsparse_direction_iiPKiS5_PT2_S5_PiS5_S8_21rocsparse_index_base_ ; -- Begin function _ZN9rocsparseL17bsric0_2_8_kernelILi64ELi64ELi8E21rocsparse_complex_numIdEEEv20rocsparse_direction_iiPKiS5_PT2_S5_PiS5_S8_21rocsparse_index_base_
	.p2align	8
	.type	_ZN9rocsparseL17bsric0_2_8_kernelILi64ELi64ELi8E21rocsparse_complex_numIdEEEv20rocsparse_direction_iiPKiS5_PT2_S5_PiS5_S8_21rocsparse_index_base_,@function
_ZN9rocsparseL17bsric0_2_8_kernelILi64ELi64ELi8E21rocsparse_complex_numIdEEEv20rocsparse_direction_iiPKiS5_PT2_S5_PiS5_S8_21rocsparse_index_base_: ; @_ZN9rocsparseL17bsric0_2_8_kernelILi64ELi64ELi8E21rocsparse_complex_numIdEEEv20rocsparse_direction_iiPKiS5_PT2_S5_PiS5_S8_21rocsparse_index_base_
; %bb.0:
	s_load_b256 s[4:11], s[0:1], 0x28
	s_bfe_u32 s2, ttmp6, 0x4000c
	s_and_b32 s3, ttmp6, 15
	s_add_co_i32 s2, s2, 1
	s_getreg_b32 s12, hwreg(HW_REG_IB_STS2, 6, 4)
	s_mul_i32 s2, ttmp9, s2
	v_and_b32_e32 v16, 0x3ff, v0
	s_add_co_i32 s3, s3, s2
	s_cmp_eq_u32 s12, 0
	v_bfe_u32 v17, v0, 10, 10
	s_cselect_b32 s2, ttmp9, s3
	s_wait_kmcnt 0x0
	s_load_b32 s16, s[8:9], s2 offset:0x0 scale_offset
	s_wait_kmcnt 0x0
	s_ashr_i32 s17, s16, 31
	s_delay_alu instid0(SALU_CYCLE_1) | instskip(NEXT) | instid1(SALU_CYCLE_1)
	s_lshl_b64 s[8:9], s[16:17], 2
	s_add_nc_u64 s[2:3], s[4:5], s[8:9]
	s_load_b32 s29, s[2:3], 0x0
	s_load_b32 s17, s[0:1], 0x48
	s_wait_kmcnt 0x0
	s_cmp_lg_u32 s29, -1
	s_cbranch_scc0 .LBB70_91
; %bb.1:
	s_clause 0x1
	s_load_b128 s[12:15], s[0:1], 0x10
	s_load_b64 s[18:19], s[0:1], 0x20
	s_wait_kmcnt 0x0
	s_add_nc_u64 s[2:3], s[12:13], s[8:9]
	s_load_b32 s3, s[2:3], 0x0
	s_wait_xcnt 0x0
	s_mov_b32 s2, exec_lo
	s_wait_kmcnt 0x0
	s_sub_co_i32 s30, s3, s17
	v_lshlrev_b32_e32 v1, 3, v17
	s_delay_alu instid0(VALU_DEP_1) | instskip(NEXT) | instid1(VALU_DEP_1)
	v_add_nc_u32_e32 v2, v1, v16
	v_add_nc_u32_e32 v0, s30, v2
	s_delay_alu instid0(VALU_DEP_1)
	v_cmpx_ge_i32_e64 s29, v0
	s_cbranch_execz .LBB70_13
; %bb.2:
	v_dual_add_nc_u32 v2, s3, v2 :: v_dual_add_nc_u32 v1, s3, v1
	s_add_co_i32 s20, s29, 1
	v_not_b32_e32 v3, v16
	s_mov_b32 s21, -1
	s_delay_alu instid0(VALU_DEP_2) | instskip(NEXT) | instid1(VALU_DEP_1)
	v_subrev_nc_u32_e32 v2, s17, v2
	v_add_max_i32_e64 v2, v2, 64, s20
	s_mov_b32 s20, exec_lo
	s_delay_alu instid0(VALU_DEP_1) | instskip(NEXT) | instid1(VALU_DEP_1)
	v_add3_u32 v2, s17, v2, v3
	v_sub_nc_u32_e32 v1, v2, v1
	s_delay_alu instid0(VALU_DEP_1)
	v_cmpx_lt_u32_e32 63, v1
	s_cbranch_execz .LBB70_10
; %bb.3:
	v_dual_lshrrev_b32 v4, 6, v1 :: v_dual_add_nc_u32 v1, 64, v0
	s_delay_alu instid0(VALU_DEP_1) | instskip(NEXT) | instid1(VALU_DEP_1)
	v_add_nc_u32_e32 v2, -1, v4
	v_lshrrev_b32_e32 v3, 1, v2
	s_delay_alu instid0(VALU_DEP_1)
	v_add_nc_u32_e32 v5, 1, v3
	v_cmp_lt_u32_e32 vcc_lo, 13, v2
	v_mov_b64_e32 v[2:3], v[0:1]
	s_and_saveexec_b32 s21, vcc_lo
	s_cbranch_execz .LBB70_7
; %bb.4:
	v_mov_b64_e32 v[2:3], v[0:1]
	v_and_b32_e32 v6, -8, v5
	s_mov_b32 s22, 0
.LBB70_5:                               ; =>This Inner Loop Header: Depth=1
	s_clause 0x1
	global_load_b32 v1, v2, s[14:15] scale_offset
	global_load_b32 v7, v3, s[14:15] scale_offset
	v_add_nc_u32_e32 v14, 0x200, v3
	v_add_nc_u32_e32 v12, 0x180, v3
	;; [unrolled: 1-line block ×14, first 2 shown]
	s_clause 0xd
	global_load_b32 v24, v14, s[14:15] scale_offset
	global_load_b32 v25, v12, s[14:15] scale_offset
	;; [unrolled: 1-line block ×14, first 2 shown]
	v_subrev_nc_u32_e32 v38, s30, v2
	v_subrev_nc_u32_e32 v39, s30, v3
	v_add_nc_u32_e32 v6, -8, v6
	s_wait_xcnt 0x9
	v_subrev_nc_u32_e32 v9, s30, v9
	v_subrev_nc_u32_e32 v8, s30, v8
	v_dual_lshlrev_b32 v38, 2, v38 :: v_dual_lshlrev_b32 v39, 2, v39
	s_wait_xcnt 0x8
	v_subrev_nc_u32_e32 v11, s30, v11
	v_subrev_nc_u32_e32 v10, s30, v10
	v_cmp_eq_u32_e32 vcc_lo, 0, v6
	s_wait_xcnt 0x7
	v_subrev_nc_u32_e32 v13, s30, v13
	v_add_nc_u32_e32 v3, 0x400, v3
	v_subrev_nc_u32_e32 v12, s30, v12
	v_subrev_nc_u32_e32 v14, s30, v14
	s_wait_xcnt 0x6
	v_subrev_nc_u32_e32 v15, s30, v15
	s_wait_xcnt 0x3
	v_subrev_nc_u32_e32 v18, s30, v18
	s_wait_xcnt 0x2
	v_subrev_nc_u32_e32 v19, s30, v19
	v_subrev_nc_u32_e32 v20, s30, v20
	s_wait_xcnt 0x1
	v_subrev_nc_u32_e32 v21, s30, v21
	v_subrev_nc_u32_e32 v22, s30, v22
	s_wait_xcnt 0x0
	v_subrev_nc_u32_e32 v23, s30, v23
	v_add_nc_u32_e32 v2, 0x400, v2
	v_dual_lshlrev_b32 v9, 2, v9 :: v_dual_lshlrev_b32 v8, 2, v8
	v_dual_lshlrev_b32 v11, 2, v11 :: v_dual_lshlrev_b32 v10, 2, v10
	v_lshlrev_b32_e32 v13, 2, v13
	s_or_b32 s22, vcc_lo, s22
	v_dual_lshlrev_b32 v12, 2, v12 :: v_dual_lshlrev_b32 v15, 2, v15
	v_dual_lshlrev_b32 v14, 2, v14 :: v_dual_lshlrev_b32 v19, 2, v19
	;; [unrolled: 1-line block ×4, first 2 shown]
	v_lshlrev_b32_e32 v22, 2, v22
	s_wait_loadcnt 0xf
	v_subrev_nc_u32_e32 v1, s17, v1
	s_wait_loadcnt 0xe
	v_subrev_nc_u32_e32 v7, s17, v7
	ds_store_b32 v38, v1 offset:5120
	ds_store_b32 v39, v7 offset:5120
	s_wait_loadcnt 0xa
	v_subrev_nc_u32_e32 v1, s17, v27
	s_wait_loadcnt 0x9
	v_subrev_nc_u32_e32 v7, s17, v28
	;; [unrolled: 2-line block ×3, first 2 shown]
	v_subrev_nc_u32_e32 v26, s17, v26
	s_wait_loadcnt 0x7
	v_subrev_nc_u32_e32 v28, s17, v30
	v_subrev_nc_u32_e32 v25, s17, v25
	;; [unrolled: 1-line block ×3, first 2 shown]
	s_wait_loadcnt 0x6
	v_subrev_nc_u32_e32 v29, s17, v31
	s_wait_loadcnt 0x3
	v_subrev_nc_u32_e32 v30, s17, v34
	;; [unrolled: 2-line block ×3, first 2 shown]
	v_subrev_nc_u32_e32 v33, s17, v33
	s_wait_loadcnt 0x1
	v_subrev_nc_u32_e32 v34, s17, v36
	v_subrev_nc_u32_e32 v32, s17, v32
	s_wait_loadcnt 0x0
	v_subrev_nc_u32_e32 v35, s17, v37
	ds_store_b32 v9, v7 offset:5120
	ds_store_b32 v8, v1 offset:5120
	;; [unrolled: 1-line block ×14, first 2 shown]
	s_and_not1_b32 exec_lo, exec_lo, s22
	s_cbranch_execnz .LBB70_5
; %bb.6:
	s_or_b32 exec_lo, exec_lo, s22
.LBB70_7:
	s_delay_alu instid0(SALU_CYCLE_1) | instskip(SKIP_3) | instid1(VALU_DEP_1)
	s_or_b32 exec_lo, exec_lo, s21
	v_and_b32_e32 v1, 7, v5
	s_mov_b32 s22, 0
	s_mov_b32 s21, exec_lo
	v_cmpx_ne_u32_e32 0, v1
	s_cbranch_execz .LBB70_9
.LBB70_8:                               ; =>This Inner Loop Header: Depth=1
	s_clause 0x1
	global_load_b32 v5, v2, s[14:15] scale_offset
	global_load_b32 v6, v3, s[14:15] scale_offset
	v_subrev_nc_u32_e32 v7, s30, v2
	v_add_nc_u32_e32 v1, -1, v1
	v_subrev_nc_u32_e32 v8, s30, v3
	s_wait_xcnt 0x0
	v_add_nc_u32_e32 v3, 0x80, v3
	v_add_nc_u32_e32 v2, 0x80, v2
	v_lshlrev_b32_e32 v7, 2, v7
	v_cmp_eq_u32_e32 vcc_lo, 0, v1
	v_lshlrev_b32_e32 v8, 2, v8
	s_or_b32 s22, vcc_lo, s22
	s_wait_loadcnt 0x1
	v_subrev_nc_u32_e32 v5, s17, v5
	s_wait_loadcnt 0x0
	v_subrev_nc_u32_e32 v6, s17, v6
	ds_store_b32 v7, v5 offset:5120
	ds_store_b32 v8, v6 offset:5120
	s_and_not1_b32 exec_lo, exec_lo, s22
	s_cbranch_execnz .LBB70_8
.LBB70_9:
	s_or_b32 exec_lo, exec_lo, s21
	v_add_nc_u32_e32 v1, 1, v4
	s_delay_alu instid0(VALU_DEP_1) | instskip(NEXT) | instid1(VALU_DEP_1)
	v_and_b32_e32 v2, 0x7fffffe, v1
	v_cmp_ne_u32_e32 vcc_lo, v1, v2
	v_lshl_add_u32 v0, v2, 6, v0
	s_or_not1_b32 s21, vcc_lo, exec_lo
.LBB70_10:
	s_or_b32 exec_lo, exec_lo, s20
	s_delay_alu instid0(SALU_CYCLE_1)
	s_and_b32 exec_lo, exec_lo, s21
	s_cbranch_execz .LBB70_13
; %bb.11:
	v_add_nc_u32_e32 v1, s17, v0
	s_delay_alu instid0(VALU_DEP_1) | instskip(SKIP_2) | instid1(VALU_DEP_2)
	v_subrev_nc_u32_e32 v2, s3, v1
	v_ashrrev_i32_e32 v1, 31, v0
	s_mov_b32 s3, 0
	v_lshl_add_u32 v4, v2, 2, 0x1400
	s_delay_alu instid0(VALU_DEP_2)
	v_lshl_add_u64 v[2:3], v[0:1], 2, s[14:15]
.LBB70_12:                              ; =>This Inner Loop Header: Depth=1
	global_load_b32 v1, v[2:3], off
	v_add_nc_u32_e32 v0, 64, v0
	s_wait_xcnt 0x0
	v_add_nc_u64_e32 v[2:3], 0x100, v[2:3]
	s_delay_alu instid0(VALU_DEP_2)
	v_cmp_lt_i32_e32 vcc_lo, s29, v0
	s_or_b32 s3, vcc_lo, s3
	s_wait_loadcnt 0x0
	v_subrev_nc_u32_e32 v1, s17, v1
	ds_store_b32 v4, v1
	v_add_nc_u32_e32 v4, 0x100, v4
	s_and_not1_b32 exec_lo, exec_lo, s3
	s_cbranch_execnz .LBB70_12
.LBB70_13:
	s_or_b32 exec_lo, exec_lo, s2
	s_clause 0x1
	s_load_b32 s31, s[0:1], 0x0
	s_load_b32 s28, s[0:1], 0x8
	s_wait_xcnt 0x0
	s_movk_i32 s0, 0x90
	v_mov_b32_e32 v0, 0
	v_mad_u32_u24 v19, v17, s0, 0xd80
	s_cmp_ge_i32 s30, s29
	s_delay_alu instid0(VALU_DEP_2) | instskip(NEXT) | instid1(VALU_DEP_2)
	v_dual_mov_b32 v1, v0 :: v_dual_mov_b32 v2, v0
	v_lshl_add_u32 v18, v16, 4, v19
	v_mov_b32_e32 v3, v0
	ds_store_b128 v18, v[0:3]
	s_wait_dscnt 0x0
	s_cbranch_scc1 .LBB70_66
; %bb.14:
	s_movk_i32 s3, 0x900
	s_movk_i32 s2, 0x480
	s_wait_kmcnt 0x0
	s_cmp_lg_u32 s31, 0
	v_mul_lo_u32 v23, s28, v16
	v_mul_lo_u32 v24, s28, v17
	v_cmp_gt_i32_e64 s0, s28, v16
	v_cmp_gt_i32_e64 s1, s28, v17
	v_mad_u32_u24 v1, 0x90, v17, s3
	v_dual_lshlrev_b32 v2, 4, v16 :: v_dual_bitop2_b32 v3, v16, v17 bitop3:0x54
	v_mad_u32_u24 v22, 0x90, v17, s2
	s_cselect_b32 s33, -1, 0
	s_cmp_eq_u32 s31, 0
	s_delay_alu instid0(VALU_DEP_2)
	v_add_nc_u32_e32 v20, v1, v2
	s_cselect_b32 vcc_lo, -1, 0
	s_and_b32 s34, s0, s1
	v_mad_u32_u24 v21, 0x90, v17, v2
	v_add_nc_u32_e32 v25, v22, v2
	v_cmp_ne_u32_e64 s2, 0, v3
	v_mad_u32_u24 v26, 0x90, v16, s3
	v_dual_cndmask_b32 v27, v17, v16 :: v_dual_cndmask_b32 v28, v16, v17
	s_cmp_gt_i32 s28, 0
	s_mul_i32 s36, s28, s28
	s_cselect_b32 s35, -1, 0
	s_mov_b32 s20, s30
	s_branch .LBB70_17
.LBB70_15:                              ;   in Loop: Header=BB70_17 Depth=1
	s_wait_xcnt 0x0
	s_or_b32 exec_lo, exec_lo, s3
	s_add_co_i32 s20, s20, 1
	global_wb scope:SCOPE_DEV
	s_wait_storecnt 0x0
	global_inv scope:SCOPE_DEV
	s_cmp_ge_i32 s20, s29
	s_cselect_b32 s25, -1, 0
.LBB70_16:                              ;   in Loop: Header=BB70_17 Depth=1
	s_delay_alu instid0(SALU_CYCLE_1)
	s_and_b32 vcc_lo, exec_lo, s25
	s_cbranch_vccnz .LBB70_66
.LBB70_17:                              ; =>This Loop Header: Depth=1
                                        ;     Child Loop BB70_22 Depth 2
                                        ;     Child Loop BB70_33 Depth 2
	;; [unrolled: 1-line block ×4, first 2 shown]
                                        ;       Child Loop BB70_63 Depth 3
	s_ashr_i32 s21, s20, 31
	s_delay_alu instid0(SALU_CYCLE_1) | instskip(NEXT) | instid1(SALU_CYCLE_1)
	s_lshl_b64 s[22:23], s[20:21], 2
	s_add_nc_u64 s[22:23], s[14:15], s[22:23]
	s_load_b32 s21, s[22:23], 0x0
	s_wait_kmcnt 0x0
	s_sub_co_i32 s24, s21, s17
	s_delay_alu instid0(SALU_CYCLE_1)
	s_ashr_i32 s25, s24, 31
	s_wait_xcnt 0x0
	s_lshl_b64 s[22:23], s[24:25], 2
	s_mov_b32 s25, -1
	s_add_nc_u64 s[26:27], s[4:5], s[22:23]
	s_load_b32 s3, s[26:27], 0x0
	s_wait_kmcnt 0x0
	s_cmp_eq_u32 s3, -1
	s_cbranch_scc1 .LBB70_16
; %bb.18:                               ;   in Loop: Header=BB70_17 Depth=1
	v_mad_u32 v4, s20, s28, v28
	v_mov_b64_e32 v[2:3], 0
	s_delay_alu instid0(VALU_DEP_2) | instskip(NEXT) | instid1(VALU_DEP_2)
	v_mad_u32 v29, v4, s28, v27
	v_mov_b64_e32 v[4:5], v[2:3]
	s_and_saveexec_b32 s25, s34
	s_cbranch_execz .LBB70_20
; %bb.19:                               ;   in Loop: Header=BB70_17 Depth=1
	global_load_b128 v[2:5], v29, s[18:19] scale_offset
.LBB70_20:                              ;   in Loop: Header=BB70_17 Depth=1
	s_wait_xcnt 0x0
	s_or_b32 exec_lo, exec_lo, s25
	s_add_nc_u64 s[26:27], s[12:13], s[22:23]
	ds_load_b32 v6, v0 offset:5120
	s_load_b32 s25, s[26:27], 0x0
	s_wait_loadcnt 0x0
	ds_store_b128 v20, v[2:5]
	s_wait_dscnt 0x1
	v_cmp_ge_i32_e32 vcc_lo, s24, v6
	s_wait_kmcnt 0x0
	s_wait_xcnt 0x0
	s_sub_co_i32 s26, s25, s17
	s_delay_alu instid0(SALU_CYCLE_1) | instskip(SKIP_1) | instid1(SALU_CYCLE_1)
	s_cmp_le_i32 s26, s3
	s_cselect_b32 s25, -1, 0
	s_and_b32 s25, s25, vcc_lo
	s_delay_alu instid0(SALU_CYCLE_1)
	s_and_not1_b32 vcc_lo, exec_lo, s25
	s_mov_b32 s25, 0
	s_cbranch_vccnz .LBB70_32
; %bb.21:                               ;   in Loop: Header=BB70_17 Depth=1
	s_mov_b32 s37, 0
	s_mov_b32 s38, 0
.LBB70_22:                              ;   Parent Loop BB70_17 Depth=1
                                        ; =>  This Inner Loop Header: Depth=2
	s_ashr_i32 s27, s26, 31
	s_lshl_b32 s25, s38, 2
	s_lshl_b64 s[40:41], s[26:27], 2
	v_mov_b32_e32 v2, s25
	s_add_nc_u64 s[40:41], s[14:15], s[40:41]
                                        ; implicit-def: $sgpr39
	s_load_b32 s25, s[40:41], 0x0
	s_wait_xcnt 0x0
	s_mov_b32 s41, -1
	ds_load_b32 v2, v2 offset:5120
                                        ; implicit-def: $sgpr40
	s_wait_kmcnt 0x0
	s_sub_co_i32 s42, s25, s17
                                        ; implicit-def: $sgpr25
	s_wait_dscnt 0x0
	v_readfirstlane_b32 s27, v2
	v_cmp_ge_i32_e32 vcc_lo, s42, v2
	s_cbranch_vccz .LBB70_28
; %bb.23:                               ;   in Loop: Header=BB70_22 Depth=2
	s_cmp_le_i32 s42, s27
                                        ; implicit-def: $sgpr25
                                        ; implicit-def: $sgpr40
                                        ; implicit-def: $sgpr39
	s_cbranch_scc0 .LBB70_25
; %bb.24:                               ;   in Loop: Header=BB70_22 Depth=2
	s_add_co_i32 s25, s38, s30
	s_lshl_b32 s39, s37, 2
	s_mul_i32 s25, s25, s36
	s_delay_alu instid0(SALU_CYCLE_1)
	v_dual_mov_b32 v2, s39 :: v_dual_mov_b32 v3, s25
	s_mul_i32 s39, s26, s36
	s_add_co_i32 s40, s26, 1
	v_mov_b32_e32 v4, s39
	s_add_co_i32 s39, s38, 1
	s_add_co_i32 s25, s37, 1
	s_mov_b32 s41, 0
	ds_store_2addr_stride64_b32 v2, v4, v3 offset0:18 offset1:19
.LBB70_25:                              ;   in Loop: Header=BB70_22 Depth=2
	s_and_not1_b32 vcc_lo, exec_lo, s41
	s_cbranch_vccnz .LBB70_27
; %bb.26:                               ;   in Loop: Header=BB70_22 Depth=2
	s_add_co_i32 s39, s38, 1
	s_mov_b32 s25, s37
	s_mov_b32 s40, s26
.LBB70_27:                              ;   in Loop: Header=BB70_22 Depth=2
	s_mov_b32 s41, 0
.LBB70_28:                              ;   in Loop: Header=BB70_22 Depth=2
	s_delay_alu instid0(SALU_CYCLE_1)
	s_and_not1_b32 vcc_lo, exec_lo, s41
	s_cbranch_vccnz .LBB70_30
; %bb.29:                               ;   in Loop: Header=BB70_22 Depth=2
	s_add_co_i32 s40, s26, 1
	s_mov_b32 s39, s38
	s_mov_b32 s25, s37
.LBB70_30:                              ;   in Loop: Header=BB70_22 Depth=2
	s_cmp_le_i32 s40, s3
	s_cselect_b32 s26, -1, 0
	s_cmp_le_i32 s27, s24
	s_cselect_b32 s27, -1, 0
	s_delay_alu instid0(SALU_CYCLE_1) | instskip(NEXT) | instid1(SALU_CYCLE_1)
	s_and_b32 s26, s26, s27
	s_and_b32 vcc_lo, exec_lo, s26
	s_cbranch_vccz .LBB70_32
; %bb.31:                               ;   in Loop: Header=BB70_22 Depth=2
	s_mov_b32 s37, s25
	s_mov_b32 s26, s40
	;; [unrolled: 1-line block ×3, first 2 shown]
	s_branch .LBB70_22
.LBB70_32:                              ;   in Loop: Header=BB70_17 Depth=1
	s_add_nc_u64 s[22:23], s[6:7], s[22:23]
	s_wait_dscnt 0x0
.LBB70_33:                              ;   Parent Loop BB70_17 Depth=1
                                        ; =>  This Inner Loop Header: Depth=2
	global_load_b32 v2, v0, s[22:23] scope:SCOPE_DEV
	s_wait_loadcnt 0x0
	v_cmp_eq_u32_e32 vcc_lo, 0, v2
	s_cbranch_vccnz .LBB70_33
; %bb.34:                               ;   in Loop: Header=BB70_17 Depth=1
	v_mov_b64_e32 v[4:5], 0
	v_mov_b64_e32 v[6:7], 0
	;; [unrolled: 1-line block ×3, first 2 shown]
	global_inv scope:SCOPE_DEV
	s_and_saveexec_b32 s22, s34
	s_cbranch_execz .LBB70_36
; %bb.35:                               ;   in Loop: Header=BB70_17 Depth=1
	v_mad_u32 v2, s3, s28, v28
	s_delay_alu instid0(VALU_DEP_1)
	v_mad_u32 v2, v2, s28, v27
	global_load_b128 v[6:9], v2, s[18:19] scale_offset
.LBB70_36:                              ;   in Loop: Header=BB70_17 Depth=1
	s_wait_xcnt 0x0
	s_or_b32 exec_lo, exec_lo, s22
	v_mov_b64_e32 v[2:3], 0
	s_cmp_lt_i32 s25, 2
	s_wait_loadcnt 0x0
	ds_store_b128 v21, v[6:9]
	s_wait_dscnt 0x0
	s_cbranch_scc1 .LBB70_55
; %bb.37:                               ;   in Loop: Header=BB70_17 Depth=1
	v_mov_b64_e32 v[12:13], 0
	v_mov_b64_e32 v[14:15], 0
	s_add_co_i32 s3, s25, -2
	s_mov_b32 s22, 0
	s_and_not1_b32 vcc_lo, exec_lo, s35
	s_cbranch_vccz .LBB70_40
	s_branch .LBB70_39
.LBB70_38:                              ;   in Loop: Header=BB70_17 Depth=1
	s_delay_alu instid0(VALU_DEP_2) | instskip(NEXT) | instid1(VALU_DEP_2)
	v_mov_b64_e32 v[12:13], v[4:5]
	v_mov_b64_e32 v[14:15], v[2:3]
	s_mov_b32 s22, s23
	s_and_not1_b32 vcc_lo, exec_lo, s35
	s_cbranch_vccz .LBB70_40
.LBB70_39:                              ;   in Loop: Header=BB70_17 Depth=1
	s_delay_alu instid0(VALU_DEP_2) | instskip(NEXT) | instid1(VALU_DEP_2)
	v_mov_b64_e32 v[4:5], v[12:13]
	v_mov_b64_e32 v[2:3], v[14:15]
	s_branch .LBB70_54
.LBB70_40:                              ;   in Loop: Header=BB70_17 Depth=1
	s_lshl_b32 s23, s22, 2
	s_delay_alu instid0(SALU_CYCLE_1)
	v_mov_b32_e32 v2, s23
	s_mov_b32 s23, 0
	ds_load_2addr_stride64_b32 v[2:3], v2 offset0:18 offset1:19
	s_wait_dscnt 0x0
	v_dual_add_nc_u32 v30, v2, v23 :: v_dual_add_nc_u32 v33, v16, v2
	v_dual_add_nc_u32 v31, v3, v24 :: v_dual_add_nc_u32 v32, v17, v3
	s_and_b32 vcc_lo, exec_lo, s33
	s_mov_b32 s24, -1
                                        ; implicit-def: $vgpr4_vgpr5
	s_cbranch_vccz .LBB70_47
	s_branch .LBB70_42
.LBB70_41:                              ;   in Loop: Header=BB70_47 Depth=2
	s_delay_alu instid0(VALU_DEP_2) | instskip(NEXT) | instid1(VALU_DEP_3)
	v_mov_b64_e32 v[12:13], v[4:5]
	v_mov_b64_e32 v[14:15], v[2:3]
	s_and_b32 vcc_lo, exec_lo, s33
	s_mov_b32 s24, -1
                                        ; implicit-def: $vgpr4_vgpr5
	s_cbranch_vccz .LBB70_47
.LBB70_42:                              ;   in Loop: Header=BB70_17 Depth=1
	v_mov_b64_e32 v[4:5], 0
	v_mov_b64_e32 v[8:9], 0
	;; [unrolled: 1-line block ×3, first 2 shown]
	s_and_saveexec_b32 s24, s0
	s_cbranch_execz .LBB70_44
; %bb.43:                               ;   in Loop: Header=BB70_17 Depth=1
	global_load_b128 v[8:11], v33, s[18:19] scale_offset
.LBB70_44:                              ;   in Loop: Header=BB70_17 Depth=1
	s_wait_xcnt 0x0
	s_or_b32 exec_lo, exec_lo, s24
	v_mov_b64_e32 v[6:7], 0
	s_and_saveexec_b32 s24, s1
	s_cbranch_execz .LBB70_46
; %bb.45:                               ;   in Loop: Header=BB70_17 Depth=1
	global_load_b128 v[4:7], v32, s[18:19] scale_offset
.LBB70_46:                              ;   in Loop: Header=BB70_17 Depth=1
	s_wait_xcnt 0x0
	s_or_b32 exec_lo, exec_lo, s24
	s_wait_loadcnt 0x0
	v_fma_f64 v[2:3], v[8:9], v[4:5], v[14:15]
	v_fma_f64 v[4:5], v[10:11], v[4:5], v[12:13]
	s_mov_b32 s24, 0
	s_delay_alu instid0(VALU_DEP_2) | instskip(NEXT) | instid1(VALU_DEP_2)
	v_fmac_f64_e32 v[2:3], v[10:11], v[6:7]
	v_fma_f64 v[4:5], v[8:9], -v[6:7], v[4:5]
.LBB70_47:                              ;   Parent Loop BB70_17 Depth=1
                                        ; =>  This Inner Loop Header: Depth=2
	s_and_b32 vcc_lo, exec_lo, s24
	s_cbranch_vccz .LBB70_53
; %bb.48:                               ;   in Loop: Header=BB70_47 Depth=2
	v_mov_b64_e32 v[2:3], 0
	v_mov_b64_e32 v[6:7], 0
	;; [unrolled: 1-line block ×3, first 2 shown]
	s_and_saveexec_b32 s24, s0
	s_cbranch_execz .LBB70_50
; %bb.49:                               ;   in Loop: Header=BB70_47 Depth=2
	v_add_nc_u32_e32 v4, s23, v30
	global_load_b128 v[6:9], v4, s[18:19] scale_offset
.LBB70_50:                              ;   in Loop: Header=BB70_47 Depth=2
	s_wait_xcnt 0x0
	s_or_b32 exec_lo, exec_lo, s24
	v_mov_b64_e32 v[4:5], 0
	s_and_saveexec_b32 s24, s1
	s_cbranch_execz .LBB70_52
; %bb.51:                               ;   in Loop: Header=BB70_47 Depth=2
	v_add_nc_u32_e32 v2, s23, v31
	global_load_b128 v[2:5], v2, s[18:19] scale_offset
.LBB70_52:                              ;   in Loop: Header=BB70_47 Depth=2
	s_wait_xcnt 0x0
	s_or_b32 exec_lo, exec_lo, s24
	s_wait_loadcnt 0x0
	v_fmac_f64_e32 v[14:15], v[6:7], v[2:3]
	v_fmac_f64_e32 v[12:13], v[8:9], v[2:3]
	s_delay_alu instid0(VALU_DEP_2) | instskip(NEXT) | instid1(VALU_DEP_2)
	v_fmac_f64_e32 v[14:15], v[8:9], v[4:5]
	v_fma_f64 v[4:5], v[6:7], -v[4:5], v[12:13]
	s_delay_alu instid0(VALU_DEP_2)
	v_mov_b64_e32 v[2:3], v[14:15]
.LBB70_53:                              ;   in Loop: Header=BB70_47 Depth=2
	v_dual_add_nc_u32 v32, s28, v32 :: v_dual_add_nc_u32 v33, s28, v33
	s_add_co_i32 s23, s23, 1
	s_delay_alu instid0(SALU_CYCLE_1)
	s_cmp_eq_u32 s28, s23
	s_cbranch_scc0 .LBB70_41
.LBB70_54:                              ;   in Loop: Header=BB70_17 Depth=1
	s_add_co_i32 s23, s22, 1
	s_cmp_eq_u32 s22, s3
	s_cbranch_scc0 .LBB70_38
.LBB70_55:                              ;   in Loop: Header=BB70_17 Depth=1
	s_and_not1_b32 vcc_lo, exec_lo, s35
	ds_store_b128 v25, v[2:5]
	s_wait_dscnt 0x0
	s_cbranch_vccnz .LBB70_64
; %bb.56:                               ;   in Loop: Header=BB70_17 Depth=1
	s_mov_b32 s22, 0
	s_mov_b32 s23, 0
	s_branch .LBB70_58
.LBB70_57:                              ;   in Loop: Header=BB70_58 Depth=2
	v_mul_f64_e32 v[30:31], v[12:13], v[12:13]
	s_wait_dscnt 0x0
	s_delay_alu instid0(VALU_DEP_2) | instskip(NEXT) | instid1(VALU_DEP_4)
	v_add_f64_e64 v[4:5], v[4:5], -v[8:9]
	v_add_f64_e64 v[2:3], v[2:3], -v[6:7]
	s_addk_co_i32 s22, 0x90
	s_delay_alu instid0(VALU_DEP_3) | instskip(NEXT) | instid1(VALU_DEP_3)
	v_fmac_f64_e32 v[30:31], v[10:11], v[10:11]
	v_mul_f64_e32 v[6:7], v[12:13], v[4:5]
	s_delay_alu instid0(VALU_DEP_3) | instskip(NEXT) | instid1(VALU_DEP_3)
	v_mul_f64_e64 v[12:13], v[12:13], -v[2:3]
	v_div_scale_f64 v[32:33], null, v[30:31], v[30:31], 1.0
	v_div_scale_f64 v[38:39], vcc_lo, 1.0, v[30:31], 1.0
	s_delay_alu instid0(VALU_DEP_4) | instskip(NEXT) | instid1(VALU_DEP_4)
	v_fmac_f64_e32 v[6:7], v[2:3], v[10:11]
	v_fmac_f64_e32 v[12:13], v[4:5], v[10:11]
	s_delay_alu instid0(VALU_DEP_4) | instskip(SKIP_1) | instid1(TRANS32_DEP_1)
	v_rcp_f64_e32 v[34:35], v[32:33]
	v_nop
	v_fma_f64 v[36:37], -v[32:33], v[34:35], 1.0
	s_delay_alu instid0(VALU_DEP_1) | instskip(NEXT) | instid1(VALU_DEP_1)
	v_fmac_f64_e32 v[34:35], v[34:35], v[36:37]
	v_fma_f64 v[36:37], -v[32:33], v[34:35], 1.0
	s_delay_alu instid0(VALU_DEP_1) | instskip(NEXT) | instid1(VALU_DEP_1)
	v_fmac_f64_e32 v[34:35], v[34:35], v[36:37]
	v_mul_f64_e32 v[36:37], v[38:39], v[34:35]
	s_delay_alu instid0(VALU_DEP_1) | instskip(NEXT) | instid1(VALU_DEP_1)
	v_fma_f64 v[8:9], -v[32:33], v[36:37], v[38:39]
	v_div_fmas_f64 v[8:9], v[8:9], v[34:35], v[36:37]
	s_delay_alu instid0(VALU_DEP_1) | instskip(NEXT) | instid1(VALU_DEP_1)
	v_div_fixup_f64 v[8:9], v[8:9], v[30:31], 1.0
	v_mul_f64_e32 v[2:3], v[8:9], v[6:7]
	v_mul_f64_e32 v[4:5], v[8:9], v[12:13]
	v_lshl_add_u32 v6, s23, 4, v26
	s_add_co_i32 s23, s23, 1
	s_delay_alu instid0(SALU_CYCLE_1)
	s_cmp_eq_u32 s23, s28
	ds_store_b128 v14, v[2:5]
	s_wait_storecnt_dscnt 0x0
	ds_load_b128 v[6:9], v6
	ds_load_b128 v[10:13], v18
	s_wait_dscnt 0x0
	v_fmac_f64_e32 v[10:11], v[2:3], v[6:7]
	v_fmac_f64_e32 v[12:13], v[4:5], v[6:7]
	s_delay_alu instid0(VALU_DEP_2) | instskip(NEXT) | instid1(VALU_DEP_2)
	v_fmac_f64_e32 v[10:11], v[4:5], v[8:9]
	v_fma_f64 v[12:13], v[2:3], -v[8:9], v[12:13]
	ds_store_b128 v18, v[10:13]
	s_wait_dscnt 0x0
	s_cbranch_scc1 .LBB70_64
.LBB70_58:                              ;   Parent Loop BB70_17 Depth=1
                                        ; =>  This Loop Header: Depth=2
                                        ;       Child Loop BB70_63 Depth 3
	s_lshl_b32 s24, s23, 4
	s_mul_i32 s3, s23, 0x90
	v_add_nc_u32_e32 v14, s24, v1
	s_add_co_i32 s3, s3, s24
	s_delay_alu instid0(SALU_CYCLE_1)
	v_mov_b32_e32 v2, s3
	ds_load_b128 v[6:9], v2
	ds_load_b128 v[2:5], v14
	s_wait_dscnt 0x1
	v_cmp_neq_f64_e32 vcc_lo, 0, v[6:7]
	v_cmp_neq_f64_e64 s3, 0, v[8:9]
	s_or_b32 vcc_lo, vcc_lo, s3
	v_dual_cndmask_b32 v13, 0, v9 :: v_dual_cndmask_b32 v12, 0, v8
	v_cndmask_b32_e32 v11, 0x3ff00000, v7, vcc_lo
	v_cndmask_b32_e32 v10, 0, v6, vcc_lo
	s_nor_b32 s24, vcc_lo, s2
	s_delay_alu instid0(SALU_CYCLE_1)
	s_and_saveexec_b32 s3, s24
	s_cbranch_execz .LBB70_62
; %bb.59:                               ;   in Loop: Header=BB70_58 Depth=2
	v_mbcnt_lo_u32_b32 v6, exec_lo, 0
	s_mov_b32 s24, exec_lo
	s_delay_alu instid0(VALU_DEP_1)
	v_cmpx_eq_u32_e32 0, v6
	s_cbranch_execz .LBB70_61
; %bb.60:                               ;   in Loop: Header=BB70_58 Depth=2
	v_mov_b32_e32 v6, s21
	global_atomic_min_i32 v0, v6, s[10:11] scope:SCOPE_DEV
.LBB70_61:                              ;   in Loop: Header=BB70_58 Depth=2
	s_wait_xcnt 0x0
	s_or_b32 exec_lo, exec_lo, s24
	v_mov_b64_e32 v[10:11], 1.0
	v_mov_b64_e32 v[12:13], 0
.LBB70_62:                              ;   in Loop: Header=BB70_58 Depth=2
	s_or_b32 exec_lo, exec_lo, s3
	v_lshl_add_u32 v6, s23, 4, v22
	v_mov_b32_e32 v15, v1
	s_cmp_eq_u32 s23, 0
	s_mov_b32 s3, s22
	s_mov_b32 s24, s23
	ds_load_b128 v[6:9], v6
	s_cbranch_scc1 .LBB70_57
.LBB70_63:                              ;   Parent Loop BB70_17 Depth=1
                                        ;     Parent Loop BB70_58 Depth=2
                                        ; =>    This Inner Loop Header: Depth=3
	v_mov_b32_e32 v34, s3
	s_add_co_i32 s24, s24, -1
	s_add_co_i32 s3, s3, 16
	s_cmp_eq_u32 s24, 0
	ds_load_b128 v[30:33], v15
	ds_load_b128 v[34:37], v34
	v_add_nc_u32_e32 v15, 16, v15
	s_wait_dscnt 0x0
	v_fmac_f64_e32 v[6:7], v[34:35], v[30:31]
	v_fmac_f64_e32 v[8:9], v[36:37], v[30:31]
	s_delay_alu instid0(VALU_DEP_2) | instskip(NEXT) | instid1(VALU_DEP_2)
	v_fmac_f64_e32 v[6:7], v[36:37], v[32:33]
	v_fma_f64 v[8:9], v[34:35], -v[32:33], v[8:9]
	s_cbranch_scc0 .LBB70_63
	s_branch .LBB70_57
.LBB70_64:                              ;   in Loop: Header=BB70_17 Depth=1
	s_and_saveexec_b32 s3, s34
	s_cbranch_execz .LBB70_15
; %bb.65:                               ;   in Loop: Header=BB70_17 Depth=1
	ds_load_2addr_b64 v[2:5], v20 offset1:1
	s_wait_dscnt 0x0
	global_store_b128 v29, v[2:5], s[18:19] scale_offset
	s_branch .LBB70_15
.LBB70_66:
	s_wait_kmcnt 0x0
	s_cmp_eq_u32 s31, 0
	v_max_i32_e32 v4, v16, v17
	s_cselect_b32 vcc_lo, -1, 0
	v_mov_b64_e32 v[2:3], 0
	v_dual_cndmask_b32 v10, v17, v16, vcc_lo :: v_dual_cndmask_b32 v0, v16, v17, vcc_lo
	s_delay_alu instid0(VALU_DEP_3) | instskip(NEXT) | instid1(VALU_DEP_2)
	v_cmp_gt_i32_e64 s0, s28, v4
	v_mad_u32 v11, s29, s28, v0
	v_mov_b64_e32 v[0:1], 0
	s_and_saveexec_b32 s1, s0
	s_cbranch_execz .LBB70_68
; %bb.67:
	s_delay_alu instid0(VALU_DEP_2)
	v_mad_u32 v0, v11, s28, v10
	global_load_b128 v[0:3], v0, s[18:19] scale_offset
.LBB70_68:
	s_wait_xcnt 0x0
	s_or_b32 exec_lo, exec_lo, s1
	s_movk_i32 s1, 0x90
	s_movk_i32 s3, 0x900
	v_mad_u32_u24 v13, v17, s1, 0x900
	s_cmp_lt_i32 s28, 1
	s_delay_alu instid0(VALU_DEP_1)
	v_lshl_add_u32 v12, v16, 4, v13
	s_wait_loadcnt 0x0
	ds_store_b128 v12, v[0:3]
	s_wait_dscnt 0x0
	s_cbranch_scc1 .LBB70_85
; %bb.69:
	v_dual_lshlrev_b32 v1, 4, v17 :: v_dual_bitop2_b32 v0, v16, v17 bitop3:0x54
	v_mad_u32_u24 v14, v16, s1, 0x900
	v_mov_b32_e32 v2, 0
	s_mov_b32 s4, 0
	s_delay_alu instid0(VALU_DEP_3)
	v_cmp_ne_u32_e64 s1, 0, v0
	v_dual_add_nc_u32 v15, v13, v1 :: v_dual_add_nc_u32 v19, v19, v1
	s_add_co_i32 s5, s16, s17
	s_branch .LBB70_71
.LBB70_70:                              ;   in Loop: Header=BB70_71 Depth=1
	s_or_b32 exec_lo, exec_lo, s2
	v_dual_add_nc_u32 v13, 16, v13 :: v_dual_add_nc_u32 v14, 16, v14
	s_add_co_i32 s4, s4, 1
	s_addk_co_i32 s3, 0xa0
	s_cmp_eq_u32 s28, s4
	s_wait_storecnt_dscnt 0x0
	s_cbranch_scc1 .LBB70_85
.LBB70_71:                              ; =>This Inner Loop Header: Depth=1
	s_mov_b32 s2, exec_lo
	v_cmpx_eq_u32_e64 s4, v17
	s_cbranch_execz .LBB70_79
; %bb.72:                               ;   in Loop: Header=BB70_71 Depth=1
	ds_load_b128 v[4:7], v19
	ds_load_b128 v[20:23], v15
	s_mov_b32 s12, exec_lo
	s_wait_dscnt 0x0
	v_add_f64_e64 v[0:1], v[20:21], -v[4:5]
	v_add_f64_e64 v[8:9], v[22:23], -v[6:7]
                                        ; implicit-def: $vgpr6_vgpr7
	s_delay_alu instid0(VALU_DEP_2) | instskip(SKIP_1) | instid1(VALU_DEP_3)
	v_cmp_gt_f64_e32 vcc_lo, 0, v[0:1]
	v_xor_b32_e32 v3, 0x80000000, v1
	v_xor_b32_e32 v4, 0x80000000, v9
	s_delay_alu instid0(VALU_DEP_2) | instskip(SKIP_1) | instid1(VALU_DEP_3)
	v_cndmask_b32_e32 v1, v1, v3, vcc_lo
	v_cmp_gt_f64_e32 vcc_lo, 0, v[8:9]
	v_dual_cndmask_b32 v5, v9, v4 :: v_dual_mov_b32 v4, v8
	s_delay_alu instid0(VALU_DEP_1)
	v_cmpx_ngt_f64_e32 v[0:1], v[4:5]
	s_xor_b32 s12, exec_lo, s12
	s_cbranch_execz .LBB70_76
; %bb.73:                               ;   in Loop: Header=BB70_71 Depth=1
	v_mov_b64_e32 v[6:7], 0
	s_mov_b32 s13, exec_lo
	v_cmpx_neq_f64_e32 0, v[8:9]
	s_cbranch_execz .LBB70_75
; %bb.74:                               ;   in Loop: Header=BB70_71 Depth=1
	v_div_scale_f64 v[6:7], null, v[4:5], v[4:5], v[0:1]
	v_div_scale_f64 v[22:23], vcc_lo, v[0:1], v[4:5], v[0:1]
	s_delay_alu instid0(VALU_DEP_2) | instskip(SKIP_1) | instid1(TRANS32_DEP_1)
	v_rcp_f64_e32 v[8:9], v[6:7]
	v_nop
	v_fma_f64 v[20:21], -v[6:7], v[8:9], 1.0
	s_delay_alu instid0(VALU_DEP_1) | instskip(NEXT) | instid1(VALU_DEP_1)
	v_fmac_f64_e32 v[8:9], v[8:9], v[20:21]
	v_fma_f64 v[20:21], -v[6:7], v[8:9], 1.0
	s_delay_alu instid0(VALU_DEP_1) | instskip(NEXT) | instid1(VALU_DEP_1)
	v_fmac_f64_e32 v[8:9], v[8:9], v[20:21]
	v_mul_f64_e32 v[20:21], v[22:23], v[8:9]
	s_delay_alu instid0(VALU_DEP_1) | instskip(NEXT) | instid1(VALU_DEP_1)
	v_fma_f64 v[6:7], -v[6:7], v[20:21], v[22:23]
	v_div_fmas_f64 v[6:7], v[6:7], v[8:9], v[20:21]
	s_delay_alu instid0(VALU_DEP_1) | instskip(NEXT) | instid1(VALU_DEP_1)
	v_div_fixup_f64 v[0:1], v[6:7], v[4:5], v[0:1]
	v_fma_f64 v[0:1], v[0:1], v[0:1], 1.0
	s_delay_alu instid0(VALU_DEP_1) | instskip(SKIP_1) | instid1(VALU_DEP_1)
	v_cmp_gt_f64_e32 vcc_lo, 0x10000000, v[0:1]
	v_cndmask_b32_e64 v3, 0, 0x100, vcc_lo
	v_ldexp_f64 v[0:1], v[0:1], v3
	v_cndmask_b32_e64 v3, 0, 0xffffff80, vcc_lo
	s_delay_alu instid0(VALU_DEP_2) | instskip(SKIP_1) | instid1(TRANS32_DEP_1)
	v_rsq_f64_e32 v[6:7], v[0:1]
	v_cmp_class_f64_e64 vcc_lo, v[0:1], 0x260
	v_mul_f64_e32 v[8:9], v[0:1], v[6:7]
	v_mul_f64_e32 v[6:7], 0.5, v[6:7]
	s_delay_alu instid0(VALU_DEP_1) | instskip(NEXT) | instid1(VALU_DEP_1)
	v_fma_f64 v[20:21], -v[6:7], v[8:9], 0.5
	v_fmac_f64_e32 v[8:9], v[8:9], v[20:21]
	v_fmac_f64_e32 v[6:7], v[6:7], v[20:21]
	s_delay_alu instid0(VALU_DEP_2) | instskip(NEXT) | instid1(VALU_DEP_1)
	v_fma_f64 v[20:21], -v[8:9], v[8:9], v[0:1]
	v_fmac_f64_e32 v[8:9], v[20:21], v[6:7]
	s_delay_alu instid0(VALU_DEP_1) | instskip(NEXT) | instid1(VALU_DEP_1)
	v_fma_f64 v[20:21], -v[8:9], v[8:9], v[0:1]
	v_fmac_f64_e32 v[8:9], v[20:21], v[6:7]
	s_delay_alu instid0(VALU_DEP_1) | instskip(NEXT) | instid1(VALU_DEP_1)
	v_ldexp_f64 v[6:7], v[8:9], v3
	v_dual_cndmask_b32 v1, v7, v1 :: v_dual_cndmask_b32 v0, v6, v0
	s_delay_alu instid0(VALU_DEP_1)
	v_mul_f64_e32 v[6:7], v[4:5], v[0:1]
.LBB70_75:                              ;   in Loop: Header=BB70_71 Depth=1
	s_or_b32 exec_lo, exec_lo, s13
                                        ; implicit-def: $vgpr0_vgpr1
                                        ; implicit-def: $vgpr4_vgpr5
.LBB70_76:                              ;   in Loop: Header=BB70_71 Depth=1
	s_and_not1_saveexec_b32 s12, s12
	s_cbranch_execz .LBB70_78
; %bb.77:                               ;   in Loop: Header=BB70_71 Depth=1
	v_div_scale_f64 v[6:7], null, v[0:1], v[0:1], v[4:5]
	v_div_scale_f64 v[22:23], vcc_lo, v[4:5], v[0:1], v[4:5]
	s_delay_alu instid0(VALU_DEP_2) | instskip(SKIP_1) | instid1(TRANS32_DEP_1)
	v_rcp_f64_e32 v[8:9], v[6:7]
	v_nop
	v_fma_f64 v[20:21], -v[6:7], v[8:9], 1.0
	s_delay_alu instid0(VALU_DEP_1) | instskip(NEXT) | instid1(VALU_DEP_1)
	v_fmac_f64_e32 v[8:9], v[8:9], v[20:21]
	v_fma_f64 v[20:21], -v[6:7], v[8:9], 1.0
	s_delay_alu instid0(VALU_DEP_1) | instskip(NEXT) | instid1(VALU_DEP_1)
	v_fmac_f64_e32 v[8:9], v[8:9], v[20:21]
	v_mul_f64_e32 v[20:21], v[22:23], v[8:9]
	s_delay_alu instid0(VALU_DEP_1) | instskip(NEXT) | instid1(VALU_DEP_1)
	v_fma_f64 v[6:7], -v[6:7], v[20:21], v[22:23]
	v_div_fmas_f64 v[6:7], v[6:7], v[8:9], v[20:21]
	s_delay_alu instid0(VALU_DEP_1) | instskip(NEXT) | instid1(VALU_DEP_1)
	v_div_fixup_f64 v[4:5], v[6:7], v[0:1], v[4:5]
	v_fma_f64 v[4:5], v[4:5], v[4:5], 1.0
	s_delay_alu instid0(VALU_DEP_1) | instskip(SKIP_1) | instid1(VALU_DEP_1)
	v_cmp_gt_f64_e32 vcc_lo, 0x10000000, v[4:5]
	v_cndmask_b32_e64 v3, 0, 0x100, vcc_lo
	v_ldexp_f64 v[4:5], v[4:5], v3
	v_cndmask_b32_e64 v3, 0, 0xffffff80, vcc_lo
	s_delay_alu instid0(VALU_DEP_2) | instskip(SKIP_1) | instid1(TRANS32_DEP_1)
	v_rsq_f64_e32 v[6:7], v[4:5]
	v_cmp_class_f64_e64 vcc_lo, v[4:5], 0x260
	v_mul_f64_e32 v[8:9], v[4:5], v[6:7]
	v_mul_f64_e32 v[6:7], 0.5, v[6:7]
	s_delay_alu instid0(VALU_DEP_1) | instskip(NEXT) | instid1(VALU_DEP_1)
	v_fma_f64 v[20:21], -v[6:7], v[8:9], 0.5
	v_fmac_f64_e32 v[8:9], v[8:9], v[20:21]
	v_fmac_f64_e32 v[6:7], v[6:7], v[20:21]
	s_delay_alu instid0(VALU_DEP_2) | instskip(NEXT) | instid1(VALU_DEP_1)
	v_fma_f64 v[20:21], -v[8:9], v[8:9], v[4:5]
	v_fmac_f64_e32 v[8:9], v[20:21], v[6:7]
	s_delay_alu instid0(VALU_DEP_1) | instskip(NEXT) | instid1(VALU_DEP_1)
	v_fma_f64 v[20:21], -v[8:9], v[8:9], v[4:5]
	v_fmac_f64_e32 v[8:9], v[20:21], v[6:7]
	s_delay_alu instid0(VALU_DEP_1) | instskip(NEXT) | instid1(VALU_DEP_1)
	v_ldexp_f64 v[6:7], v[8:9], v3
	v_dual_cndmask_b32 v5, v7, v5 :: v_dual_cndmask_b32 v4, v6, v4
	s_delay_alu instid0(VALU_DEP_1)
	v_mul_f64_e32 v[6:7], v[0:1], v[4:5]
.LBB70_78:                              ;   in Loop: Header=BB70_71 Depth=1
	s_or_b32 exec_lo, exec_lo, s12
	s_delay_alu instid0(VALU_DEP_1) | instskip(SKIP_2) | instid1(VALU_DEP_2)
	v_cmp_gt_f64_e32 vcc_lo, 0x10000000, v[6:7]
	v_cndmask_b32_e64 v0, 0, 0x100, vcc_lo
	v_cndmask_b32_e64 v3, 0, 0xffffff80, vcc_lo
	v_ldexp_f64 v[0:1], v[6:7], v0
	s_delay_alu instid0(VALU_DEP_1) | instskip(SKIP_1) | instid1(TRANS32_DEP_1)
	v_rsq_f64_e32 v[4:5], v[0:1]
	v_cmp_class_f64_e64 vcc_lo, v[0:1], 0x260
	v_mul_f64_e32 v[6:7], v[0:1], v[4:5]
	v_mul_f64_e32 v[4:5], 0.5, v[4:5]
	s_delay_alu instid0(VALU_DEP_1) | instskip(NEXT) | instid1(VALU_DEP_1)
	v_fma_f64 v[8:9], -v[4:5], v[6:7], 0.5
	v_fmac_f64_e32 v[6:7], v[6:7], v[8:9]
	v_fmac_f64_e32 v[4:5], v[4:5], v[8:9]
	s_delay_alu instid0(VALU_DEP_2) | instskip(NEXT) | instid1(VALU_DEP_1)
	v_fma_f64 v[8:9], -v[6:7], v[6:7], v[0:1]
	v_fmac_f64_e32 v[6:7], v[8:9], v[4:5]
	s_delay_alu instid0(VALU_DEP_1) | instskip(NEXT) | instid1(VALU_DEP_1)
	v_fma_f64 v[8:9], -v[6:7], v[6:7], v[0:1]
	v_fmac_f64_e32 v[6:7], v[8:9], v[4:5]
	s_delay_alu instid0(VALU_DEP_1) | instskip(NEXT) | instid1(VALU_DEP_1)
	v_ldexp_f64 v[4:5], v[6:7], v3
	v_dual_mov_b32 v3, v2 :: v_dual_cndmask_b32 v1, v5, v1, vcc_lo
	s_delay_alu instid0(VALU_DEP_2)
	v_cndmask_b32_e32 v0, v4, v0, vcc_lo
	ds_store_b128 v15, v[0:3]
.LBB70_79:                              ;   in Loop: Header=BB70_71 Depth=1
	s_or_b32 exec_lo, exec_lo, s2
	v_mov_b32_e32 v0, s3
	s_wait_dscnt 0x0
	ds_load_b128 v[6:9], v0
	s_wait_dscnt 0x0
	v_cmp_neq_f64_e32 vcc_lo, 0, v[6:7]
	v_cmp_neq_f64_e64 s2, 0, v[8:9]
	s_or_b32 vcc_lo, vcc_lo, s2
	v_dual_cndmask_b32 v5, 0, v9 :: v_dual_cndmask_b32 v4, 0, v8
	v_cndmask_b32_e32 v0, 0, v6, vcc_lo
	v_cndmask_b32_e32 v1, 0x3ff00000, v7, vcc_lo
	s_nor_b32 s12, vcc_lo, s1
	s_delay_alu instid0(SALU_CYCLE_1)
	s_and_saveexec_b32 s2, s12
	s_cbranch_execz .LBB70_83
; %bb.80:                               ;   in Loop: Header=BB70_71 Depth=1
	v_mbcnt_lo_u32_b32 v0, exec_lo, 0
	s_mov_b32 s12, exec_lo
	s_delay_alu instid0(VALU_DEP_1)
	v_cmpx_eq_u32_e32 0, v0
	s_cbranch_execz .LBB70_82
; %bb.81:                               ;   in Loop: Header=BB70_71 Depth=1
	v_mov_b32_e32 v0, s5
	global_atomic_min_i32 v2, v0, s[10:11] scope:SCOPE_DEV
.LBB70_82:                              ;   in Loop: Header=BB70_71 Depth=1
	s_wait_xcnt 0x0
	s_or_b32 exec_lo, exec_lo, s12
	v_mov_b64_e32 v[0:1], 1.0
	v_mov_b64_e32 v[4:5], 0
.LBB70_83:                              ;   in Loop: Header=BB70_71 Depth=1
	s_or_b32 exec_lo, exec_lo, s2
	s_delay_alu instid0(SALU_CYCLE_1)
	s_mov_b32 s2, exec_lo
	v_cmpx_lt_u32_e64 s4, v17
	s_cbranch_execz .LBB70_70
; %bb.84:                               ;   in Loop: Header=BB70_71 Depth=1
	s_delay_alu instid0(VALU_DEP_2) | instskip(NEXT) | instid1(VALU_DEP_1)
	v_mul_f64_e32 v[24:25], v[4:5], v[4:5]
	v_fmac_f64_e32 v[24:25], v[0:1], v[0:1]
	s_delay_alu instid0(VALU_DEP_1) | instskip(SKIP_1) | instid1(VALU_DEP_2)
	v_div_scale_f64 v[26:27], null, v[24:25], v[24:25], 1.0
	v_div_scale_f64 v[30:31], vcc_lo, 1.0, v[24:25], 1.0
	v_rcp_f64_e32 v[28:29], v[26:27]
	v_nop
	s_delay_alu instid0(TRANS32_DEP_1) | instskip(NEXT) | instid1(VALU_DEP_1)
	v_fma_f64 v[6:7], -v[26:27], v[28:29], 1.0
	v_fmac_f64_e32 v[28:29], v[28:29], v[6:7]
	s_delay_alu instid0(VALU_DEP_1) | instskip(NEXT) | instid1(VALU_DEP_1)
	v_fma_f64 v[6:7], -v[26:27], v[28:29], 1.0
	v_fmac_f64_e32 v[28:29], v[28:29], v[6:7]
	ds_load_b128 v[6:9], v13
	ds_load_b128 v[20:23], v13 offset:1152
	s_wait_dscnt 0x0
	v_add_f64_e64 v[8:9], v[8:9], -v[22:23]
	v_add_f64_e64 v[6:7], v[6:7], -v[20:21]
	v_mul_f64_e32 v[32:33], v[30:31], v[28:29]
	s_delay_alu instid0(VALU_DEP_3) | instskip(NEXT) | instid1(VALU_DEP_2)
	v_mul_f64_e32 v[20:21], v[4:5], v[8:9]
	v_fma_f64 v[22:23], -v[26:27], v[32:33], v[30:31]
	s_delay_alu instid0(VALU_DEP_4) | instskip(NEXT) | instid1(VALU_DEP_3)
	v_mul_f64_e64 v[26:27], v[4:5], -v[6:7]
	v_fmac_f64_e32 v[20:21], v[6:7], v[0:1]
	s_delay_alu instid0(VALU_DEP_3) | instskip(NEXT) | instid1(VALU_DEP_3)
	v_div_fmas_f64 v[22:23], v[22:23], v[28:29], v[32:33]
	v_fmac_f64_e32 v[26:27], v[8:9], v[0:1]
	s_delay_alu instid0(VALU_DEP_2) | instskip(NEXT) | instid1(VALU_DEP_1)
	v_div_fixup_f64 v[6:7], v[22:23], v[24:25], 1.0
	v_mul_f64_e32 v[4:5], v[6:7], v[20:21]
	s_delay_alu instid0(VALU_DEP_3)
	v_mul_f64_e32 v[6:7], v[6:7], v[26:27]
	ds_store_b128 v13, v[4:7]
	s_wait_storecnt_dscnt 0x0
	ds_load_b128 v[20:23], v14
	ds_load_b128 v[24:27], v18
	s_wait_dscnt 0x0
	v_fmac_f64_e32 v[24:25], v[4:5], v[20:21]
	v_fmac_f64_e32 v[26:27], v[6:7], v[20:21]
	s_delay_alu instid0(VALU_DEP_2) | instskip(NEXT) | instid1(VALU_DEP_2)
	v_fmac_f64_e32 v[24:25], v[6:7], v[22:23]
	v_fma_f64 v[26:27], v[4:5], -v[22:23], v[26:27]
	ds_store_b128 v18, v[24:27]
	s_branch .LBB70_70
.LBB70_85:
	s_and_saveexec_b32 s1, s0
	s_cbranch_execz .LBB70_87
; %bb.86:
	ds_load_2addr_b64 v[0:3], v12 offset1:1
	v_mad_u32 v4, v11, s28, v10
	s_wait_dscnt 0x0
	global_store_b128 v4, v[0:3], s[18:19] scale_offset
.LBB70_87:
	s_wait_xcnt 0x0
	s_or_b32 exec_lo, exec_lo, s1
	v_or_b32_e32 v0, v16, v17
	s_mov_b32 s0, 0
	s_mov_b32 s1, exec_lo
	s_delay_alu instid0(VALU_DEP_1)
	v_cmpx_eq_u32_e32 0, v0
	s_cbranch_execz .LBB70_89
; %bb.88:
	v_dual_mov_b32 v0, 0 :: v_dual_mov_b32 v1, 1
	s_add_nc_u64 s[2:3], s[6:7], s[8:9]
	global_wb scope:SCOPE_DEV
	s_wait_storecnt 0x0
	global_store_b32 v0, v1, s[2:3] scope:SCOPE_DEV
.LBB70_89:
	s_wait_xcnt 0x0
	s_or_b32 exec_lo, exec_lo, s1
	s_delay_alu instid0(SALU_CYCLE_1)
	s_and_b32 vcc_lo, exec_lo, s0
	s_cbranch_vccnz .LBB70_92
.LBB70_90:
	s_endpgm
.LBB70_91:
	s_cbranch_execz .LBB70_90
.LBB70_92:
	v_or_b32_e32 v0, v16, v17
	s_mov_b32 s0, exec_lo
	s_delay_alu instid0(VALU_DEP_1)
	v_cmpx_eq_u32_e32 0, v0
	s_cbranch_execz .LBB70_90
; %bb.93:
	v_mbcnt_lo_u32_b32 v0, exec_lo, 0
	s_mov_b32 s0, exec_lo
	s_delay_alu instid0(VALU_DEP_1)
	v_cmpx_eq_u32_e32 0, v0
	s_cbranch_execz .LBB70_95
; %bb.94:
	s_add_co_i32 s1, s16, s17
	s_delay_alu instid0(SALU_CYCLE_1)
	v_dual_mov_b32 v0, 0 :: v_dual_mov_b32 v1, s1
	global_atomic_min_i32 v0, v1, s[10:11] scope:SCOPE_DEV
.LBB70_95:
	s_wait_xcnt 0x0
	s_or_b32 exec_lo, exec_lo, s0
	v_dual_mov_b32 v0, 0 :: v_dual_mov_b32 v1, 1
	s_add_nc_u64 s[0:1], s[6:7], s[8:9]
	global_wb scope:SCOPE_DEV
	s_wait_storecnt 0x0
	global_store_b32 v0, v1, s[0:1] scope:SCOPE_DEV
	s_endpgm
	.section	.rodata,"a",@progbits
	.p2align	6, 0x0
	.amdhsa_kernel _ZN9rocsparseL17bsric0_2_8_kernelILi64ELi64ELi8E21rocsparse_complex_numIdEEEv20rocsparse_direction_iiPKiS5_PT2_S5_PiS5_S8_21rocsparse_index_base_
		.amdhsa_group_segment_fixed_size 5376
		.amdhsa_private_segment_fixed_size 0
		.amdhsa_kernarg_size 76
		.amdhsa_user_sgpr_count 2
		.amdhsa_user_sgpr_dispatch_ptr 0
		.amdhsa_user_sgpr_queue_ptr 0
		.amdhsa_user_sgpr_kernarg_segment_ptr 1
		.amdhsa_user_sgpr_dispatch_id 0
		.amdhsa_user_sgpr_kernarg_preload_length 0
		.amdhsa_user_sgpr_kernarg_preload_offset 0
		.amdhsa_user_sgpr_private_segment_size 0
		.amdhsa_wavefront_size32 1
		.amdhsa_uses_dynamic_stack 0
		.amdhsa_enable_private_segment 0
		.amdhsa_system_sgpr_workgroup_id_x 1
		.amdhsa_system_sgpr_workgroup_id_y 0
		.amdhsa_system_sgpr_workgroup_id_z 0
		.amdhsa_system_sgpr_workgroup_info 0
		.amdhsa_system_vgpr_workitem_id 1
		.amdhsa_next_free_vgpr 40
		.amdhsa_next_free_sgpr 43
		.amdhsa_named_barrier_count 0
		.amdhsa_reserve_vcc 1
		.amdhsa_float_round_mode_32 0
		.amdhsa_float_round_mode_16_64 0
		.amdhsa_float_denorm_mode_32 3
		.amdhsa_float_denorm_mode_16_64 3
		.amdhsa_fp16_overflow 0
		.amdhsa_memory_ordered 1
		.amdhsa_forward_progress 1
		.amdhsa_inst_pref_size 40
		.amdhsa_round_robin_scheduling 0
		.amdhsa_exception_fp_ieee_invalid_op 0
		.amdhsa_exception_fp_denorm_src 0
		.amdhsa_exception_fp_ieee_div_zero 0
		.amdhsa_exception_fp_ieee_overflow 0
		.amdhsa_exception_fp_ieee_underflow 0
		.amdhsa_exception_fp_ieee_inexact 0
		.amdhsa_exception_int_div_zero 0
	.end_amdhsa_kernel
	.section	.text._ZN9rocsparseL17bsric0_2_8_kernelILi64ELi64ELi8E21rocsparse_complex_numIdEEEv20rocsparse_direction_iiPKiS5_PT2_S5_PiS5_S8_21rocsparse_index_base_,"axG",@progbits,_ZN9rocsparseL17bsric0_2_8_kernelILi64ELi64ELi8E21rocsparse_complex_numIdEEEv20rocsparse_direction_iiPKiS5_PT2_S5_PiS5_S8_21rocsparse_index_base_,comdat
.Lfunc_end70:
	.size	_ZN9rocsparseL17bsric0_2_8_kernelILi64ELi64ELi8E21rocsparse_complex_numIdEEEv20rocsparse_direction_iiPKiS5_PT2_S5_PiS5_S8_21rocsparse_index_base_, .Lfunc_end70-_ZN9rocsparseL17bsric0_2_8_kernelILi64ELi64ELi8E21rocsparse_complex_numIdEEEv20rocsparse_direction_iiPKiS5_PT2_S5_PiS5_S8_21rocsparse_index_base_
                                        ; -- End function
	.set _ZN9rocsparseL17bsric0_2_8_kernelILi64ELi64ELi8E21rocsparse_complex_numIdEEEv20rocsparse_direction_iiPKiS5_PT2_S5_PiS5_S8_21rocsparse_index_base_.num_vgpr, 40
	.set _ZN9rocsparseL17bsric0_2_8_kernelILi64ELi64ELi8E21rocsparse_complex_numIdEEEv20rocsparse_direction_iiPKiS5_PT2_S5_PiS5_S8_21rocsparse_index_base_.num_agpr, 0
	.set _ZN9rocsparseL17bsric0_2_8_kernelILi64ELi64ELi8E21rocsparse_complex_numIdEEEv20rocsparse_direction_iiPKiS5_PT2_S5_PiS5_S8_21rocsparse_index_base_.numbered_sgpr, 43
	.set _ZN9rocsparseL17bsric0_2_8_kernelILi64ELi64ELi8E21rocsparse_complex_numIdEEEv20rocsparse_direction_iiPKiS5_PT2_S5_PiS5_S8_21rocsparse_index_base_.num_named_barrier, 0
	.set _ZN9rocsparseL17bsric0_2_8_kernelILi64ELi64ELi8E21rocsparse_complex_numIdEEEv20rocsparse_direction_iiPKiS5_PT2_S5_PiS5_S8_21rocsparse_index_base_.private_seg_size, 0
	.set _ZN9rocsparseL17bsric0_2_8_kernelILi64ELi64ELi8E21rocsparse_complex_numIdEEEv20rocsparse_direction_iiPKiS5_PT2_S5_PiS5_S8_21rocsparse_index_base_.uses_vcc, 1
	.set _ZN9rocsparseL17bsric0_2_8_kernelILi64ELi64ELi8E21rocsparse_complex_numIdEEEv20rocsparse_direction_iiPKiS5_PT2_S5_PiS5_S8_21rocsparse_index_base_.uses_flat_scratch, 0
	.set _ZN9rocsparseL17bsric0_2_8_kernelILi64ELi64ELi8E21rocsparse_complex_numIdEEEv20rocsparse_direction_iiPKiS5_PT2_S5_PiS5_S8_21rocsparse_index_base_.has_dyn_sized_stack, 0
	.set _ZN9rocsparseL17bsric0_2_8_kernelILi64ELi64ELi8E21rocsparse_complex_numIdEEEv20rocsparse_direction_iiPKiS5_PT2_S5_PiS5_S8_21rocsparse_index_base_.has_recursion, 0
	.set _ZN9rocsparseL17bsric0_2_8_kernelILi64ELi64ELi8E21rocsparse_complex_numIdEEEv20rocsparse_direction_iiPKiS5_PT2_S5_PiS5_S8_21rocsparse_index_base_.has_indirect_call, 0
	.section	.AMDGPU.csdata,"",@progbits
; Kernel info:
; codeLenInByte = 5116
; TotalNumSgprs: 45
; NumVgprs: 40
; ScratchSize: 0
; MemoryBound: 1
; FloatMode: 240
; IeeeMode: 1
; LDSByteSize: 5376 bytes/workgroup (compile time only)
; SGPRBlocks: 0
; VGPRBlocks: 2
; NumSGPRsForWavesPerEU: 45
; NumVGPRsForWavesPerEU: 40
; NamedBarCnt: 0
; Occupancy: 15
; WaveLimiterHint : 1
; COMPUTE_PGM_RSRC2:SCRATCH_EN: 0
; COMPUTE_PGM_RSRC2:USER_SGPR: 2
; COMPUTE_PGM_RSRC2:TRAP_HANDLER: 0
; COMPUTE_PGM_RSRC2:TGID_X_EN: 1
; COMPUTE_PGM_RSRC2:TGID_Y_EN: 0
; COMPUTE_PGM_RSRC2:TGID_Z_EN: 0
; COMPUTE_PGM_RSRC2:TIDIG_COMP_CNT: 1
	.section	.text._ZN9rocsparseL18bsric0_9_16_kernelILi64ELi64ELi16E21rocsparse_complex_numIdEEEv20rocsparse_direction_iiPKiS5_PT2_S5_PiS5_S8_21rocsparse_index_base_,"axG",@progbits,_ZN9rocsparseL18bsric0_9_16_kernelILi64ELi64ELi16E21rocsparse_complex_numIdEEEv20rocsparse_direction_iiPKiS5_PT2_S5_PiS5_S8_21rocsparse_index_base_,comdat
	.globl	_ZN9rocsparseL18bsric0_9_16_kernelILi64ELi64ELi16E21rocsparse_complex_numIdEEEv20rocsparse_direction_iiPKiS5_PT2_S5_PiS5_S8_21rocsparse_index_base_ ; -- Begin function _ZN9rocsparseL18bsric0_9_16_kernelILi64ELi64ELi16E21rocsparse_complex_numIdEEEv20rocsparse_direction_iiPKiS5_PT2_S5_PiS5_S8_21rocsparse_index_base_
	.p2align	8
	.type	_ZN9rocsparseL18bsric0_9_16_kernelILi64ELi64ELi16E21rocsparse_complex_numIdEEEv20rocsparse_direction_iiPKiS5_PT2_S5_PiS5_S8_21rocsparse_index_base_,@function
_ZN9rocsparseL18bsric0_9_16_kernelILi64ELi64ELi16E21rocsparse_complex_numIdEEEv20rocsparse_direction_iiPKiS5_PT2_S5_PiS5_S8_21rocsparse_index_base_: ; @_ZN9rocsparseL18bsric0_9_16_kernelILi64ELi64ELi16E21rocsparse_complex_numIdEEEv20rocsparse_direction_iiPKiS5_PT2_S5_PiS5_S8_21rocsparse_index_base_
; %bb.0:
	s_load_b256 s[4:11], s[0:1], 0x28
	s_bfe_u32 s2, ttmp6, 0x4000c
	s_and_b32 s3, ttmp6, 15
	s_add_co_i32 s2, s2, 1
	s_getreg_b32 s12, hwreg(HW_REG_IB_STS2, 6, 4)
	s_mul_i32 s2, ttmp9, s2
	v_and_b32_e32 v16, 0x3ff, v0
	s_add_co_i32 s3, s3, s2
	s_cmp_eq_u32 s12, 0
	v_bfe_u32 v17, v0, 10, 10
	s_cselect_b32 s2, ttmp9, s3
	s_wait_kmcnt 0x0
	s_load_b32 s16, s[8:9], s2 offset:0x0 scale_offset
	s_wait_kmcnt 0x0
	s_ashr_i32 s17, s16, 31
	s_delay_alu instid0(SALU_CYCLE_1) | instskip(NEXT) | instid1(SALU_CYCLE_1)
	s_lshl_b64 s[8:9], s[16:17], 2
	s_add_nc_u64 s[2:3], s[4:5], s[8:9]
	s_load_b32 s28, s[2:3], 0x0
	s_load_b32 s17, s[0:1], 0x48
	s_wait_kmcnt 0x0
	s_cmp_lg_u32 s28, -1
	s_cbranch_scc0 .LBB71_134
; %bb.1:
	s_clause 0x1
	s_load_b128 s[12:15], s[0:1], 0x10
	s_load_b64 s[18:19], s[0:1], 0x20
	v_dual_lshlrev_b32 v0, 2, v17 :: v_dual_lshlrev_b32 v20, 4, v17
	s_wait_kmcnt 0x0
	s_add_nc_u64 s[2:3], s[12:13], s[8:9]
	s_load_b32 s2, s[2:3], 0x0
	s_wait_kmcnt 0x0
	s_sub_co_i32 s31, s2, s17
	s_mov_b32 s2, exec_lo
	v_add3_u32 v0, v0, v16, s31
	s_delay_alu instid0(VALU_DEP_1)
	v_cmpx_ge_i32_e64 s28, v0
	s_cbranch_execz .LBB71_4
; %bb.2:
	v_lshlrev_b32_e32 v1, 2, v16
	s_mov_b32 s3, 0
	s_delay_alu instid0(VALU_DEP_1)
	v_add3_u32 v1, v20, v1, 0x4600
.LBB71_3:                               ; =>This Inner Loop Header: Depth=1
	global_load_b32 v2, v0, s[14:15] scale_offset
	s_wait_xcnt 0x0
	v_add_nc_u32_e32 v0, 64, v0
	s_delay_alu instid0(VALU_DEP_1)
	v_cmp_lt_i32_e32 vcc_lo, s28, v0
	s_or_b32 s3, vcc_lo, s3
	s_wait_loadcnt 0x0
	v_subrev_nc_u32_e32 v2, s17, v2
	ds_store_b32 v1, v2
	v_add_nc_u32_e32 v1, 0x100, v1
	s_and_not1_b32 exec_lo, exec_lo, s3
	s_cbranch_execnz .LBB71_3
.LBB71_4:
	s_or_b32 exec_lo, exec_lo, s2
	v_mul_u32_u24_e32 v18, 0x110, v17
	v_lshlrev_b32_e32 v19, 4, v16
	s_mov_b32 s2, exec_lo
	v_cmpx_gt_u32_e32 16, v16
	s_cbranch_execz .LBB71_7
; %bb.5:
	v_dual_mov_b32 v0, 0 :: v_dual_add_nc_u32 v4, -4, v16
	v_add3_u32 v5, v18, v19, 0x3300
	s_mov_b32 s3, 0
	s_delay_alu instid0(VALU_DEP_2)
	v_dual_mov_b32 v1, v0 :: v_dual_mov_b32 v2, v0
	v_mov_b32_e32 v3, v0
.LBB71_6:                               ; =>This Inner Loop Header: Depth=1
	v_add_nc_u32_e32 v4, 4, v4
	ds_store_b128 v5, v[0:3]
	v_add_nc_u32_e32 v5, 64, v5
	v_cmp_lt_u32_e32 vcc_lo, 11, v4
	s_or_b32 s3, vcc_lo, s3
	s_delay_alu instid0(SALU_CYCLE_1)
	s_and_not1_b32 exec_lo, exec_lo, s3
	s_cbranch_execnz .LBB71_6
.LBB71_7:
	s_or_b32 exec_lo, exec_lo, s2
	s_clause 0x1
	s_load_b32 s29, s[0:1], 0x8
	s_load_b32 s30, s[0:1], 0x0
	s_cmp_ge_i32 s31, s28
	s_wait_dscnt 0x0
	s_wait_kmcnt 0x0
	v_cmp_gt_i32_e64 s0, s29, v16
	s_cbranch_scc1 .LBB71_89
; %bb.8:
	v_mad_u32 v0, s29, s31, v17
	v_mul_lo_u32 v24, s29, v17
	v_mul_lo_u32 v26, v16, s29
	v_or_b32_e32 v1, v16, v17
	v_mad_u32_u24 v22, 0x110, v17, v19
	s_movk_i32 s3, 0x110
	s_movk_i32 s2, 0x1100
	s_cmp_lg_u32 s30, 0
	v_cmp_gt_i32_e64 s1, s29, v17
	v_mad_u32_u24 v21, v17, s3, 0x2200
	v_mad_u32_u24 v23, 0x110, v17, s2
	v_mul_lo_u32 v29, s29, v0
	v_add_nc_u32_e32 v25, 0x1100, v22
	v_add_nc_u32_e32 v27, 0x3300, v22
	v_mad_u32_u24 v28, v16, s3, 0x2200
	v_add_nc_u32_e32 v30, 0x2200, v22
	v_mov_b32_e32 v0, 0
	v_cmp_ne_u32_e64 s2, 0, v1
	s_cselect_b32 s33, -1, 0
	s_cmp_gt_i32 s29, 0
	s_mul_i32 s35, s29, s29
	s_cselect_b32 s34, -1, 0
	s_lshl_b32 s36, s29, 2
	s_mov_b32 s20, s31
	s_branch .LBB71_10
.LBB71_9:                               ;   in Loop: Header=BB71_10 Depth=1
	s_or_b32 exec_lo, exec_lo, s3
	s_add_co_i32 s20, s20, 1
	v_add_nc_u32_e32 v29, s35, v29
	s_cmp_ge_i32 s20, s28
	global_wb scope:SCOPE_DEV
	s_wait_storecnt 0x0
	global_inv scope:SCOPE_DEV
	s_cselect_b32 s3, -1, 0
	s_delay_alu instid0(SALU_CYCLE_1)
	s_and_b32 vcc_lo, exec_lo, s3
	s_cbranch_vccnz .LBB71_89
.LBB71_10:                              ; =>This Loop Header: Depth=1
                                        ;     Child Loop BB71_14 Depth 2
                                        ;     Child Loop BB71_26 Depth 2
	;; [unrolled: 1-line block ×5, first 2 shown]
                                        ;       Child Loop BB71_56 Depth 3
                                        ;     Child Loop BB71_70 Depth 2
                                        ;       Child Loop BB71_75 Depth 3
                                        ;       Child Loop BB71_78 Depth 3
                                        ;     Child Loop BB71_84 Depth 2
	s_ashr_i32 s21, s20, 31
	s_delay_alu instid0(SALU_CYCLE_1) | instskip(NEXT) | instid1(SALU_CYCLE_1)
	s_lshl_b64 s[22:23], s[20:21], 2
	s_add_nc_u64 s[22:23], s[14:15], s[22:23]
	s_load_b32 s37, s[22:23], 0x0
	s_wait_kmcnt 0x0
	s_sub_co_i32 s24, s37, s17
	s_delay_alu instid0(SALU_CYCLE_1) | instskip(SKIP_2) | instid1(SALU_CYCLE_1)
	s_ashr_i32 s25, s24, 31
	s_wait_xcnt 0x0
	s_lshl_b64 s[22:23], s[24:25], 2
	s_add_nc_u64 s[26:27], s[4:5], s[22:23]
	s_load_b32 s3, s[26:27], 0x0
	s_wait_kmcnt 0x0
	s_cmp_eq_u32 s3, -1
	s_cbranch_scc1 .LBB71_88
; %bb.11:                               ;   in Loop: Header=BB71_10 Depth=1
	s_wait_xcnt 0x0
	s_add_nc_u64 s[26:27], s[12:13], s[22:23]
	s_mul_i32 s21, s20, s29
	s_load_b32 s25, s[26:27], 0x0
	s_wait_xcnt 0x0
	s_and_saveexec_b32 s26, s0
	s_cbranch_execz .LBB71_24
; %bb.12:                               ;   in Loop: Header=BB71_10 Depth=1
	v_dual_mov_b32 v8, v25 :: v_dual_mov_b32 v9, v16
	s_mov_b32 s27, 0
	s_branch .LBB71_14
.LBB71_13:                              ;   in Loop: Header=BB71_14 Depth=2
	s_wait_xcnt 0x0
	s_or_b32 exec_lo, exec_lo, s39
	v_dual_mov_b32 v1, v0 :: v_dual_add_nc_u32 v9, 4, v9
	v_dual_mov_b32 v2, v0 :: v_dual_mov_b32 v3, v0
	s_wait_loadcnt 0x0
	ds_store_b128 v8, v[4:7] offset:4352
	ds_store_b128 v8, v[0:3]
	v_cmp_le_i32_e32 vcc_lo, s29, v9
	v_add_nc_u32_e32 v8, 64, v8
	s_or_b32 s27, vcc_lo, s27
	s_delay_alu instid0(SALU_CYCLE_1)
	s_and_not1_b32 exec_lo, exec_lo, s27
	s_cbranch_execz .LBB71_24
.LBB71_14:                              ;   Parent Loop BB71_10 Depth=1
                                        ; =>  This Inner Loop Header: Depth=2
	s_and_b32 vcc_lo, exec_lo, s33
	s_cbranch_vccz .LBB71_21
; %bb.15:                               ;   in Loop: Header=BB71_14 Depth=2
	s_mov_b32 s39, 0
	s_mov_b32 s38, 0
                                        ; implicit-def: $vgpr1
	s_and_saveexec_b32 s40, s1
	s_delay_alu instid0(SALU_CYCLE_1)
	s_xor_b32 s40, exec_lo, s40
; %bb.16:                               ;   in Loop: Header=BB71_14 Depth=2
	v_add_nc_u32_e32 v1, s21, v9
	s_mov_b32 s38, exec_lo
	s_delay_alu instid0(VALU_DEP_1)
	v_mad_u32 v1, v1, s29, v17
; %bb.17:                               ;   in Loop: Header=BB71_14 Depth=2
	s_or_b32 exec_lo, exec_lo, s40
	s_delay_alu instid0(SALU_CYCLE_1)
	s_and_b32 vcc_lo, exec_lo, s39
	s_cbranch_vccz .LBB71_22
.LBB71_18:                              ;   in Loop: Header=BB71_14 Depth=2
                                        ; implicit-def: $vgpr1
	s_and_saveexec_b32 s39, s1
; %bb.19:                               ;   in Loop: Header=BB71_14 Depth=2
	v_add_nc_u32_e32 v1, v29, v9
	s_or_b32 s38, s38, exec_lo
; %bb.20:                               ;   in Loop: Header=BB71_14 Depth=2
	s_or_b32 exec_lo, exec_lo, s39
	v_mov_b64_e32 v[4:5], 0
	v_mov_b64_e32 v[6:7], 0
	s_and_saveexec_b32 s39, s38
	s_cbranch_execz .LBB71_13
	s_branch .LBB71_23
.LBB71_21:                              ;   in Loop: Header=BB71_14 Depth=2
	s_mov_b32 s38, 0
                                        ; implicit-def: $vgpr1
	s_cbranch_execnz .LBB71_18
.LBB71_22:                              ;   in Loop: Header=BB71_14 Depth=2
	v_mov_b64_e32 v[4:5], 0
	v_mov_b64_e32 v[6:7], 0
	s_and_saveexec_b32 s39, s38
	s_cbranch_execz .LBB71_13
.LBB71_23:                              ;   in Loop: Header=BB71_14 Depth=2
	global_load_b128 v[4:7], v1, s[18:19] scale_offset
	s_branch .LBB71_13
.LBB71_24:                              ;   in Loop: Header=BB71_10 Depth=1
	s_or_b32 exec_lo, exec_lo, s26
	ds_load_b32 v1, v0 offset:17920
	s_wait_kmcnt 0x0
	s_sub_co_i32 s26, s25, s17
	s_delay_alu instid0(SALU_CYCLE_1) | instskip(SKIP_4) | instid1(SALU_CYCLE_1)
	s_cmp_le_i32 s26, s3
	s_cselect_b32 s25, -1, 0
	s_wait_dscnt 0x0
	v_cmp_ge_i32_e32 vcc_lo, s24, v1
	s_and_b32 s25, s25, vcc_lo
	s_and_not1_b32 vcc_lo, exec_lo, s25
	s_mov_b32 s25, 0
	s_cbranch_vccnz .LBB71_36
; %bb.25:                               ;   in Loop: Header=BB71_10 Depth=1
	s_mov_b32 s38, 0
	s_mov_b32 s39, 0
.LBB71_26:                              ;   Parent Loop BB71_10 Depth=1
                                        ; =>  This Inner Loop Header: Depth=2
	s_ashr_i32 s27, s26, 31
	s_lshl_b32 s25, s39, 2
	s_wait_xcnt 0x0
	s_lshl_b64 s[40:41], s[26:27], 2
	v_mov_b32_e32 v1, s25
	s_add_nc_u64 s[40:41], s[14:15], s[40:41]
	s_mov_b32 s42, -1
	s_load_b32 s25, s[40:41], 0x0
                                        ; implicit-def: $sgpr41
                                        ; implicit-def: $sgpr40
	ds_load_b32 v1, v1 offset:17920
	s_wait_kmcnt 0x0
	s_sub_co_i32 s43, s25, s17
                                        ; implicit-def: $sgpr25
	s_wait_dscnt 0x0
	v_readfirstlane_b32 s27, v1
	v_cmp_ge_i32_e32 vcc_lo, s43, v1
	s_cbranch_vccz .LBB71_32
; %bb.27:                               ;   in Loop: Header=BB71_26 Depth=2
	s_cmp_le_i32 s43, s27
                                        ; implicit-def: $sgpr25
                                        ; implicit-def: $sgpr41
                                        ; implicit-def: $sgpr40
	s_cbranch_scc0 .LBB71_29
; %bb.28:                               ;   in Loop: Header=BB71_26 Depth=2
	s_add_co_i32 s25, s39, s31
	s_wait_xcnt 0x0
	s_lshl_b32 s40, s38, 2
	s_mul_i32 s25, s25, s35
	s_delay_alu instid0(SALU_CYCLE_1)
	v_dual_mov_b32 v1, s40 :: v_dual_mov_b32 v2, s25
	s_mul_i32 s40, s26, s35
	s_add_co_i32 s41, s26, 1
	v_mov_b32_e32 v3, s40
	s_add_co_i32 s40, s39, 1
	s_add_co_i32 s25, s38, 1
	s_mov_b32 s42, 0
	ds_store_2addr_stride64_b32 v1, v3, v2 offset0:68 offset1:69
.LBB71_29:                              ;   in Loop: Header=BB71_26 Depth=2
	s_and_not1_b32 vcc_lo, exec_lo, s42
	s_cbranch_vccnz .LBB71_31
; %bb.30:                               ;   in Loop: Header=BB71_26 Depth=2
	s_wait_xcnt 0x0
	s_add_co_i32 s40, s39, 1
	s_mov_b32 s25, s38
	s_mov_b32 s41, s26
.LBB71_31:                              ;   in Loop: Header=BB71_26 Depth=2
	s_mov_b32 s42, 0
.LBB71_32:                              ;   in Loop: Header=BB71_26 Depth=2
	s_delay_alu instid0(SALU_CYCLE_1)
	s_and_not1_b32 vcc_lo, exec_lo, s42
	s_cbranch_vccnz .LBB71_34
; %bb.33:                               ;   in Loop: Header=BB71_26 Depth=2
	s_wait_xcnt 0x0
	s_add_co_i32 s41, s26, 1
	s_mov_b32 s40, s39
	s_mov_b32 s25, s38
.LBB71_34:                              ;   in Loop: Header=BB71_26 Depth=2
	s_cmp_le_i32 s41, s3
	s_cselect_b32 s26, -1, 0
	s_cmp_le_i32 s27, s24
	s_cselect_b32 s27, -1, 0
	s_delay_alu instid0(SALU_CYCLE_1) | instskip(NEXT) | instid1(SALU_CYCLE_1)
	s_and_b32 s26, s26, s27
	s_and_b32 vcc_lo, exec_lo, s26
	s_cbranch_vccz .LBB71_36
; %bb.35:                               ;   in Loop: Header=BB71_26 Depth=2
	s_mov_b32 s38, s25
	s_mov_b32 s26, s41
	;; [unrolled: 1-line block ×3, first 2 shown]
	s_branch .LBB71_26
.LBB71_36:                              ;   in Loop: Header=BB71_10 Depth=1
	s_add_nc_u64 s[22:23], s[6:7], s[22:23]
	s_wait_dscnt 0x0
.LBB71_37:                              ;   Parent Loop BB71_10 Depth=1
                                        ; =>  This Inner Loop Header: Depth=2
	global_load_b32 v1, v0, s[22:23] scope:SCOPE_DEV
	s_wait_loadcnt 0x0
	v_cmp_eq_u32_e32 vcc_lo, 0, v1
	s_cbranch_vccnz .LBB71_37
; %bb.38:                               ;   in Loop: Header=BB71_10 Depth=1
	global_inv scope:SCOPE_DEV
	s_wait_xcnt 0x0
	s_and_saveexec_b32 s22, s0
	s_cbranch_execz .LBB71_51
; %bb.39:                               ;   in Loop: Header=BB71_10 Depth=1
	s_mul_i32 s3, s3, s29
	s_delay_alu instid0(SALU_CYCLE_1) | instskip(SKIP_2) | instid1(VALU_DEP_2)
	v_dual_mov_b32 v7, v16 :: v_dual_add_nc_u32 v1, s3, v17
	v_mov_b32_e32 v6, v22
	s_mov_b32 s23, 0
	v_mul_lo_u32 v1, v1, s29
	s_branch .LBB71_41
.LBB71_40:                              ;   in Loop: Header=BB71_41 Depth=2
	s_wait_xcnt 0x0
	s_or_b32 exec_lo, exec_lo, s26
	v_add_nc_u32_e32 v7, 4, v7
	s_wait_loadcnt 0x0
	ds_store_b128 v6, v[2:5]
	v_add_nc_u32_e32 v6, 64, v6
	v_cmp_le_i32_e32 vcc_lo, s29, v7
	s_or_b32 s23, vcc_lo, s23
	s_delay_alu instid0(SALU_CYCLE_1)
	s_and_not1_b32 exec_lo, exec_lo, s23
	s_cbranch_execz .LBB71_51
.LBB71_41:                              ;   Parent Loop BB71_10 Depth=1
                                        ; =>  This Inner Loop Header: Depth=2
	s_and_b32 vcc_lo, exec_lo, s33
	s_cbranch_vccz .LBB71_48
; %bb.42:                               ;   in Loop: Header=BB71_41 Depth=2
	s_mov_b32 s26, 0
	s_mov_b32 s24, 0
                                        ; implicit-def: $vgpr8
	s_and_saveexec_b32 s27, s1
	s_delay_alu instid0(SALU_CYCLE_1)
	s_xor_b32 s27, exec_lo, s27
; %bb.43:                               ;   in Loop: Header=BB71_41 Depth=2
	v_add_nc_u32_e32 v2, s3, v7
	s_mov_b32 s24, exec_lo
	s_delay_alu instid0(VALU_DEP_1)
	v_mad_u32 v8, v2, s29, v17
; %bb.44:                               ;   in Loop: Header=BB71_41 Depth=2
	s_or_b32 exec_lo, exec_lo, s27
	s_delay_alu instid0(SALU_CYCLE_1)
	s_and_b32 vcc_lo, exec_lo, s26
	s_cbranch_vccz .LBB71_49
.LBB71_45:                              ;   in Loop: Header=BB71_41 Depth=2
                                        ; implicit-def: $vgpr8
	s_and_saveexec_b32 s26, s1
; %bb.46:                               ;   in Loop: Header=BB71_41 Depth=2
	s_delay_alu instid0(VALU_DEP_1)
	v_add_nc_u32_e32 v8, v1, v7
	s_or_b32 s24, s24, exec_lo
; %bb.47:                               ;   in Loop: Header=BB71_41 Depth=2
	s_or_b32 exec_lo, exec_lo, s26
	v_mov_b64_e32 v[2:3], 0
	v_mov_b64_e32 v[4:5], 0
	s_and_saveexec_b32 s26, s24
	s_cbranch_execz .LBB71_40
	s_branch .LBB71_50
.LBB71_48:                              ;   in Loop: Header=BB71_41 Depth=2
	s_mov_b32 s24, 0
                                        ; implicit-def: $vgpr8
	s_cbranch_execnz .LBB71_45
.LBB71_49:                              ;   in Loop: Header=BB71_41 Depth=2
	v_mov_b64_e32 v[2:3], 0
	v_mov_b64_e32 v[4:5], 0
	s_and_saveexec_b32 s26, s24
	s_cbranch_execz .LBB71_40
.LBB71_50:                              ;   in Loop: Header=BB71_41 Depth=2
	global_load_b128 v[2:5], v8, s[18:19] scale_offset
	s_branch .LBB71_40
.LBB71_51:                              ;   in Loop: Header=BB71_10 Depth=1
	s_or_b32 exec_lo, exec_lo, s22
	s_cmp_lt_i32 s25, 2
	s_cbranch_scc1 .LBB71_67
; %bb.52:                               ;   in Loop: Header=BB71_10 Depth=1
	s_add_co_i32 s3, s25, -2
	s_mov_b32 s22, 0
	s_branch .LBB71_54
.LBB71_53:                              ;   in Loop: Header=BB71_54 Depth=2
	s_or_b32 exec_lo, exec_lo, s23
	s_add_co_i32 s23, s22, 1
	s_cmp_eq_u32 s22, s3
	s_mov_b32 s22, s23
	s_cbranch_scc1 .LBB71_67
.LBB71_54:                              ;   Parent Loop BB71_10 Depth=1
                                        ; =>  This Loop Header: Depth=2
                                        ;       Child Loop BB71_56 Depth 3
	s_and_saveexec_b32 s23, s0
	s_cbranch_execz .LBB71_53
; %bb.55:                               ;   in Loop: Header=BB71_54 Depth=2
	s_lshl_b32 s24, s22, 2
	s_delay_alu instid0(SALU_CYCLE_1)
	v_dual_mov_b32 v34, v16 :: v_dual_mov_b32 v1, s24
	s_mov_b32 s24, 0
	ds_load_2addr_stride64_b32 v[2:3], v1 offset0:68 offset1:69
	s_wait_dscnt 0x0
	v_dual_add_nc_u32 v1, v3, v24 :: v_dual_add_nc_u32 v32, v16, v2
	v_dual_add_nc_u32 v31, v17, v3 :: v_dual_add_nc_u32 v33, v26, v2
.LBB71_56:                              ;   Parent Loop BB71_10 Depth=1
                                        ;     Parent Loop BB71_54 Depth=2
                                        ; =>    This Inner Loop Header: Depth=3
	v_mov_b64_e32 v[10:11], 0
	v_mov_b64_e32 v[12:13], 0
	s_delay_alu instid0(VALU_DEP_3)
	v_dual_mov_b32 v35, v32 :: v_dual_mov_b32 v36, v31
	s_mov_b32 s25, 0
	s_and_b32 vcc_lo, exec_lo, s33
	s_cbranch_vccnz .LBB71_59
	s_branch .LBB71_58
.LBB71_57:                              ;   in Loop: Header=BB71_56 Depth=3
	s_delay_alu instid0(VALU_DEP_2) | instskip(NEXT) | instid1(VALU_DEP_3)
	v_mov_b64_e32 v[10:11], v[2:3]
	v_mov_b64_e32 v[12:13], v[14:15]
	s_and_b32 vcc_lo, exec_lo, s33
	s_cbranch_vccnz .LBB71_59
.LBB71_58:                              ;   in Loop: Header=BB71_56 Depth=3
                                        ; implicit-def: $vgpr2_vgpr3
                                        ; implicit-def: $vgpr14_vgpr15
	s_cbranch_execz .LBB71_65
	s_branch .LBB71_62
.LBB71_59:                              ;   in Loop: Header=BB71_56 Depth=3
	global_load_b128 v[2:5], v35, s[18:19] scale_offset
	v_mov_b64_e32 v[6:7], 0
	v_mov_b64_e32 v[8:9], 0
	s_wait_xcnt 0x0
	s_and_saveexec_b32 s26, s1
	s_cbranch_execz .LBB71_61
; %bb.60:                               ;   in Loop: Header=BB71_56 Depth=3
	global_load_b128 v[6:9], v36, s[18:19] scale_offset
.LBB71_61:                              ;   in Loop: Header=BB71_56 Depth=3
	s_wait_xcnt 0x0
	s_or_b32 exec_lo, exec_lo, s26
	s_wait_loadcnt 0x0
	v_fma_f64 v[14:15], v[2:3], v[6:7], v[12:13]
	v_fma_f64 v[6:7], v[4:5], v[6:7], v[10:11]
	s_delay_alu instid0(VALU_DEP_2) | instskip(NEXT) | instid1(VALU_DEP_2)
	v_fmac_f64_e32 v[14:15], v[4:5], v[8:9]
	v_fma_f64 v[2:3], v[2:3], -v[8:9], v[6:7]
	s_branch .LBB71_65
.LBB71_62:                              ;   in Loop: Header=BB71_56 Depth=3
	v_add_nc_u32_e32 v2, s25, v33
	v_mov_b64_e32 v[6:7], 0
	v_mov_b64_e32 v[8:9], 0
	global_load_b128 v[2:5], v2, s[18:19] scale_offset
	s_wait_xcnt 0x0
	s_and_saveexec_b32 s26, s1
	s_cbranch_execz .LBB71_64
; %bb.63:                               ;   in Loop: Header=BB71_56 Depth=3
	v_add_nc_u32_e32 v6, s25, v1
	global_load_b128 v[6:9], v6, s[18:19] scale_offset
.LBB71_64:                              ;   in Loop: Header=BB71_56 Depth=3
	s_wait_xcnt 0x0
	s_or_b32 exec_lo, exec_lo, s26
	s_wait_loadcnt 0x0
	v_fmac_f64_e32 v[12:13], v[2:3], v[6:7]
	v_fmac_f64_e32 v[10:11], v[4:5], v[6:7]
	s_delay_alu instid0(VALU_DEP_2) | instskip(NEXT) | instid1(VALU_DEP_2)
	v_fmac_f64_e32 v[12:13], v[4:5], v[8:9]
	v_fma_f64 v[2:3], v[2:3], -v[8:9], v[10:11]
	s_delay_alu instid0(VALU_DEP_2)
	v_mov_b64_e32 v[14:15], v[12:13]
.LBB71_65:                              ;   in Loop: Header=BB71_56 Depth=3
	v_dual_add_nc_u32 v36, s29, v36 :: v_dual_add_nc_u32 v35, s29, v35
	s_add_co_i32 s25, s25, 1
	s_delay_alu instid0(SALU_CYCLE_1)
	s_cmp_eq_u32 s29, s25
	s_cbranch_scc0 .LBB71_57
; %bb.66:                               ;   in Loop: Header=BB71_56 Depth=3
	v_lshl_add_u32 v8, v34, 4, v23
	v_dual_add_nc_u32 v33, s36, v33 :: v_dual_add_nc_u32 v34, 4, v34
	v_add_nc_u32_e32 v32, 4, v32
	ds_load_b128 v[4:7], v8
	v_cmp_le_i32_e32 vcc_lo, s29, v34
	s_or_b32 s24, vcc_lo, s24
	s_wait_dscnt 0x0
	v_add_f64_e32 v[4:5], v[14:15], v[4:5]
	v_add_f64_e32 v[6:7], v[2:3], v[6:7]
	ds_store_b128 v8, v[4:7]
	s_and_not1_b32 exec_lo, exec_lo, s24
	s_cbranch_execnz .LBB71_56
	s_branch .LBB71_53
.LBB71_67:                              ;   in Loop: Header=BB71_10 Depth=1
	s_and_not1_b32 vcc_lo, exec_lo, s34
	s_wait_loadcnt_dscnt 0x0
	s_cbranch_vccnz .LBB71_79
; %bb.68:                               ;   in Loop: Header=BB71_10 Depth=1
	v_mov_b32_e32 v1, v28
	s_mov_b32 s22, 0
	s_mov_b32 s23, 0
	s_branch .LBB71_70
.LBB71_69:                              ;   in Loop: Header=BB71_70 Depth=2
	s_or_b32 exec_lo, exec_lo, s3
	v_add_nc_u32_e32 v1, 16, v1
	s_add_co_i32 s23, s23, 1
	s_addk_co_i32 s22, 0x110
	s_cmp_eq_u32 s23, s29
	s_wait_dscnt 0x0
	s_cbranch_scc1 .LBB71_79
.LBB71_70:                              ;   Parent Loop BB71_10 Depth=1
                                        ; =>  This Loop Header: Depth=2
                                        ;       Child Loop BB71_75 Depth 3
                                        ;       Child Loop BB71_78 Depth 3
	s_lshl_b32 s24, s23, 4
	s_mul_i32 s3, s23, 0x110
	v_add_nc_u32_e32 v14, s24, v21
	s_add_co_i32 s3, s3, s24
	s_delay_alu instid0(SALU_CYCLE_1)
	v_mov_b32_e32 v2, s3
	ds_load_b128 v[6:9], v2
	ds_load_b128 v[2:5], v14
	s_wait_dscnt 0x1
	v_cmp_neq_f64_e32 vcc_lo, 0, v[6:7]
	v_cmp_neq_f64_e64 s3, 0, v[8:9]
	s_or_b32 vcc_lo, vcc_lo, s3
	v_cndmask_b32_e32 v11, 0x3ff00000, v7, vcc_lo
	v_dual_cndmask_b32 v10, 0, v6 :: v_dual_cndmask_b32 v13, 0, v9
	v_cndmask_b32_e32 v12, 0, v8, vcc_lo
	s_nor_b32 s24, vcc_lo, s2
	s_delay_alu instid0(SALU_CYCLE_1)
	s_and_saveexec_b32 s3, s24
	s_cbranch_execz .LBB71_74
; %bb.71:                               ;   in Loop: Header=BB71_70 Depth=2
	v_mbcnt_lo_u32_b32 v6, exec_lo, 0
	s_mov_b32 s24, exec_lo
	s_delay_alu instid0(VALU_DEP_1)
	v_cmpx_eq_u32_e32 0, v6
	s_cbranch_execz .LBB71_73
; %bb.72:                               ;   in Loop: Header=BB71_70 Depth=2
	v_mov_b32_e32 v6, s37
	global_atomic_min_i32 v0, v6, s[10:11] scope:SCOPE_DEV
.LBB71_73:                              ;   in Loop: Header=BB71_70 Depth=2
	s_wait_xcnt 0x0
	s_or_b32 exec_lo, exec_lo, s24
	v_mov_b64_e32 v[12:13], 0
	v_mov_b64_e32 v[10:11], 1.0
.LBB71_74:                              ;   in Loop: Header=BB71_70 Depth=2
	s_or_b32 exec_lo, exec_lo, s3
	v_lshl_add_u32 v6, s23, 4, v23
	v_mov_b32_e32 v15, v21
	s_cmp_eq_u32 s23, 0
	s_mov_b32 s3, s22
	s_mov_b32 s24, s23
	ds_load_b128 v[6:9], v6
	s_cbranch_scc1 .LBB71_76
.LBB71_75:                              ;   Parent Loop BB71_10 Depth=1
                                        ;     Parent Loop BB71_70 Depth=2
                                        ; =>    This Inner Loop Header: Depth=3
	v_mov_b32_e32 v31, s3
	s_add_co_i32 s24, s24, -1
	s_add_co_i32 s3, s3, 16
	s_cmp_eq_u32 s24, 0
	ds_load_b128 v[32:35], v15
	ds_load_b128 v[36:39], v31
	v_add_nc_u32_e32 v15, 16, v15
	s_wait_dscnt 0x0
	v_fmac_f64_e32 v[6:7], v[36:37], v[32:33]
	v_fmac_f64_e32 v[8:9], v[38:39], v[32:33]
	s_delay_alu instid0(VALU_DEP_2) | instskip(NEXT) | instid1(VALU_DEP_2)
	v_fmac_f64_e32 v[6:7], v[38:39], v[34:35]
	v_fma_f64 v[8:9], v[36:37], -v[34:35], v[8:9]
	s_cbranch_scc0 .LBB71_75
.LBB71_76:                              ;   in Loop: Header=BB71_70 Depth=2
	v_mul_f64_e32 v[32:33], v[12:13], v[12:13]
	s_wait_dscnt 0x0
	s_delay_alu instid0(VALU_DEP_2) | instskip(NEXT) | instid1(VALU_DEP_4)
	v_add_f64_e64 v[4:5], v[4:5], -v[8:9]
	v_add_f64_e64 v[2:3], v[2:3], -v[6:7]
	s_delay_alu instid0(VALU_DEP_3) | instskip(NEXT) | instid1(VALU_DEP_3)
	v_fmac_f64_e32 v[32:33], v[10:11], v[10:11]
	v_mul_f64_e32 v[6:7], v[12:13], v[4:5]
	s_delay_alu instid0(VALU_DEP_3) | instskip(NEXT) | instid1(VALU_DEP_3)
	v_mul_f64_e64 v[12:13], v[12:13], -v[2:3]
	v_div_scale_f64 v[34:35], null, v[32:33], v[32:33], 1.0
	v_div_scale_f64 v[40:41], vcc_lo, 1.0, v[32:33], 1.0
	s_delay_alu instid0(VALU_DEP_4) | instskip(NEXT) | instid1(VALU_DEP_4)
	v_fmac_f64_e32 v[6:7], v[2:3], v[10:11]
	v_fmac_f64_e32 v[12:13], v[4:5], v[10:11]
	s_delay_alu instid0(VALU_DEP_4) | instskip(SKIP_1) | instid1(TRANS32_DEP_1)
	v_rcp_f64_e32 v[36:37], v[34:35]
	v_nop
	v_fma_f64 v[38:39], -v[34:35], v[36:37], 1.0
	s_delay_alu instid0(VALU_DEP_1) | instskip(NEXT) | instid1(VALU_DEP_1)
	v_fmac_f64_e32 v[36:37], v[36:37], v[38:39]
	v_fma_f64 v[38:39], -v[34:35], v[36:37], 1.0
	s_delay_alu instid0(VALU_DEP_1) | instskip(NEXT) | instid1(VALU_DEP_1)
	v_fmac_f64_e32 v[36:37], v[36:37], v[38:39]
	v_mul_f64_e32 v[38:39], v[40:41], v[36:37]
	s_delay_alu instid0(VALU_DEP_1) | instskip(NEXT) | instid1(VALU_DEP_1)
	v_fma_f64 v[8:9], -v[34:35], v[38:39], v[40:41]
	v_div_fmas_f64 v[8:9], v[8:9], v[36:37], v[38:39]
	s_delay_alu instid0(VALU_DEP_1) | instskip(NEXT) | instid1(VALU_DEP_1)
	v_div_fixup_f64 v[8:9], v[8:9], v[32:33], 1.0
	v_mul_f64_e32 v[2:3], v[8:9], v[6:7]
	v_mul_f64_e32 v[4:5], v[8:9], v[12:13]
	ds_store_b128 v14, v[2:5]
	s_wait_storecnt_dscnt 0x0
	s_and_saveexec_b32 s3, s0
	s_cbranch_execz .LBB71_69
; %bb.77:                               ;   in Loop: Header=BB71_70 Depth=2
	v_dual_mov_b32 v6, v1 :: v_dual_mov_b32 v7, v27
	v_mov_b32_e32 v8, v16
	s_mov_b32 s24, 0
.LBB71_78:                              ;   Parent Loop BB71_10 Depth=1
                                        ;     Parent Loop BB71_70 Depth=2
                                        ; =>    This Inner Loop Header: Depth=3
	ds_load_b128 v[10:13], v6
	ds_load_b128 v[32:35], v7
	v_add_nc_u32_e32 v8, 4, v8
	v_add_nc_u32_e32 v6, 0x440, v6
	s_delay_alu instid0(VALU_DEP_2) | instskip(SKIP_4) | instid1(VALU_DEP_2)
	v_cmp_le_i32_e32 vcc_lo, s29, v8
	s_or_b32 s24, vcc_lo, s24
	s_wait_dscnt 0x0
	v_fmac_f64_e32 v[32:33], v[2:3], v[10:11]
	v_fmac_f64_e32 v[34:35], v[4:5], v[10:11]
	;; [unrolled: 1-line block ×3, first 2 shown]
	s_delay_alu instid0(VALU_DEP_2)
	v_fma_f64 v[34:35], v[2:3], -v[12:13], v[34:35]
	ds_store_b128 v7, v[32:35]
	v_add_nc_u32_e32 v7, 64, v7
	s_and_not1_b32 exec_lo, exec_lo, s24
	s_cbranch_execnz .LBB71_78
	s_branch .LBB71_69
.LBB71_79:                              ;   in Loop: Header=BB71_10 Depth=1
	s_and_saveexec_b32 s3, s0
	s_cbranch_execz .LBB71_9
; %bb.80:                               ;   in Loop: Header=BB71_10 Depth=1
	v_dual_mov_b32 v1, v30 :: v_dual_mov_b32 v2, v16
	s_mov_b32 s22, 0
	s_branch .LBB71_84
.LBB71_81:                              ;   in Loop: Header=BB71_84 Depth=2
	v_add_nc_u32_e32 v3, v29, v2
.LBB71_82:                              ;   in Loop: Header=BB71_84 Depth=2
	ds_load_2addr_b64 v[4:7], v1 offset1:1
	s_wait_dscnt 0x0
	global_store_b128 v3, v[4:7], s[18:19] scale_offset
.LBB71_83:                              ;   in Loop: Header=BB71_84 Depth=2
	s_wait_xcnt 0x0
	s_or_b32 exec_lo, exec_lo, s23
	v_dual_add_nc_u32 v2, 4, v2 :: v_dual_add_nc_u32 v1, 64, v1
	s_delay_alu instid0(VALU_DEP_1) | instskip(SKIP_1) | instid1(SALU_CYCLE_1)
	v_cmp_le_i32_e32 vcc_lo, s29, v2
	s_or_b32 s22, vcc_lo, s22
	s_and_not1_b32 exec_lo, exec_lo, s22
	s_cbranch_execz .LBB71_9
.LBB71_84:                              ;   Parent Loop BB71_10 Depth=1
                                        ; =>  This Inner Loop Header: Depth=2
	s_and_saveexec_b32 s23, s1
	s_cbranch_execz .LBB71_83
; %bb.85:                               ;   in Loop: Header=BB71_84 Depth=2
	s_and_b32 vcc_lo, exec_lo, s33
	s_cbranch_vccz .LBB71_87
; %bb.86:                               ;   in Loop: Header=BB71_84 Depth=2
	v_add_nc_u32_e32 v3, s21, v2
	s_delay_alu instid0(VALU_DEP_1)
	v_mad_u32 v3, v3, s29, v17
	s_cbranch_execnz .LBB71_82
	s_branch .LBB71_81
.LBB71_87:                              ;   in Loop: Header=BB71_84 Depth=2
                                        ; implicit-def: $vgpr3
	s_branch .LBB71_81
.LBB71_88:                              ;   in Loop: Header=BB71_10 Depth=1
                                        ; implicit-def: $sgpr20
                                        ; implicit-def: $vgpr29
	s_cbranch_execz .LBB71_10
.LBB71_89:
	v_cmp_gt_i32_e64 s0, s29, v16
	s_and_saveexec_b32 s2, s0
	s_cbranch_execz .LBB71_102
; %bb.90:
	s_mul_i32 s3, s28, s29
	v_cmp_gt_i32_e64 s1, s29, v17
	v_dual_add_nc_u32 v0, s3, v17 :: v_dual_mov_b32 v6, v16
	v_add3_u32 v5, v18, v19, 0x2200
	s_cmp_lg_u32 s30, 0
	s_mov_b32 s4, 0
	s_delay_alu instid0(VALU_DEP_2)
	v_mul_lo_u32 v4, v0, s29
	s_cselect_b32 s5, -1, 0
	s_branch .LBB71_92
.LBB71_91:                              ;   in Loop: Header=BB71_92 Depth=1
	s_wait_xcnt 0x0
	s_or_b32 exec_lo, exec_lo, s13
	v_add_nc_u32_e32 v6, 4, v6
	s_wait_loadcnt 0x0
	ds_store_b128 v5, v[0:3]
	v_add_nc_u32_e32 v5, 64, v5
	v_cmp_le_i32_e32 vcc_lo, s29, v6
	s_or_b32 s4, vcc_lo, s4
	s_delay_alu instid0(SALU_CYCLE_1)
	s_and_not1_b32 exec_lo, exec_lo, s4
	s_cbranch_execz .LBB71_102
.LBB71_92:                              ; =>This Inner Loop Header: Depth=1
	s_and_b32 vcc_lo, exec_lo, s5
	s_cbranch_vccz .LBB71_99
; %bb.93:                               ;   in Loop: Header=BB71_92 Depth=1
	s_mov_b32 s13, 0
	s_mov_b32 s12, 0
                                        ; implicit-def: $vgpr7
	s_and_saveexec_b32 s14, s1
	s_delay_alu instid0(SALU_CYCLE_1)
	s_xor_b32 s14, exec_lo, s14
; %bb.94:                               ;   in Loop: Header=BB71_92 Depth=1
	v_add_nc_u32_e32 v0, s3, v6
	s_mov_b32 s12, exec_lo
	s_delay_alu instid0(VALU_DEP_1)
	v_mad_u32 v7, v0, s29, v17
; %bb.95:                               ;   in Loop: Header=BB71_92 Depth=1
	s_or_b32 exec_lo, exec_lo, s14
	s_delay_alu instid0(SALU_CYCLE_1)
	s_and_b32 vcc_lo, exec_lo, s13
	s_cbranch_vccz .LBB71_100
.LBB71_96:                              ;   in Loop: Header=BB71_92 Depth=1
                                        ; implicit-def: $vgpr7
	s_and_saveexec_b32 s13, s1
; %bb.97:                               ;   in Loop: Header=BB71_92 Depth=1
	s_delay_alu instid0(VALU_DEP_1)
	v_add_nc_u32_e32 v7, v4, v6
	s_or_b32 s12, s12, exec_lo
; %bb.98:                               ;   in Loop: Header=BB71_92 Depth=1
	s_or_b32 exec_lo, exec_lo, s13
	v_mov_b64_e32 v[0:1], 0
	v_mov_b64_e32 v[2:3], 0
	s_and_saveexec_b32 s13, s12
	s_cbranch_execz .LBB71_91
	s_branch .LBB71_101
.LBB71_99:                              ;   in Loop: Header=BB71_92 Depth=1
	s_mov_b32 s12, 0
                                        ; implicit-def: $vgpr7
	s_cbranch_execnz .LBB71_96
.LBB71_100:                             ;   in Loop: Header=BB71_92 Depth=1
	v_mov_b64_e32 v[0:1], 0
	v_mov_b64_e32 v[2:3], 0
	s_and_saveexec_b32 s13, s12
	s_cbranch_execz .LBB71_91
.LBB71_101:                             ;   in Loop: Header=BB71_92 Depth=1
	global_load_b128 v[0:3], v7, s[18:19] scale_offset
	s_branch .LBB71_91
.LBB71_102:
	s_or_b32 exec_lo, exec_lo, s2
	s_cmp_lt_i32 s29, 1
	s_wait_loadcnt_dscnt 0x0
	s_cbranch_scc1 .LBB71_121
; %bb.103:
	s_movk_i32 s2, 0x110
	s_movk_i32 s1, 0x3300
	v_mad_u32_u24 v10, v17, s2, 0x2200
	v_or_b32_e32 v0, v16, v17
	v_mad_u32_u24 v11, 0x110, v17, s1
	v_add3_u32 v14, v18, v19, 0x3300
	v_mad_u32_u24 v15, v16, s2, 0x2200
	v_add_nc_u32_e32 v12, v10, v20
	v_cmp_ne_u32_e64 s1, 0, v0
	v_dual_mov_b32 v2, 0 :: v_dual_add_nc_u32 v13, v11, v20
	s_mov_b32 s3, 0
	s_add_co_i32 s4, s16, s17
	s_branch .LBB71_105
.LBB71_104:                             ;   in Loop: Header=BB71_105 Depth=1
	s_or_b32 exec_lo, exec_lo, s2
	v_add_nc_u32_e32 v15, 16, v15
	s_add_co_i32 s3, s3, 1
	s_wait_storecnt_dscnt 0x0
	s_cmp_eq_u32 s3, s29
	s_cbranch_scc1 .LBB71_121
.LBB71_105:                             ; =>This Loop Header: Depth=1
                                        ;     Child Loop BB71_120 Depth 2
	s_mov_b32 s2, exec_lo
	v_cmpx_eq_u32_e64 s3, v17
	s_cbranch_execz .LBB71_113
; %bb.106:                              ;   in Loop: Header=BB71_105 Depth=1
	ds_load_b128 v[4:7], v13
	ds_load_b128 v[20:23], v12
	s_mov_b32 s5, exec_lo
	s_wait_dscnt 0x0
	v_add_f64_e64 v[0:1], v[20:21], -v[4:5]
	v_add_f64_e64 v[8:9], v[22:23], -v[6:7]
                                        ; implicit-def: $vgpr6_vgpr7
	s_delay_alu instid0(VALU_DEP_2) | instskip(SKIP_1) | instid1(VALU_DEP_3)
	v_cmp_gt_f64_e32 vcc_lo, 0, v[0:1]
	v_xor_b32_e32 v3, 0x80000000, v1
	v_xor_b32_e32 v4, 0x80000000, v9
	s_delay_alu instid0(VALU_DEP_2) | instskip(SKIP_1) | instid1(VALU_DEP_3)
	v_cndmask_b32_e32 v1, v1, v3, vcc_lo
	v_cmp_gt_f64_e32 vcc_lo, 0, v[8:9]
	v_dual_cndmask_b32 v5, v9, v4 :: v_dual_mov_b32 v4, v8
	s_delay_alu instid0(VALU_DEP_1)
	v_cmpx_ngt_f64_e32 v[0:1], v[4:5]
	s_xor_b32 s5, exec_lo, s5
	s_cbranch_execz .LBB71_110
; %bb.107:                              ;   in Loop: Header=BB71_105 Depth=1
	v_mov_b64_e32 v[6:7], 0
	s_mov_b32 s12, exec_lo
	v_cmpx_neq_f64_e32 0, v[8:9]
	s_cbranch_execz .LBB71_109
; %bb.108:                              ;   in Loop: Header=BB71_105 Depth=1
	v_div_scale_f64 v[6:7], null, v[4:5], v[4:5], v[0:1]
	v_div_scale_f64 v[22:23], vcc_lo, v[0:1], v[4:5], v[0:1]
	s_delay_alu instid0(VALU_DEP_2) | instskip(SKIP_1) | instid1(TRANS32_DEP_1)
	v_rcp_f64_e32 v[8:9], v[6:7]
	v_nop
	v_fma_f64 v[20:21], -v[6:7], v[8:9], 1.0
	s_delay_alu instid0(VALU_DEP_1) | instskip(NEXT) | instid1(VALU_DEP_1)
	v_fmac_f64_e32 v[8:9], v[8:9], v[20:21]
	v_fma_f64 v[20:21], -v[6:7], v[8:9], 1.0
	s_delay_alu instid0(VALU_DEP_1) | instskip(NEXT) | instid1(VALU_DEP_1)
	v_fmac_f64_e32 v[8:9], v[8:9], v[20:21]
	v_mul_f64_e32 v[20:21], v[22:23], v[8:9]
	s_delay_alu instid0(VALU_DEP_1) | instskip(NEXT) | instid1(VALU_DEP_1)
	v_fma_f64 v[6:7], -v[6:7], v[20:21], v[22:23]
	v_div_fmas_f64 v[6:7], v[6:7], v[8:9], v[20:21]
	s_delay_alu instid0(VALU_DEP_1) | instskip(NEXT) | instid1(VALU_DEP_1)
	v_div_fixup_f64 v[0:1], v[6:7], v[4:5], v[0:1]
	v_fma_f64 v[0:1], v[0:1], v[0:1], 1.0
	s_delay_alu instid0(VALU_DEP_1) | instskip(SKIP_1) | instid1(VALU_DEP_1)
	v_cmp_gt_f64_e32 vcc_lo, 0x10000000, v[0:1]
	v_cndmask_b32_e64 v3, 0, 0x100, vcc_lo
	v_ldexp_f64 v[0:1], v[0:1], v3
	v_cndmask_b32_e64 v3, 0, 0xffffff80, vcc_lo
	s_delay_alu instid0(VALU_DEP_2) | instskip(SKIP_1) | instid1(TRANS32_DEP_1)
	v_rsq_f64_e32 v[6:7], v[0:1]
	v_cmp_class_f64_e64 vcc_lo, v[0:1], 0x260
	v_mul_f64_e32 v[8:9], v[0:1], v[6:7]
	v_mul_f64_e32 v[6:7], 0.5, v[6:7]
	s_delay_alu instid0(VALU_DEP_1) | instskip(NEXT) | instid1(VALU_DEP_1)
	v_fma_f64 v[20:21], -v[6:7], v[8:9], 0.5
	v_fmac_f64_e32 v[8:9], v[8:9], v[20:21]
	v_fmac_f64_e32 v[6:7], v[6:7], v[20:21]
	s_delay_alu instid0(VALU_DEP_2) | instskip(NEXT) | instid1(VALU_DEP_1)
	v_fma_f64 v[20:21], -v[8:9], v[8:9], v[0:1]
	v_fmac_f64_e32 v[8:9], v[20:21], v[6:7]
	s_delay_alu instid0(VALU_DEP_1) | instskip(NEXT) | instid1(VALU_DEP_1)
	v_fma_f64 v[20:21], -v[8:9], v[8:9], v[0:1]
	v_fmac_f64_e32 v[8:9], v[20:21], v[6:7]
	s_delay_alu instid0(VALU_DEP_1) | instskip(NEXT) | instid1(VALU_DEP_1)
	v_ldexp_f64 v[6:7], v[8:9], v3
	v_dual_cndmask_b32 v1, v7, v1 :: v_dual_cndmask_b32 v0, v6, v0
	s_delay_alu instid0(VALU_DEP_1)
	v_mul_f64_e32 v[6:7], v[4:5], v[0:1]
.LBB71_109:                             ;   in Loop: Header=BB71_105 Depth=1
	s_or_b32 exec_lo, exec_lo, s12
                                        ; implicit-def: $vgpr0_vgpr1
                                        ; implicit-def: $vgpr4_vgpr5
.LBB71_110:                             ;   in Loop: Header=BB71_105 Depth=1
	s_and_not1_saveexec_b32 s5, s5
	s_cbranch_execz .LBB71_112
; %bb.111:                              ;   in Loop: Header=BB71_105 Depth=1
	v_div_scale_f64 v[6:7], null, v[0:1], v[0:1], v[4:5]
	v_div_scale_f64 v[22:23], vcc_lo, v[4:5], v[0:1], v[4:5]
	s_delay_alu instid0(VALU_DEP_2) | instskip(SKIP_1) | instid1(TRANS32_DEP_1)
	v_rcp_f64_e32 v[8:9], v[6:7]
	v_nop
	v_fma_f64 v[20:21], -v[6:7], v[8:9], 1.0
	s_delay_alu instid0(VALU_DEP_1) | instskip(NEXT) | instid1(VALU_DEP_1)
	v_fmac_f64_e32 v[8:9], v[8:9], v[20:21]
	v_fma_f64 v[20:21], -v[6:7], v[8:9], 1.0
	s_delay_alu instid0(VALU_DEP_1) | instskip(NEXT) | instid1(VALU_DEP_1)
	v_fmac_f64_e32 v[8:9], v[8:9], v[20:21]
	v_mul_f64_e32 v[20:21], v[22:23], v[8:9]
	s_delay_alu instid0(VALU_DEP_1) | instskip(NEXT) | instid1(VALU_DEP_1)
	v_fma_f64 v[6:7], -v[6:7], v[20:21], v[22:23]
	v_div_fmas_f64 v[6:7], v[6:7], v[8:9], v[20:21]
	s_delay_alu instid0(VALU_DEP_1) | instskip(NEXT) | instid1(VALU_DEP_1)
	v_div_fixup_f64 v[4:5], v[6:7], v[0:1], v[4:5]
	v_fma_f64 v[4:5], v[4:5], v[4:5], 1.0
	s_delay_alu instid0(VALU_DEP_1) | instskip(SKIP_1) | instid1(VALU_DEP_1)
	v_cmp_gt_f64_e32 vcc_lo, 0x10000000, v[4:5]
	v_cndmask_b32_e64 v3, 0, 0x100, vcc_lo
	v_ldexp_f64 v[4:5], v[4:5], v3
	v_cndmask_b32_e64 v3, 0, 0xffffff80, vcc_lo
	s_delay_alu instid0(VALU_DEP_2) | instskip(SKIP_1) | instid1(TRANS32_DEP_1)
	v_rsq_f64_e32 v[6:7], v[4:5]
	v_cmp_class_f64_e64 vcc_lo, v[4:5], 0x260
	v_mul_f64_e32 v[8:9], v[4:5], v[6:7]
	v_mul_f64_e32 v[6:7], 0.5, v[6:7]
	s_delay_alu instid0(VALU_DEP_1) | instskip(NEXT) | instid1(VALU_DEP_1)
	v_fma_f64 v[20:21], -v[6:7], v[8:9], 0.5
	v_fmac_f64_e32 v[8:9], v[8:9], v[20:21]
	v_fmac_f64_e32 v[6:7], v[6:7], v[20:21]
	s_delay_alu instid0(VALU_DEP_2) | instskip(NEXT) | instid1(VALU_DEP_1)
	v_fma_f64 v[20:21], -v[8:9], v[8:9], v[4:5]
	v_fmac_f64_e32 v[8:9], v[20:21], v[6:7]
	s_delay_alu instid0(VALU_DEP_1) | instskip(NEXT) | instid1(VALU_DEP_1)
	v_fma_f64 v[20:21], -v[8:9], v[8:9], v[4:5]
	v_fmac_f64_e32 v[8:9], v[20:21], v[6:7]
	s_delay_alu instid0(VALU_DEP_1) | instskip(NEXT) | instid1(VALU_DEP_1)
	v_ldexp_f64 v[6:7], v[8:9], v3
	v_dual_cndmask_b32 v5, v7, v5 :: v_dual_cndmask_b32 v4, v6, v4
	s_delay_alu instid0(VALU_DEP_1)
	v_mul_f64_e32 v[6:7], v[0:1], v[4:5]
.LBB71_112:                             ;   in Loop: Header=BB71_105 Depth=1
	s_or_b32 exec_lo, exec_lo, s5
	s_delay_alu instid0(VALU_DEP_1) | instskip(SKIP_2) | instid1(VALU_DEP_2)
	v_cmp_gt_f64_e32 vcc_lo, 0x10000000, v[6:7]
	v_cndmask_b32_e64 v0, 0, 0x100, vcc_lo
	v_cndmask_b32_e64 v3, 0, 0xffffff80, vcc_lo
	v_ldexp_f64 v[0:1], v[6:7], v0
	s_delay_alu instid0(VALU_DEP_1) | instskip(SKIP_1) | instid1(TRANS32_DEP_1)
	v_rsq_f64_e32 v[4:5], v[0:1]
	v_cmp_class_f64_e64 vcc_lo, v[0:1], 0x260
	v_mul_f64_e32 v[6:7], v[0:1], v[4:5]
	v_mul_f64_e32 v[4:5], 0.5, v[4:5]
	s_delay_alu instid0(VALU_DEP_1) | instskip(NEXT) | instid1(VALU_DEP_1)
	v_fma_f64 v[8:9], -v[4:5], v[6:7], 0.5
	v_fmac_f64_e32 v[6:7], v[6:7], v[8:9]
	v_fmac_f64_e32 v[4:5], v[4:5], v[8:9]
	s_delay_alu instid0(VALU_DEP_2) | instskip(NEXT) | instid1(VALU_DEP_1)
	v_fma_f64 v[8:9], -v[6:7], v[6:7], v[0:1]
	v_fmac_f64_e32 v[6:7], v[8:9], v[4:5]
	s_delay_alu instid0(VALU_DEP_1) | instskip(NEXT) | instid1(VALU_DEP_1)
	v_fma_f64 v[8:9], -v[6:7], v[6:7], v[0:1]
	v_fmac_f64_e32 v[6:7], v[8:9], v[4:5]
	s_delay_alu instid0(VALU_DEP_1) | instskip(NEXT) | instid1(VALU_DEP_1)
	v_ldexp_f64 v[4:5], v[6:7], v3
	v_dual_mov_b32 v3, v2 :: v_dual_cndmask_b32 v1, v5, v1, vcc_lo
	s_delay_alu instid0(VALU_DEP_2)
	v_cndmask_b32_e32 v0, v4, v0, vcc_lo
	ds_store_b128 v12, v[0:3]
.LBB71_113:                             ;   in Loop: Header=BB71_105 Depth=1
	s_or_b32 exec_lo, exec_lo, s2
	s_lshl_b32 s5, s3, 4
	s_mul_i32 s2, s3, 0x110
	s_wait_dscnt 0x0
	s_add_co_i32 s2, s2, s5
	s_delay_alu instid0(SALU_CYCLE_1)
	v_dual_mov_b32 v0, s2 :: v_dual_add_nc_u32 v3, s5, v10
	ds_load_b128 v[4:7], v3
	ds_load_b128 v[20:23], v0 offset:8704
	s_wait_dscnt 0x0
	v_cmp_neq_f64_e32 vcc_lo, 0, v[20:21]
	v_cmp_neq_f64_e64 s2, 0, v[22:23]
	s_or_b32 vcc_lo, vcc_lo, s2
	v_dual_cndmask_b32 v9, 0, v23 :: v_dual_cndmask_b32 v8, 0, v22
	v_cndmask_b32_e32 v1, 0x3ff00000, v21, vcc_lo
	v_cndmask_b32_e32 v0, 0, v20, vcc_lo
	s_nor_b32 s5, vcc_lo, s1
	s_delay_alu instid0(SALU_CYCLE_1)
	s_and_saveexec_b32 s2, s5
	s_cbranch_execz .LBB71_117
; %bb.114:                              ;   in Loop: Header=BB71_105 Depth=1
	v_mbcnt_lo_u32_b32 v0, exec_lo, 0
	s_mov_b32 s5, exec_lo
	s_delay_alu instid0(VALU_DEP_1)
	v_cmpx_eq_u32_e32 0, v0
	s_cbranch_execz .LBB71_116
; %bb.115:                              ;   in Loop: Header=BB71_105 Depth=1
	v_mov_b32_e32 v0, s4
	global_atomic_min_i32 v2, v0, s[10:11] scope:SCOPE_DEV
.LBB71_116:                             ;   in Loop: Header=BB71_105 Depth=1
	s_wait_xcnt 0x0
	s_or_b32 exec_lo, exec_lo, s5
	v_mov_b64_e32 v[0:1], 1.0
	v_mov_b64_e32 v[8:9], 0
.LBB71_117:                             ;   in Loop: Header=BB71_105 Depth=1
	s_or_b32 exec_lo, exec_lo, s2
	s_delay_alu instid0(SALU_CYCLE_1)
	s_mov_b32 s2, exec_lo
	v_cmpx_lt_u32_e64 s3, v17
	s_cbranch_execz .LBB71_104
; %bb.118:                              ;   in Loop: Header=BB71_105 Depth=1
	s_delay_alu instid0(VALU_DEP_2) | instskip(NEXT) | instid1(VALU_DEP_1)
	v_mul_f64_e32 v[24:25], v[8:9], v[8:9]
	v_fmac_f64_e32 v[24:25], v[0:1], v[0:1]
	s_delay_alu instid0(VALU_DEP_1) | instskip(SKIP_1) | instid1(VALU_DEP_2)
	v_div_scale_f64 v[26:27], null, v[24:25], v[24:25], 1.0
	v_div_scale_f64 v[30:31], vcc_lo, 1.0, v[24:25], 1.0
	v_rcp_f64_e32 v[28:29], v[26:27]
	v_nop
	s_delay_alu instid0(TRANS32_DEP_1) | instskip(NEXT) | instid1(VALU_DEP_1)
	v_fma_f64 v[20:21], -v[26:27], v[28:29], 1.0
	v_fmac_f64_e32 v[28:29], v[28:29], v[20:21]
	s_delay_alu instid0(VALU_DEP_1) | instskip(NEXT) | instid1(VALU_DEP_1)
	v_fma_f64 v[20:21], -v[26:27], v[28:29], 1.0
	v_fmac_f64_e32 v[28:29], v[28:29], v[20:21]
	v_lshl_add_u32 v20, s3, 4, v11
	ds_load_b128 v[20:23], v20
	s_wait_dscnt 0x0
	v_add_f64_e64 v[6:7], v[6:7], -v[22:23]
	v_add_f64_e64 v[4:5], v[4:5], -v[20:21]
	v_mul_f64_e32 v[32:33], v[30:31], v[28:29]
	s_delay_alu instid0(VALU_DEP_3) | instskip(NEXT) | instid1(VALU_DEP_3)
	v_mul_f64_e32 v[20:21], v[8:9], v[6:7]
	v_mul_f64_e64 v[8:9], v[8:9], -v[4:5]
	s_delay_alu instid0(VALU_DEP_3) | instskip(NEXT) | instid1(VALU_DEP_3)
	v_fma_f64 v[22:23], -v[26:27], v[32:33], v[30:31]
	v_fmac_f64_e32 v[20:21], v[4:5], v[0:1]
	s_delay_alu instid0(VALU_DEP_3) | instskip(NEXT) | instid1(VALU_DEP_3)
	v_fmac_f64_e32 v[8:9], v[6:7], v[0:1]
	v_div_fmas_f64 v[22:23], v[22:23], v[28:29], v[32:33]
	s_delay_alu instid0(VALU_DEP_1) | instskip(NEXT) | instid1(VALU_DEP_1)
	v_div_fixup_f64 v[22:23], v[22:23], v[24:25], 1.0
	v_mul_f64_e32 v[4:5], v[22:23], v[20:21]
	s_delay_alu instid0(VALU_DEP_4)
	v_mul_f64_e32 v[6:7], v[22:23], v[8:9]
	ds_store_b128 v3, v[4:7]
	s_wait_storecnt_dscnt 0x0
	s_and_b32 exec_lo, exec_lo, s0
	s_cbranch_execz .LBB71_104
; %bb.119:                              ;   in Loop: Header=BB71_105 Depth=1
	v_dual_mov_b32 v0, v15 :: v_dual_mov_b32 v1, v14
	v_mov_b32_e32 v3, v16
	s_mov_b32 s5, 0
.LBB71_120:                             ;   Parent Loop BB71_105 Depth=1
                                        ; =>  This Inner Loop Header: Depth=2
	ds_load_b128 v[20:23], v0
	ds_load_b128 v[24:27], v1
	v_add_nc_u32_e32 v3, 4, v3
	v_add_nc_u32_e32 v0, 0x440, v0
	s_delay_alu instid0(VALU_DEP_2) | instskip(SKIP_4) | instid1(VALU_DEP_2)
	v_cmp_le_i32_e32 vcc_lo, s29, v3
	s_or_b32 s5, vcc_lo, s5
	s_wait_dscnt 0x0
	v_fmac_f64_e32 v[24:25], v[4:5], v[20:21]
	v_fmac_f64_e32 v[26:27], v[6:7], v[20:21]
	;; [unrolled: 1-line block ×3, first 2 shown]
	s_delay_alu instid0(VALU_DEP_2)
	v_fma_f64 v[26:27], v[4:5], -v[22:23], v[26:27]
	ds_store_b128 v1, v[24:27]
	v_add_nc_u32_e32 v1, 64, v1
	s_and_not1_b32 exec_lo, exec_lo, s5
	s_cbranch_execnz .LBB71_120
	s_branch .LBB71_104
.LBB71_121:
	s_and_saveexec_b32 s1, s0
	s_cbranch_execz .LBB71_130
; %bb.122:
	s_mul_i32 s28, s28, s29
	v_cmp_gt_i32_e64 s0, s29, v17
	v_dual_add_nc_u32 v0, s28, v17 :: v_dual_mov_b32 v2, v16
	v_add3_u32 v1, v18, v19, 0x2200
	s_cmp_lg_u32 s30, 0
	s_mov_b32 s2, 0
	s_delay_alu instid0(VALU_DEP_2)
	v_mul_lo_u32 v0, v0, s29
	s_cselect_b32 s3, -1, 0
	s_branch .LBB71_126
.LBB71_123:                             ;   in Loop: Header=BB71_126 Depth=1
	s_delay_alu instid0(VALU_DEP_1)
	v_add_nc_u32_e32 v3, v0, v2
.LBB71_124:                             ;   in Loop: Header=BB71_126 Depth=1
	ds_load_2addr_b64 v[4:7], v1 offset1:1
	s_wait_dscnt 0x0
	global_store_b128 v3, v[4:7], s[18:19] scale_offset
.LBB71_125:                             ;   in Loop: Header=BB71_126 Depth=1
	s_wait_xcnt 0x0
	s_or_b32 exec_lo, exec_lo, s4
	v_dual_add_nc_u32 v2, 4, v2 :: v_dual_add_nc_u32 v1, 64, v1
	s_delay_alu instid0(VALU_DEP_1) | instskip(SKIP_1) | instid1(SALU_CYCLE_1)
	v_cmp_le_i32_e32 vcc_lo, s29, v2
	s_or_b32 s2, vcc_lo, s2
	s_and_not1_b32 exec_lo, exec_lo, s2
	s_cbranch_execz .LBB71_130
.LBB71_126:                             ; =>This Inner Loop Header: Depth=1
	s_and_saveexec_b32 s4, s0
	s_cbranch_execz .LBB71_125
; %bb.127:                              ;   in Loop: Header=BB71_126 Depth=1
	s_and_b32 vcc_lo, exec_lo, s3
	s_cbranch_vccz .LBB71_129
; %bb.128:                              ;   in Loop: Header=BB71_126 Depth=1
	v_add_nc_u32_e32 v3, s28, v2
	s_delay_alu instid0(VALU_DEP_1)
	v_mad_u32 v3, v3, s29, v17
	s_cbranch_execnz .LBB71_124
	s_branch .LBB71_123
.LBB71_129:                             ;   in Loop: Header=BB71_126 Depth=1
                                        ; implicit-def: $vgpr3
	s_branch .LBB71_123
.LBB71_130:
	s_or_b32 exec_lo, exec_lo, s1
	v_or_b32_e32 v0, v16, v17
	s_mov_b32 s0, 0
	s_mov_b32 s1, exec_lo
	s_delay_alu instid0(VALU_DEP_1)
	v_cmpx_eq_u32_e32 0, v0
	s_cbranch_execz .LBB71_132
; %bb.131:
	v_dual_mov_b32 v0, 0 :: v_dual_mov_b32 v1, 1
	s_add_nc_u64 s[2:3], s[6:7], s[8:9]
	global_wb scope:SCOPE_DEV
	s_wait_storecnt 0x0
	global_store_b32 v0, v1, s[2:3] scope:SCOPE_DEV
.LBB71_132:
	s_wait_xcnt 0x0
	s_or_b32 exec_lo, exec_lo, s1
	s_delay_alu instid0(SALU_CYCLE_1)
	s_and_b32 vcc_lo, exec_lo, s0
	s_cbranch_vccnz .LBB71_135
.LBB71_133:
	s_endpgm
.LBB71_134:
	s_cbranch_execz .LBB71_133
.LBB71_135:
	v_or_b32_e32 v0, v16, v17
	s_mov_b32 s0, exec_lo
	s_delay_alu instid0(VALU_DEP_1)
	v_cmpx_eq_u32_e32 0, v0
	s_cbranch_execz .LBB71_133
; %bb.136:
	v_mbcnt_lo_u32_b32 v0, exec_lo, 0
	s_mov_b32 s0, exec_lo
	s_delay_alu instid0(VALU_DEP_1)
	v_cmpx_eq_u32_e32 0, v0
	s_cbranch_execz .LBB71_138
; %bb.137:
	s_add_co_i32 s1, s16, s17
	s_delay_alu instid0(SALU_CYCLE_1)
	v_dual_mov_b32 v0, 0 :: v_dual_mov_b32 v1, s1
	global_atomic_min_i32 v0, v1, s[10:11] scope:SCOPE_DEV
.LBB71_138:
	s_wait_xcnt 0x0
	s_or_b32 exec_lo, exec_lo, s0
	v_dual_mov_b32 v0, 0 :: v_dual_mov_b32 v1, 1
	s_add_nc_u64 s[0:1], s[6:7], s[8:9]
	global_wb scope:SCOPE_DEV
	s_wait_storecnt 0x0
	global_store_b32 v0, v1, s[0:1] scope:SCOPE_DEV
	s_endpgm
	.section	.rodata,"a",@progbits
	.p2align	6, 0x0
	.amdhsa_kernel _ZN9rocsparseL18bsric0_9_16_kernelILi64ELi64ELi16E21rocsparse_complex_numIdEEEv20rocsparse_direction_iiPKiS5_PT2_S5_PiS5_S8_21rocsparse_index_base_
		.amdhsa_group_segment_fixed_size 18176
		.amdhsa_private_segment_fixed_size 0
		.amdhsa_kernarg_size 76
		.amdhsa_user_sgpr_count 2
		.amdhsa_user_sgpr_dispatch_ptr 0
		.amdhsa_user_sgpr_queue_ptr 0
		.amdhsa_user_sgpr_kernarg_segment_ptr 1
		.amdhsa_user_sgpr_dispatch_id 0
		.amdhsa_user_sgpr_kernarg_preload_length 0
		.amdhsa_user_sgpr_kernarg_preload_offset 0
		.amdhsa_user_sgpr_private_segment_size 0
		.amdhsa_wavefront_size32 1
		.amdhsa_uses_dynamic_stack 0
		.amdhsa_enable_private_segment 0
		.amdhsa_system_sgpr_workgroup_id_x 1
		.amdhsa_system_sgpr_workgroup_id_y 0
		.amdhsa_system_sgpr_workgroup_id_z 0
		.amdhsa_system_sgpr_workgroup_info 0
		.amdhsa_system_vgpr_workitem_id 1
		.amdhsa_next_free_vgpr 113
		.amdhsa_next_free_sgpr 44
		.amdhsa_named_barrier_count 0
		.amdhsa_reserve_vcc 1
		.amdhsa_float_round_mode_32 0
		.amdhsa_float_round_mode_16_64 0
		.amdhsa_float_denorm_mode_32 3
		.amdhsa_float_denorm_mode_16_64 3
		.amdhsa_fp16_overflow 0
		.amdhsa_memory_ordered 1
		.amdhsa_forward_progress 1
		.amdhsa_inst_pref_size 39
		.amdhsa_round_robin_scheduling 0
		.amdhsa_exception_fp_ieee_invalid_op 0
		.amdhsa_exception_fp_denorm_src 0
		.amdhsa_exception_fp_ieee_div_zero 0
		.amdhsa_exception_fp_ieee_overflow 0
		.amdhsa_exception_fp_ieee_underflow 0
		.amdhsa_exception_fp_ieee_inexact 0
		.amdhsa_exception_int_div_zero 0
	.end_amdhsa_kernel
	.section	.text._ZN9rocsparseL18bsric0_9_16_kernelILi64ELi64ELi16E21rocsparse_complex_numIdEEEv20rocsparse_direction_iiPKiS5_PT2_S5_PiS5_S8_21rocsparse_index_base_,"axG",@progbits,_ZN9rocsparseL18bsric0_9_16_kernelILi64ELi64ELi16E21rocsparse_complex_numIdEEEv20rocsparse_direction_iiPKiS5_PT2_S5_PiS5_S8_21rocsparse_index_base_,comdat
.Lfunc_end71:
	.size	_ZN9rocsparseL18bsric0_9_16_kernelILi64ELi64ELi16E21rocsparse_complex_numIdEEEv20rocsparse_direction_iiPKiS5_PT2_S5_PiS5_S8_21rocsparse_index_base_, .Lfunc_end71-_ZN9rocsparseL18bsric0_9_16_kernelILi64ELi64ELi16E21rocsparse_complex_numIdEEEv20rocsparse_direction_iiPKiS5_PT2_S5_PiS5_S8_21rocsparse_index_base_
                                        ; -- End function
	.set _ZN9rocsparseL18bsric0_9_16_kernelILi64ELi64ELi16E21rocsparse_complex_numIdEEEv20rocsparse_direction_iiPKiS5_PT2_S5_PiS5_S8_21rocsparse_index_base_.num_vgpr, 42
	.set _ZN9rocsparseL18bsric0_9_16_kernelILi64ELi64ELi16E21rocsparse_complex_numIdEEEv20rocsparse_direction_iiPKiS5_PT2_S5_PiS5_S8_21rocsparse_index_base_.num_agpr, 0
	.set _ZN9rocsparseL18bsric0_9_16_kernelILi64ELi64ELi16E21rocsparse_complex_numIdEEEv20rocsparse_direction_iiPKiS5_PT2_S5_PiS5_S8_21rocsparse_index_base_.numbered_sgpr, 44
	.set _ZN9rocsparseL18bsric0_9_16_kernelILi64ELi64ELi16E21rocsparse_complex_numIdEEEv20rocsparse_direction_iiPKiS5_PT2_S5_PiS5_S8_21rocsparse_index_base_.num_named_barrier, 0
	.set _ZN9rocsparseL18bsric0_9_16_kernelILi64ELi64ELi16E21rocsparse_complex_numIdEEEv20rocsparse_direction_iiPKiS5_PT2_S5_PiS5_S8_21rocsparse_index_base_.private_seg_size, 0
	.set _ZN9rocsparseL18bsric0_9_16_kernelILi64ELi64ELi16E21rocsparse_complex_numIdEEEv20rocsparse_direction_iiPKiS5_PT2_S5_PiS5_S8_21rocsparse_index_base_.uses_vcc, 1
	.set _ZN9rocsparseL18bsric0_9_16_kernelILi64ELi64ELi16E21rocsparse_complex_numIdEEEv20rocsparse_direction_iiPKiS5_PT2_S5_PiS5_S8_21rocsparse_index_base_.uses_flat_scratch, 0
	.set _ZN9rocsparseL18bsric0_9_16_kernelILi64ELi64ELi16E21rocsparse_complex_numIdEEEv20rocsparse_direction_iiPKiS5_PT2_S5_PiS5_S8_21rocsparse_index_base_.has_dyn_sized_stack, 0
	.set _ZN9rocsparseL18bsric0_9_16_kernelILi64ELi64ELi16E21rocsparse_complex_numIdEEEv20rocsparse_direction_iiPKiS5_PT2_S5_PiS5_S8_21rocsparse_index_base_.has_recursion, 0
	.set _ZN9rocsparseL18bsric0_9_16_kernelILi64ELi64ELi16E21rocsparse_complex_numIdEEEv20rocsparse_direction_iiPKiS5_PT2_S5_PiS5_S8_21rocsparse_index_base_.has_indirect_call, 0
	.section	.AMDGPU.csdata,"",@progbits
; Kernel info:
; codeLenInByte = 4952
; TotalNumSgprs: 46
; NumVgprs: 42
; ScratchSize: 0
; MemoryBound: 1
; FloatMode: 240
; IeeeMode: 1
; LDSByteSize: 18176 bytes/workgroup (compile time only)
; SGPRBlocks: 0
; VGPRBlocks: 7
; NumSGPRsForWavesPerEU: 46
; NumVGPRsForWavesPerEU: 113
; NamedBarCnt: 0
; Occupancy: 8
; WaveLimiterHint : 1
; COMPUTE_PGM_RSRC2:SCRATCH_EN: 0
; COMPUTE_PGM_RSRC2:USER_SGPR: 2
; COMPUTE_PGM_RSRC2:TRAP_HANDLER: 0
; COMPUTE_PGM_RSRC2:TGID_X_EN: 1
; COMPUTE_PGM_RSRC2:TGID_Y_EN: 0
; COMPUTE_PGM_RSRC2:TGID_Z_EN: 0
; COMPUTE_PGM_RSRC2:TIDIG_COMP_CNT: 1
	.section	.text._ZN9rocsparseL19bsric0_17_32_kernelILi64ELi64ELi32E21rocsparse_complex_numIdEEEv20rocsparse_direction_iiPKiS5_PT2_S5_PiS5_S8_21rocsparse_index_base_,"axG",@progbits,_ZN9rocsparseL19bsric0_17_32_kernelILi64ELi64ELi32E21rocsparse_complex_numIdEEEv20rocsparse_direction_iiPKiS5_PT2_S5_PiS5_S8_21rocsparse_index_base_,comdat
	.globl	_ZN9rocsparseL19bsric0_17_32_kernelILi64ELi64ELi32E21rocsparse_complex_numIdEEEv20rocsparse_direction_iiPKiS5_PT2_S5_PiS5_S8_21rocsparse_index_base_ ; -- Begin function _ZN9rocsparseL19bsric0_17_32_kernelILi64ELi64ELi32E21rocsparse_complex_numIdEEEv20rocsparse_direction_iiPKiS5_PT2_S5_PiS5_S8_21rocsparse_index_base_
	.p2align	8
	.type	_ZN9rocsparseL19bsric0_17_32_kernelILi64ELi64ELi32E21rocsparse_complex_numIdEEEv20rocsparse_direction_iiPKiS5_PT2_S5_PiS5_S8_21rocsparse_index_base_,@function
_ZN9rocsparseL19bsric0_17_32_kernelILi64ELi64ELi32E21rocsparse_complex_numIdEEEv20rocsparse_direction_iiPKiS5_PT2_S5_PiS5_S8_21rocsparse_index_base_: ; @_ZN9rocsparseL19bsric0_17_32_kernelILi64ELi64ELi32E21rocsparse_complex_numIdEEEv20rocsparse_direction_iiPKiS5_PT2_S5_PiS5_S8_21rocsparse_index_base_
; %bb.0:
	s_load_b256 s[4:11], s[0:1], 0x28
	s_bfe_u32 s2, ttmp6, 0x4000c
	s_and_b32 s3, ttmp6, 15
	s_add_co_i32 s2, s2, 1
	s_getreg_b32 s12, hwreg(HW_REG_IB_STS2, 6, 4)
	s_mul_i32 s2, ttmp9, s2
	v_and_b32_e32 v16, 0x3ff, v0
	s_add_co_i32 s3, s3, s2
	s_cmp_eq_u32 s12, 0
	v_bfe_u32 v17, v0, 10, 10
	s_cselect_b32 s2, ttmp9, s3
	s_wait_kmcnt 0x0
	s_load_b32 s16, s[8:9], s2 offset:0x0 scale_offset
	s_wait_kmcnt 0x0
	s_ashr_i32 s17, s16, 31
	s_delay_alu instid0(SALU_CYCLE_1) | instskip(NEXT) | instid1(SALU_CYCLE_1)
	s_lshl_b64 s[8:9], s[16:17], 2
	s_add_nc_u64 s[2:3], s[4:5], s[8:9]
	s_load_b32 s28, s[2:3], 0x0
	s_load_b32 s17, s[0:1], 0x48
	s_wait_kmcnt 0x0
	s_cmp_lg_u32 s28, -1
	s_cbranch_scc0 .LBB72_124
; %bb.1:
	s_clause 0x1
	s_load_b128 s[12:15], s[0:1], 0x10
	s_load_b64 s[18:19], s[0:1], 0x20
	v_lshlrev_b32_e32 v0, 1, v17
	s_wait_kmcnt 0x0
	s_add_nc_u64 s[2:3], s[12:13], s[8:9]
	s_load_b32 s2, s[2:3], 0x0
	s_wait_kmcnt 0x0
	s_sub_co_i32 s31, s2, s17
	s_mov_b32 s2, exec_lo
	v_add3_u32 v0, v0, v16, s31
	s_delay_alu instid0(VALU_DEP_1)
	v_cmpx_ge_i32_e64 s28, v0
	s_cbranch_execz .LBB72_4
; %bb.2:
	v_dual_lshlrev_b32 v1, 3, v17 :: v_dual_lshlrev_b32 v2, 2, v16
	s_mov_b32 s3, 0
	s_delay_alu instid0(VALU_DEP_1)
	v_add3_u32 v1, v1, v2, 0xc800
.LBB72_3:                               ; =>This Inner Loop Header: Depth=1
	global_load_b32 v2, v0, s[14:15] scale_offset
	s_wait_xcnt 0x0
	v_add_nc_u32_e32 v0, 64, v0
	s_delay_alu instid0(VALU_DEP_1)
	v_cmp_lt_i32_e32 vcc_lo, s28, v0
	s_or_b32 s3, vcc_lo, s3
	s_wait_loadcnt 0x0
	v_subrev_nc_u32_e32 v2, s17, v2
	ds_store_b32 v1, v2
	v_add_nc_u32_e32 v1, 0x100, v1
	s_and_not1_b32 exec_lo, exec_lo, s3
	s_cbranch_execnz .LBB72_3
.LBB72_4:
	s_or_b32 exec_lo, exec_lo, s2
	v_mul_u32_u24_e32 v18, 0x210, v17
	v_lshlrev_b32_e32 v19, 4, v16
	s_mov_b32 s2, exec_lo
	v_cmpx_gt_u32_e32 32, v16
	s_cbranch_execz .LBB72_7
; %bb.5:
	v_dual_mov_b32 v0, 0 :: v_dual_add_nc_u32 v4, -2, v16
	v_add3_u32 v5, v18, v19, 0x8400
	s_mov_b32 s3, 0
	s_delay_alu instid0(VALU_DEP_2)
	v_dual_mov_b32 v1, v0 :: v_dual_mov_b32 v2, v0
	v_mov_b32_e32 v3, v0
.LBB72_6:                               ; =>This Inner Loop Header: Depth=1
	v_add_nc_u32_e32 v4, 2, v4
	ds_store_b128 v5, v[0:3]
	v_add_nc_u32_e32 v5, 32, v5
	v_cmp_lt_u32_e32 vcc_lo, 29, v4
	s_or_b32 s3, vcc_lo, s3
	s_delay_alu instid0(SALU_CYCLE_1)
	s_and_not1_b32 exec_lo, exec_lo, s3
	s_cbranch_execnz .LBB72_6
.LBB72_7:
	s_or_b32 exec_lo, exec_lo, s2
	s_clause 0x1
	s_load_b32 s29, s[0:1], 0x8
	s_load_b32 s30, s[0:1], 0x0
	s_cmp_ge_i32 s31, s28
	s_wait_dscnt 0x0
	s_wait_kmcnt 0x0
	v_cmp_gt_i32_e64 s0, s29, v16
	s_cbranch_scc1 .LBB72_79
; %bb.8:
	v_mad_u32 v0, s29, s31, v17
	v_mul_lo_u32 v21, s29, v17
	v_mul_lo_u32 v23, v16, s29
	v_or_b32_e32 v1, v16, v17
	v_mad_u32_u24 v22, 0x210, v17, v19
	s_cmp_eq_u32 s30, 0
	s_movk_i32 s3, 0x4200
	s_cselect_b32 s33, -1, 0
	s_cmp_lg_u32 s30, 0
	v_cmp_gt_i32_e64 s1, s29, v17
	v_mad_u32_u24 v20, 0x210, v17, s3
	v_mul_lo_u32 v26, s29, v0
	v_add_nc_u32_e32 v24, 0x8400, v22
	v_mad_u32_u24 v25, 0x210, v16, s3
	v_dual_mov_b32 v0, 0 :: v_dual_add_nc_u32 v27, 0x4200, v22
	v_cmp_ne_u32_e64 s2, 0, v1
	s_cselect_b32 s34, -1, 0
	s_cmp_gt_i32 s29, 0
	s_mul_i32 s36, s29, s29
	s_cselect_b32 s35, -1, 0
	s_lshl_b32 s37, s29, 1
	s_mov_b32 s20, s31
	s_branch .LBB72_10
.LBB72_9:                               ;   in Loop: Header=BB72_10 Depth=1
	s_or_b32 exec_lo, exec_lo, s3
	s_add_co_i32 s20, s20, 1
	v_add_nc_u32_e32 v26, s36, v26
	s_cmp_ge_i32 s20, s28
	global_wb scope:SCOPE_DEV
	s_wait_storecnt 0x0
	global_inv scope:SCOPE_DEV
	s_cselect_b32 s3, -1, 0
	s_delay_alu instid0(SALU_CYCLE_1)
	s_and_b32 vcc_lo, exec_lo, s3
	s_cbranch_vccnz .LBB72_79
.LBB72_10:                              ; =>This Loop Header: Depth=1
                                        ;     Child Loop BB72_14 Depth 2
                                        ;     Child Loop BB72_26 Depth 2
	;; [unrolled: 1-line block ×4, first 2 shown]
                                        ;       Child Loop BB72_43 Depth 3
                                        ;         Child Loop BB72_48 Depth 4
                                        ;     Child Loop BB72_57 Depth 2
                                        ;       Child Loop BB72_64 Depth 3
                                        ;       Child Loop BB72_68 Depth 3
                                        ;     Child Loop BB72_73 Depth 2
	s_ashr_i32 s21, s20, 31
	s_delay_alu instid0(SALU_CYCLE_1) | instskip(NEXT) | instid1(SALU_CYCLE_1)
	s_lshl_b64 s[22:23], s[20:21], 2
	s_add_nc_u64 s[22:23], s[14:15], s[22:23]
	s_load_b32 s38, s[22:23], 0x0
	s_wait_kmcnt 0x0
	s_sub_co_i32 s24, s38, s17
	s_delay_alu instid0(SALU_CYCLE_1) | instskip(SKIP_2) | instid1(SALU_CYCLE_1)
	s_ashr_i32 s25, s24, 31
	s_wait_xcnt 0x0
	s_lshl_b64 s[22:23], s[24:25], 2
	s_add_nc_u64 s[26:27], s[4:5], s[22:23]
	s_load_b32 s3, s[26:27], 0x0
	s_wait_kmcnt 0x0
	s_cmp_eq_u32 s3, -1
	s_cbranch_scc1 .LBB72_78
; %bb.11:                               ;   in Loop: Header=BB72_10 Depth=1
	s_wait_xcnt 0x0
	s_add_nc_u64 s[26:27], s[12:13], s[22:23]
	s_mul_i32 s21, s20, s29
	s_load_b32 s25, s[26:27], 0x0
	s_wait_xcnt 0x0
	s_and_saveexec_b32 s26, s0
	s_cbranch_execz .LBB72_24
; %bb.12:                               ;   in Loop: Header=BB72_10 Depth=1
	v_dual_mov_b32 v8, v22 :: v_dual_mov_b32 v9, v16
	s_mov_b32 s27, 0
	s_branch .LBB72_14
.LBB72_13:                              ;   in Loop: Header=BB72_14 Depth=2
	s_wait_xcnt 0x0
	s_or_b32 exec_lo, exec_lo, s40
	v_dual_mov_b32 v1, v0 :: v_dual_add_nc_u32 v9, 2, v9
	v_dual_mov_b32 v2, v0 :: v_dual_mov_b32 v3, v0
	s_wait_loadcnt 0x0
	ds_store_b128 v8, v[4:7] offset:16896
	ds_store_b128 v8, v[0:3]
	v_cmp_le_i32_e32 vcc_lo, s29, v9
	v_add_nc_u32_e32 v8, 32, v8
	s_or_b32 s27, vcc_lo, s27
	s_delay_alu instid0(SALU_CYCLE_1)
	s_and_not1_b32 exec_lo, exec_lo, s27
	s_cbranch_execz .LBB72_24
.LBB72_14:                              ;   Parent Loop BB72_10 Depth=1
                                        ; =>  This Inner Loop Header: Depth=2
	s_mov_b32 s40, -1
	s_and_b32 vcc_lo, exec_lo, s34
	s_mov_b32 s39, 0
                                        ; implicit-def: $vgpr1
	s_cbranch_vccz .LBB72_19
; %bb.15:                               ;   in Loop: Header=BB72_14 Depth=2
	s_mov_b32 s40, 0
                                        ; implicit-def: $vgpr1
	s_and_saveexec_b32 s41, s1
	s_delay_alu instid0(SALU_CYCLE_1)
	s_xor_b32 s41, exec_lo, s41
; %bb.16:                               ;   in Loop: Header=BB72_14 Depth=2
	v_add_nc_u32_e32 v1, s21, v9
	s_mov_b32 s39, exec_lo
	s_delay_alu instid0(VALU_DEP_1)
	v_mad_u32 v1, v1, s29, v17
; %bb.17:                               ;   in Loop: Header=BB72_14 Depth=2
	s_or_b32 exec_lo, exec_lo, s41
	s_delay_alu instid0(SALU_CYCLE_1)
	s_and_b32 vcc_lo, exec_lo, s40
	s_cbranch_vccnz .LBB72_20
.LBB72_18:                              ;   in Loop: Header=BB72_14 Depth=2
	v_mov_b64_e32 v[4:5], 0
	v_mov_b64_e32 v[6:7], 0
	s_and_saveexec_b32 s40, s39
	s_cbranch_execz .LBB72_13
	s_branch .LBB72_23
.LBB72_19:                              ;   in Loop: Header=BB72_14 Depth=2
	s_and_b32 vcc_lo, exec_lo, s40
	s_cbranch_vccz .LBB72_18
.LBB72_20:                              ;   in Loop: Header=BB72_14 Depth=2
                                        ; implicit-def: $vgpr1
	s_and_saveexec_b32 s40, s1
; %bb.21:                               ;   in Loop: Header=BB72_14 Depth=2
	v_add_nc_u32_e32 v1, v26, v9
	s_or_b32 s39, s39, exec_lo
; %bb.22:                               ;   in Loop: Header=BB72_14 Depth=2
	s_or_b32 exec_lo, exec_lo, s40
	v_mov_b64_e32 v[4:5], 0
	v_mov_b64_e32 v[6:7], 0
	s_and_saveexec_b32 s40, s39
	s_cbranch_execz .LBB72_13
.LBB72_23:                              ;   in Loop: Header=BB72_14 Depth=2
	global_load_b128 v[4:7], v1, s[18:19] scale_offset
	s_branch .LBB72_13
.LBB72_24:                              ;   in Loop: Header=BB72_10 Depth=1
	s_or_b32 exec_lo, exec_lo, s26
	ds_load_b32 v1, v0 offset:51200
	s_wait_kmcnt 0x0
	s_sub_co_i32 s26, s25, s17
	s_mov_b32 s27, 0
	s_cmp_le_i32 s26, s3
	s_cselect_b32 s25, -1, 0
	s_wait_dscnt 0x0
	v_cmp_ge_i32_e32 vcc_lo, s24, v1
	s_and_b32 s25, s25, vcc_lo
	s_delay_alu instid0(SALU_CYCLE_1)
	s_and_not1_b32 vcc_lo, exec_lo, s25
	s_cbranch_vccnz .LBB72_36
; %bb.25:                               ;   in Loop: Header=BB72_10 Depth=1
	s_mov_b32 s25, 0
	s_mov_b32 s39, 0
.LBB72_26:                              ;   Parent Loop BB72_10 Depth=1
                                        ; =>  This Inner Loop Header: Depth=2
	s_ashr_i32 s27, s26, 31
	s_lshl_b32 s42, s39, 2
	s_lshl_b64 s[40:41], s[26:27], 2
	v_mov_b32_e32 v1, s42
	s_add_nc_u64 s[40:41], s[14:15], s[40:41]
	s_mov_b32 s43, -1
	s_load_b32 s27, s[40:41], 0x0
                                        ; implicit-def: $sgpr42
                                        ; implicit-def: $sgpr41
	ds_load_b32 v1, v1 offset:51200
	s_wait_kmcnt 0x0
	s_sub_co_i32 s44, s27, s17
                                        ; implicit-def: $sgpr27
	s_wait_dscnt 0x0
	s_wait_xcnt 0x0
	v_readfirstlane_b32 s40, v1
	v_cmp_ge_i32_e32 vcc_lo, s44, v1
	s_cbranch_vccz .LBB72_32
; %bb.27:                               ;   in Loop: Header=BB72_26 Depth=2
	s_cmp_le_i32 s44, s40
                                        ; implicit-def: $sgpr27
                                        ; implicit-def: $sgpr42
                                        ; implicit-def: $sgpr41
	s_cbranch_scc0 .LBB72_29
; %bb.28:                               ;   in Loop: Header=BB72_26 Depth=2
	s_add_co_i32 s27, s39, s31
	s_lshl_b32 s41, s25, 2
	s_mul_i32 s27, s27, s36
	s_delay_alu instid0(SALU_CYCLE_1)
	v_dual_mov_b32 v1, s41 :: v_dual_mov_b32 v2, s27
	s_mul_i32 s41, s26, s36
	s_add_co_i32 s42, s26, 1
	v_mov_b32_e32 v3, s41
	s_add_co_i32 s41, s39, 1
	s_add_co_i32 s27, s25, 1
	s_mov_b32 s43, 0
	ds_store_2addr_stride64_b32 v1, v3, v2 offset0:198 offset1:199
.LBB72_29:                              ;   in Loop: Header=BB72_26 Depth=2
	s_and_not1_b32 vcc_lo, exec_lo, s43
	s_cbranch_vccnz .LBB72_31
; %bb.30:                               ;   in Loop: Header=BB72_26 Depth=2
	s_add_co_i32 s41, s39, 1
	s_mov_b32 s27, s25
	s_mov_b32 s42, s26
.LBB72_31:                              ;   in Loop: Header=BB72_26 Depth=2
	s_mov_b32 s43, 0
.LBB72_32:                              ;   in Loop: Header=BB72_26 Depth=2
	s_delay_alu instid0(SALU_CYCLE_1)
	s_and_not1_b32 vcc_lo, exec_lo, s43
	s_cbranch_vccnz .LBB72_34
; %bb.33:                               ;   in Loop: Header=BB72_26 Depth=2
	s_add_co_i32 s42, s26, 1
	s_mov_b32 s41, s39
	s_mov_b32 s27, s25
.LBB72_34:                              ;   in Loop: Header=BB72_26 Depth=2
	s_cmp_le_i32 s42, s3
	s_cselect_b32 s25, -1, 0
	s_cmp_le_i32 s40, s24
	s_cselect_b32 s26, -1, 0
	s_delay_alu instid0(SALU_CYCLE_1) | instskip(NEXT) | instid1(SALU_CYCLE_1)
	s_and_b32 s25, s25, s26
	s_and_b32 vcc_lo, exec_lo, s25
	s_cbranch_vccz .LBB72_36
; %bb.35:                               ;   in Loop: Header=BB72_26 Depth=2
	s_mov_b32 s25, s27
	s_mov_b32 s26, s42
	;; [unrolled: 1-line block ×3, first 2 shown]
	s_branch .LBB72_26
.LBB72_36:                              ;   in Loop: Header=BB72_10 Depth=1
	s_add_nc_u64 s[22:23], s[6:7], s[22:23]
	s_wait_dscnt 0x0
.LBB72_37:                              ;   Parent Loop BB72_10 Depth=1
                                        ; =>  This Inner Loop Header: Depth=2
	global_load_b32 v1, v0, s[22:23] scope:SCOPE_DEV
	s_wait_loadcnt 0x0
	v_cmp_eq_u32_e32 vcc_lo, 0, v1
	s_cbranch_vccnz .LBB72_37
; %bb.38:                               ;   in Loop: Header=BB72_10 Depth=1
	s_cmp_lt_i32 s27, 2
	global_inv scope:SCOPE_DEV
	s_cbranch_scc1 .LBB72_54
; %bb.39:                               ;   in Loop: Header=BB72_10 Depth=1
	s_wait_xcnt 0x0
	s_add_co_i32 s22, s27, -2
	s_mov_b32 s23, 0
	s_branch .LBB72_41
.LBB72_40:                              ;   in Loop: Header=BB72_41 Depth=2
	s_or_b32 exec_lo, exec_lo, s24
	s_add_co_i32 s24, s23, 1
	s_cmp_eq_u32 s23, s22
	s_mov_b32 s23, s24
	s_cbranch_scc1 .LBB72_54
.LBB72_41:                              ;   Parent Loop BB72_10 Depth=1
                                        ; =>  This Loop Header: Depth=2
                                        ;       Child Loop BB72_43 Depth 3
                                        ;         Child Loop BB72_48 Depth 4
	s_and_saveexec_b32 s24, s0
	s_cbranch_execz .LBB72_40
; %bb.42:                               ;   in Loop: Header=BB72_41 Depth=2
	s_lshl_b32 s25, s23, 2
	s_delay_alu instid0(SALU_CYCLE_1)
	v_dual_mov_b32 v31, v16 :: v_dual_mov_b32 v1, s25
	s_mov_b32 s25, 0
	ds_load_2addr_stride64_b32 v[2:3], v1 offset0:198 offset1:199
	s_wait_dscnt 0x0
	v_dual_add_nc_u32 v1, v3, v21 :: v_dual_add_nc_u32 v29, v16, v2
	v_dual_add_nc_u32 v28, v17, v3 :: v_dual_add_nc_u32 v30, v23, v2
.LBB72_43:                              ;   Parent Loop BB72_10 Depth=1
                                        ;     Parent Loop BB72_41 Depth=2
                                        ; =>    This Loop Header: Depth=3
                                        ;         Child Loop BB72_48 Depth 4
	v_mov_b64_e32 v[10:11], 0
	v_mov_b64_e32 v[12:13], 0
	s_delay_alu instid0(VALU_DEP_3)
	v_dual_mov_b32 v32, v29 :: v_dual_mov_b32 v33, v28
	s_mov_b32 s26, 0
	s_and_b32 vcc_lo, exec_lo, s34
	s_mov_b32 s27, -1
                                        ; implicit-def: $vgpr2_vgpr3
                                        ; implicit-def: $vgpr14_vgpr15
	s_cbranch_vccz .LBB72_48
	s_branch .LBB72_45
.LBB72_44:                              ;   in Loop: Header=BB72_48 Depth=4
	s_delay_alu instid0(VALU_DEP_2) | instskip(NEXT) | instid1(VALU_DEP_3)
	v_mov_b64_e32 v[10:11], v[2:3]
	v_mov_b64_e32 v[12:13], v[14:15]
	s_and_b32 vcc_lo, exec_lo, s34
	s_mov_b32 s27, -1
                                        ; implicit-def: $vgpr2_vgpr3
                                        ; implicit-def: $vgpr14_vgpr15
	s_cbranch_vccz .LBB72_48
.LBB72_45:                              ;   in Loop: Header=BB72_43 Depth=3
	global_load_b128 v[2:5], v32, s[18:19] scale_offset
	v_mov_b64_e32 v[6:7], 0
	v_mov_b64_e32 v[8:9], 0
	s_wait_xcnt 0x0
	s_and_saveexec_b32 s27, s1
	s_cbranch_execz .LBB72_47
; %bb.46:                               ;   in Loop: Header=BB72_43 Depth=3
	global_load_b128 v[6:9], v33, s[18:19] scale_offset
.LBB72_47:                              ;   in Loop: Header=BB72_43 Depth=3
	s_wait_xcnt 0x0
	s_or_b32 exec_lo, exec_lo, s27
	s_wait_loadcnt 0x0
	v_fma_f64 v[14:15], v[2:3], v[6:7], v[12:13]
	v_fma_f64 v[6:7], v[4:5], v[6:7], v[10:11]
	s_mov_b32 s27, 0
	s_delay_alu instid0(VALU_DEP_2) | instskip(NEXT) | instid1(VALU_DEP_2)
	v_fmac_f64_e32 v[14:15], v[4:5], v[8:9]
	v_fma_f64 v[2:3], v[2:3], -v[8:9], v[6:7]
.LBB72_48:                              ;   Parent Loop BB72_10 Depth=1
                                        ;     Parent Loop BB72_41 Depth=2
                                        ;       Parent Loop BB72_43 Depth=3
                                        ; =>      This Inner Loop Header: Depth=4
	s_and_b32 vcc_lo, exec_lo, s27
	s_cbranch_vccz .LBB72_52
; %bb.49:                               ;   in Loop: Header=BB72_48 Depth=4
	v_add_nc_u32_e32 v2, s26, v30
	v_mov_b64_e32 v[6:7], 0
	v_mov_b64_e32 v[8:9], 0
	global_load_b128 v[2:5], v2, s[18:19] scale_offset
	s_wait_xcnt 0x0
	s_and_saveexec_b32 s27, s1
	s_cbranch_execz .LBB72_51
; %bb.50:                               ;   in Loop: Header=BB72_48 Depth=4
	v_add_nc_u32_e32 v6, s26, v1
	global_load_b128 v[6:9], v6, s[18:19] scale_offset
.LBB72_51:                              ;   in Loop: Header=BB72_48 Depth=4
	s_wait_xcnt 0x0
	s_or_b32 exec_lo, exec_lo, s27
	s_wait_loadcnt 0x0
	v_fmac_f64_e32 v[12:13], v[2:3], v[6:7]
	v_fmac_f64_e32 v[10:11], v[4:5], v[6:7]
	s_delay_alu instid0(VALU_DEP_2) | instskip(NEXT) | instid1(VALU_DEP_2)
	v_fmac_f64_e32 v[12:13], v[4:5], v[8:9]
	v_fma_f64 v[2:3], v[2:3], -v[8:9], v[10:11]
	s_delay_alu instid0(VALU_DEP_2)
	v_mov_b64_e32 v[14:15], v[12:13]
.LBB72_52:                              ;   in Loop: Header=BB72_48 Depth=4
	v_dual_add_nc_u32 v33, s29, v33 :: v_dual_add_nc_u32 v32, s29, v32
	s_add_co_i32 s26, s26, 1
	s_delay_alu instid0(SALU_CYCLE_1)
	s_cmp_eq_u32 s29, s26
	s_cbranch_scc0 .LBB72_44
; %bb.53:                               ;   in Loop: Header=BB72_43 Depth=3
	v_lshl_add_u32 v8, v31, 4, v18
	v_dual_add_nc_u32 v30, s37, v30 :: v_dual_add_nc_u32 v31, 2, v31
	v_add_nc_u32_e32 v29, 2, v29
	ds_load_b128 v[4:7], v8
	v_cmp_le_i32_e32 vcc_lo, s29, v31
	s_or_b32 s25, vcc_lo, s25
	s_wait_dscnt 0x0
	v_add_f64_e32 v[4:5], v[14:15], v[4:5]
	v_add_f64_e32 v[6:7], v[2:3], v[6:7]
	ds_store_b128 v8, v[4:7]
	s_and_not1_b32 exec_lo, exec_lo, s25
	s_cbranch_execnz .LBB72_43
	s_branch .LBB72_40
.LBB72_54:                              ;   in Loop: Header=BB72_10 Depth=1
	s_and_not1_b32 vcc_lo, exec_lo, s35
	s_wait_loadcnt_dscnt 0x0
	s_cbranch_vccnz .LBB72_69
; %bb.55:                               ;   in Loop: Header=BB72_10 Depth=1
	v_mov_b32_e32 v1, v25
	s_wait_xcnt 0x0
	s_mul_i32 s22, s36, s3
	s_mov_b32 s23, 0
	s_mov_b32 s24, s22
	s_branch .LBB72_57
.LBB72_56:                              ;   in Loop: Header=BB72_57 Depth=2
	s_or_b32 exec_lo, exec_lo, s3
	v_add_nc_u32_e32 v1, 16, v1
	s_add_co_i32 s23, s23, 1
	s_add_co_i32 s24, s24, 1
	s_cmp_eq_u32 s23, s29
	s_wait_dscnt 0x0
	s_cbranch_scc1 .LBB72_69
.LBB72_57:                              ;   Parent Loop BB72_10 Depth=1
                                        ; =>  This Loop Header: Depth=2
                                        ;       Child Loop BB72_64 Depth 3
                                        ;       Child Loop BB72_68 Depth 3
	s_mul_i32 s25, s23, s29
	v_lshl_add_u32 v14, s23, 4, v20
	s_add_co_i32 s25, s25, s22
	s_delay_alu instid0(SALU_CYCLE_1) | instskip(NEXT) | instid1(SALU_CYCLE_1)
	s_add_co_i32 s3, s25, s23
	v_mov_b32_e32 v2, s3
	global_load_b128 v[6:9], v2, s[18:19] scale_offset
	s_wait_xcnt 0x0
	ds_load_b128 v[2:5], v14
	s_wait_loadcnt 0x0
	v_cmp_neq_f64_e32 vcc_lo, 0, v[6:7]
	v_cmp_neq_f64_e64 s3, 0, v[8:9]
	s_or_b32 vcc_lo, vcc_lo, s3
	v_cndmask_b32_e32 v11, 0x3ff00000, v7, vcc_lo
	v_dual_cndmask_b32 v10, 0, v6 :: v_dual_cndmask_b32 v13, 0, v9
	v_cndmask_b32_e32 v12, 0, v8, vcc_lo
	s_nor_b32 s26, vcc_lo, s2
	s_delay_alu instid0(SALU_CYCLE_1)
	s_and_saveexec_b32 s3, s26
	s_cbranch_execz .LBB72_61
; %bb.58:                               ;   in Loop: Header=BB72_57 Depth=2
	v_mbcnt_lo_u32_b32 v6, exec_lo, 0
	s_mov_b32 s26, exec_lo
	s_delay_alu instid0(VALU_DEP_1)
	v_cmpx_eq_u32_e32 0, v6
	s_cbranch_execz .LBB72_60
; %bb.59:                               ;   in Loop: Header=BB72_57 Depth=2
	v_mov_b32_e32 v6, s38
	global_atomic_min_i32 v0, v6, s[10:11] scope:SCOPE_DEV
.LBB72_60:                              ;   in Loop: Header=BB72_57 Depth=2
	s_wait_xcnt 0x0
	s_or_b32 exec_lo, exec_lo, s26
	v_mov_b64_e32 v[12:13], 0
	v_mov_b64_e32 v[10:11], 1.0
.LBB72_61:                              ;   in Loop: Header=BB72_57 Depth=2
	s_or_b32 exec_lo, exec_lo, s3
	v_lshl_add_u32 v6, s23, 4, v18
	s_cmp_eq_u32 s23, 0
	ds_load_b128 v[6:9], v6
	s_cbranch_scc1 .LBB72_66
; %bb.62:                               ;   in Loop: Header=BB72_57 Depth=2
	v_mov_b32_e32 v15, v20
	s_mov_b32 s3, 0
	s_mov_b32 s26, s23
	;; [unrolled: 1-line block ×3, first 2 shown]
	s_branch .LBB72_64
.LBB72_63:                              ;   in Loop: Header=BB72_64 Depth=3
	s_wait_xcnt 0x0
	v_mov_b32_e32 v28, s39
	ds_load_b128 v[32:35], v15
	v_add_nc_u32_e32 v15, 16, v15
	s_add_co_i32 s26, s26, -1
	s_add_co_i32 s3, s3, 1
	global_load_b128 v[28:31], v28, s[18:19] scale_offset
	s_add_co_i32 s27, s27, s29
	s_cmp_eq_u32 s26, 0
	s_wait_loadcnt_dscnt 0x0
	v_fmac_f64_e32 v[6:7], v[28:29], v[32:33]
	v_fmac_f64_e32 v[8:9], v[30:31], v[32:33]
	s_delay_alu instid0(VALU_DEP_2) | instskip(NEXT) | instid1(VALU_DEP_2)
	v_fmac_f64_e32 v[6:7], v[30:31], v[34:35]
	v_fma_f64 v[8:9], v[28:29], -v[34:35], v[8:9]
	s_cbranch_scc1 .LBB72_66
.LBB72_64:                              ;   Parent Loop BB72_10 Depth=1
                                        ;     Parent Loop BB72_57 Depth=2
                                        ; =>    This Inner Loop Header: Depth=3
	s_and_not1_b32 vcc_lo, exec_lo, s33
	s_mov_b32 s39, s27
	s_cbranch_vccnz .LBB72_63
; %bb.65:                               ;   in Loop: Header=BB72_64 Depth=3
	s_add_co_i32 s39, s3, s25
	s_branch .LBB72_63
.LBB72_66:                              ;   in Loop: Header=BB72_57 Depth=2
	s_wait_xcnt 0x0
	v_mul_f64_e32 v[28:29], v[12:13], v[12:13]
	s_wait_dscnt 0x0
	s_delay_alu instid0(VALU_DEP_2) | instskip(NEXT) | instid1(VALU_DEP_4)
	v_add_f64_e64 v[4:5], v[4:5], -v[8:9]
	v_add_f64_e64 v[2:3], v[2:3], -v[6:7]
	s_delay_alu instid0(VALU_DEP_3) | instskip(NEXT) | instid1(VALU_DEP_3)
	v_fmac_f64_e32 v[28:29], v[10:11], v[10:11]
	v_mul_f64_e32 v[6:7], v[12:13], v[4:5]
	s_delay_alu instid0(VALU_DEP_3) | instskip(NEXT) | instid1(VALU_DEP_3)
	v_mul_f64_e64 v[12:13], v[12:13], -v[2:3]
	v_div_scale_f64 v[30:31], null, v[28:29], v[28:29], 1.0
	v_div_scale_f64 v[36:37], vcc_lo, 1.0, v[28:29], 1.0
	s_delay_alu instid0(VALU_DEP_4) | instskip(NEXT) | instid1(VALU_DEP_4)
	v_fmac_f64_e32 v[6:7], v[2:3], v[10:11]
	v_fmac_f64_e32 v[12:13], v[4:5], v[10:11]
	s_delay_alu instid0(VALU_DEP_4) | instskip(SKIP_1) | instid1(TRANS32_DEP_1)
	v_rcp_f64_e32 v[32:33], v[30:31]
	v_nop
	v_fma_f64 v[34:35], -v[30:31], v[32:33], 1.0
	s_delay_alu instid0(VALU_DEP_1) | instskip(NEXT) | instid1(VALU_DEP_1)
	v_fmac_f64_e32 v[32:33], v[32:33], v[34:35]
	v_fma_f64 v[34:35], -v[30:31], v[32:33], 1.0
	s_delay_alu instid0(VALU_DEP_1) | instskip(NEXT) | instid1(VALU_DEP_1)
	v_fmac_f64_e32 v[32:33], v[32:33], v[34:35]
	v_mul_f64_e32 v[34:35], v[36:37], v[32:33]
	s_delay_alu instid0(VALU_DEP_1) | instskip(NEXT) | instid1(VALU_DEP_1)
	v_fma_f64 v[8:9], -v[30:31], v[34:35], v[36:37]
	v_div_fmas_f64 v[8:9], v[8:9], v[32:33], v[34:35]
	s_delay_alu instid0(VALU_DEP_1) | instskip(NEXT) | instid1(VALU_DEP_1)
	v_div_fixup_f64 v[8:9], v[8:9], v[28:29], 1.0
	v_mul_f64_e32 v[2:3], v[8:9], v[6:7]
	v_mul_f64_e32 v[4:5], v[8:9], v[12:13]
	ds_store_b128 v14, v[2:5]
	s_wait_storecnt_dscnt 0x0
	s_and_saveexec_b32 s3, s0
	s_cbranch_execz .LBB72_56
; %bb.67:                               ;   in Loop: Header=BB72_57 Depth=2
	v_dual_mov_b32 v6, v1 :: v_dual_mov_b32 v7, v24
	v_mov_b32_e32 v8, v16
	s_mov_b32 s25, 0
.LBB72_68:                              ;   Parent Loop BB72_10 Depth=1
                                        ;     Parent Loop BB72_57 Depth=2
                                        ; =>    This Inner Loop Header: Depth=3
	ds_load_b128 v[10:13], v6
	ds_load_b128 v[28:31], v7
	v_add_nc_u32_e32 v8, 2, v8
	v_add_nc_u32_e32 v6, 0x420, v6
	s_delay_alu instid0(VALU_DEP_2) | instskip(SKIP_4) | instid1(VALU_DEP_2)
	v_cmp_le_i32_e32 vcc_lo, s29, v8
	s_or_b32 s25, vcc_lo, s25
	s_wait_dscnt 0x0
	v_fmac_f64_e32 v[28:29], v[2:3], v[10:11]
	v_fmac_f64_e32 v[30:31], v[4:5], v[10:11]
	v_fmac_f64_e32 v[28:29], v[4:5], v[12:13]
	s_delay_alu instid0(VALU_DEP_2)
	v_fma_f64 v[30:31], v[2:3], -v[12:13], v[30:31]
	ds_store_b128 v7, v[28:31]
	v_add_nc_u32_e32 v7, 32, v7
	s_and_not1_b32 exec_lo, exec_lo, s25
	s_cbranch_execnz .LBB72_68
	s_branch .LBB72_56
.LBB72_69:                              ;   in Loop: Header=BB72_10 Depth=1
	s_wait_xcnt 0x0
	s_and_saveexec_b32 s3, s0
	s_cbranch_execz .LBB72_9
; %bb.70:                               ;   in Loop: Header=BB72_10 Depth=1
	v_dual_mov_b32 v1, v27 :: v_dual_mov_b32 v2, v16
	s_mov_b32 s22, 0
	s_branch .LBB72_73
.LBB72_71:                              ;   in Loop: Header=BB72_73 Depth=2
	ds_load_2addr_b64 v[4:7], v1 offset1:1
	s_wait_dscnt 0x0
	global_store_b128 v3, v[4:7], s[18:19] scale_offset
.LBB72_72:                              ;   in Loop: Header=BB72_73 Depth=2
	s_wait_xcnt 0x0
	s_or_b32 exec_lo, exec_lo, s23
	v_dual_add_nc_u32 v2, 2, v2 :: v_dual_add_nc_u32 v1, 32, v1
	s_delay_alu instid0(VALU_DEP_1) | instskip(SKIP_1) | instid1(SALU_CYCLE_1)
	v_cmp_le_i32_e32 vcc_lo, s29, v2
	s_or_b32 s22, vcc_lo, s22
	s_and_not1_b32 exec_lo, exec_lo, s22
	s_cbranch_execz .LBB72_9
.LBB72_73:                              ;   Parent Loop BB72_10 Depth=1
                                        ; =>  This Inner Loop Header: Depth=2
	s_and_saveexec_b32 s23, s1
	s_cbranch_execz .LBB72_72
; %bb.74:                               ;   in Loop: Header=BB72_73 Depth=2
	s_and_b32 vcc_lo, exec_lo, s34
	s_mov_b32 s24, -1
                                        ; implicit-def: $vgpr3
	s_cbranch_vccz .LBB72_76
; %bb.75:                               ;   in Loop: Header=BB72_73 Depth=2
	v_add_nc_u32_e32 v3, s21, v2
	s_mov_b32 s24, 0
	s_delay_alu instid0(VALU_DEP_1)
	v_mad_u32 v3, v3, s29, v17
.LBB72_76:                              ;   in Loop: Header=BB72_73 Depth=2
	s_and_not1_b32 vcc_lo, exec_lo, s24
	s_cbranch_vccnz .LBB72_71
; %bb.77:                               ;   in Loop: Header=BB72_73 Depth=2
	v_add_nc_u32_e32 v3, v26, v2
	s_branch .LBB72_71
.LBB72_78:                              ;   in Loop: Header=BB72_10 Depth=1
                                        ; implicit-def: $sgpr20
                                        ; implicit-def: $vgpr26
	s_cbranch_execz .LBB72_10
.LBB72_79:
	v_cmp_gt_i32_e64 s0, s29, v16
	s_and_saveexec_b32 s2, s0
	s_cbranch_execz .LBB72_92
; %bb.80:
	s_mul_i32 s3, s28, s29
	v_cmp_gt_i32_e64 s1, s29, v17
	v_dual_add_nc_u32 v0, s3, v17 :: v_dual_mov_b32 v6, v16
	v_add3_u32 v5, v18, v19, 0x4200
	s_cmp_lg_u32 s30, 0
	s_mov_b32 s4, 0
	s_delay_alu instid0(VALU_DEP_2)
	v_mul_lo_u32 v4, v0, s29
	s_cselect_b32 s5, -1, 0
	s_branch .LBB72_82
.LBB72_81:                              ;   in Loop: Header=BB72_82 Depth=1
	s_wait_xcnt 0x0
	s_or_b32 exec_lo, exec_lo, s13
	v_add_nc_u32_e32 v6, 2, v6
	s_wait_loadcnt 0x0
	ds_store_b128 v5, v[0:3]
	v_add_nc_u32_e32 v5, 32, v5
	v_cmp_le_i32_e32 vcc_lo, s29, v6
	s_or_b32 s4, vcc_lo, s4
	s_delay_alu instid0(SALU_CYCLE_1)
	s_and_not1_b32 exec_lo, exec_lo, s4
	s_cbranch_execz .LBB72_92
.LBB72_82:                              ; =>This Inner Loop Header: Depth=1
	s_and_b32 vcc_lo, exec_lo, s5
	s_cbranch_vccz .LBB72_89
; %bb.83:                               ;   in Loop: Header=BB72_82 Depth=1
	s_mov_b32 s13, 0
	s_mov_b32 s12, 0
                                        ; implicit-def: $vgpr7
	s_and_saveexec_b32 s14, s1
	s_delay_alu instid0(SALU_CYCLE_1)
	s_xor_b32 s14, exec_lo, s14
; %bb.84:                               ;   in Loop: Header=BB72_82 Depth=1
	v_add_nc_u32_e32 v0, s3, v6
	s_mov_b32 s12, exec_lo
	s_delay_alu instid0(VALU_DEP_1)
	v_mad_u32 v7, v0, s29, v17
; %bb.85:                               ;   in Loop: Header=BB72_82 Depth=1
	s_or_b32 exec_lo, exec_lo, s14
	s_delay_alu instid0(SALU_CYCLE_1)
	s_and_b32 vcc_lo, exec_lo, s13
	s_cbranch_vccz .LBB72_90
.LBB72_86:                              ;   in Loop: Header=BB72_82 Depth=1
                                        ; implicit-def: $vgpr7
	s_and_saveexec_b32 s13, s1
; %bb.87:                               ;   in Loop: Header=BB72_82 Depth=1
	s_delay_alu instid0(VALU_DEP_1)
	v_add_nc_u32_e32 v7, v4, v6
	s_or_b32 s12, s12, exec_lo
; %bb.88:                               ;   in Loop: Header=BB72_82 Depth=1
	s_or_b32 exec_lo, exec_lo, s13
	v_mov_b64_e32 v[0:1], 0
	v_mov_b64_e32 v[2:3], 0
	s_and_saveexec_b32 s13, s12
	s_cbranch_execz .LBB72_81
	s_branch .LBB72_91
.LBB72_89:                              ;   in Loop: Header=BB72_82 Depth=1
	s_mov_b32 s12, 0
                                        ; implicit-def: $vgpr7
	s_cbranch_execnz .LBB72_86
.LBB72_90:                              ;   in Loop: Header=BB72_82 Depth=1
	v_mov_b64_e32 v[0:1], 0
	v_mov_b64_e32 v[2:3], 0
	s_and_saveexec_b32 s13, s12
	s_cbranch_execz .LBB72_81
.LBB72_91:                              ;   in Loop: Header=BB72_82 Depth=1
	global_load_b128 v[0:3], v7, s[18:19] scale_offset
	s_branch .LBB72_81
.LBB72_92:
	s_or_b32 exec_lo, exec_lo, s2
	s_cmp_lt_i32 s29, 1
	s_wait_loadcnt_dscnt 0x0
	s_cbranch_scc1 .LBB72_111
; %bb.93:
	s_movk_i32 s2, 0x210
	s_mov_b32 s1, 0x8400
	v_dual_lshlrev_b32 v1, 4, v17 :: v_dual_bitop2_b32 v0, v16, v17 bitop3:0x54
	v_mad_u32_u24 v10, v17, s2, 0x4200
	v_mad_u32_u24 v11, 0x210, v17, s1
	v_add3_u32 v14, v18, v19, 0x8400
	s_delay_alu instid0(VALU_DEP_4) | instskip(SKIP_1) | instid1(VALU_DEP_4)
	v_cmp_ne_u32_e64 s1, 0, v0
	v_mad_u32_u24 v15, v16, s2, 0x4200
	v_dual_add_nc_u32 v12, v10, v1 :: v_dual_add_nc_u32 v13, v11, v1
	v_mov_b32_e32 v2, 0
	s_mov_b32 s3, 0
	s_add_co_i32 s4, s16, s17
	s_branch .LBB72_95
.LBB72_94:                              ;   in Loop: Header=BB72_95 Depth=1
	s_or_b32 exec_lo, exec_lo, s2
	v_add_nc_u32_e32 v15, 16, v15
	s_add_co_i32 s3, s3, 1
	s_wait_storecnt_dscnt 0x0
	s_cmp_eq_u32 s3, s29
	s_cbranch_scc1 .LBB72_111
.LBB72_95:                              ; =>This Loop Header: Depth=1
                                        ;     Child Loop BB72_110 Depth 2
	s_mov_b32 s2, exec_lo
	v_cmpx_eq_u32_e64 s3, v17
	s_cbranch_execz .LBB72_103
; %bb.96:                               ;   in Loop: Header=BB72_95 Depth=1
	ds_load_b128 v[4:7], v13
	ds_load_b128 v[20:23], v12
	s_mov_b32 s5, exec_lo
	s_wait_dscnt 0x0
	v_add_f64_e64 v[0:1], v[20:21], -v[4:5]
	v_add_f64_e64 v[8:9], v[22:23], -v[6:7]
                                        ; implicit-def: $vgpr6_vgpr7
	s_delay_alu instid0(VALU_DEP_2) | instskip(SKIP_1) | instid1(VALU_DEP_3)
	v_cmp_gt_f64_e32 vcc_lo, 0, v[0:1]
	v_xor_b32_e32 v3, 0x80000000, v1
	v_xor_b32_e32 v4, 0x80000000, v9
	s_delay_alu instid0(VALU_DEP_2) | instskip(SKIP_1) | instid1(VALU_DEP_3)
	v_cndmask_b32_e32 v1, v1, v3, vcc_lo
	v_cmp_gt_f64_e32 vcc_lo, 0, v[8:9]
	v_dual_cndmask_b32 v5, v9, v4 :: v_dual_mov_b32 v4, v8
	s_delay_alu instid0(VALU_DEP_1)
	v_cmpx_ngt_f64_e32 v[0:1], v[4:5]
	s_xor_b32 s5, exec_lo, s5
	s_cbranch_execz .LBB72_100
; %bb.97:                               ;   in Loop: Header=BB72_95 Depth=1
	v_mov_b64_e32 v[6:7], 0
	s_mov_b32 s12, exec_lo
	v_cmpx_neq_f64_e32 0, v[8:9]
	s_cbranch_execz .LBB72_99
; %bb.98:                               ;   in Loop: Header=BB72_95 Depth=1
	v_div_scale_f64 v[6:7], null, v[4:5], v[4:5], v[0:1]
	v_div_scale_f64 v[22:23], vcc_lo, v[0:1], v[4:5], v[0:1]
	s_delay_alu instid0(VALU_DEP_2) | instskip(SKIP_1) | instid1(TRANS32_DEP_1)
	v_rcp_f64_e32 v[8:9], v[6:7]
	v_nop
	v_fma_f64 v[20:21], -v[6:7], v[8:9], 1.0
	s_delay_alu instid0(VALU_DEP_1) | instskip(NEXT) | instid1(VALU_DEP_1)
	v_fmac_f64_e32 v[8:9], v[8:9], v[20:21]
	v_fma_f64 v[20:21], -v[6:7], v[8:9], 1.0
	s_delay_alu instid0(VALU_DEP_1) | instskip(NEXT) | instid1(VALU_DEP_1)
	v_fmac_f64_e32 v[8:9], v[8:9], v[20:21]
	v_mul_f64_e32 v[20:21], v[22:23], v[8:9]
	s_delay_alu instid0(VALU_DEP_1) | instskip(NEXT) | instid1(VALU_DEP_1)
	v_fma_f64 v[6:7], -v[6:7], v[20:21], v[22:23]
	v_div_fmas_f64 v[6:7], v[6:7], v[8:9], v[20:21]
	s_delay_alu instid0(VALU_DEP_1) | instskip(NEXT) | instid1(VALU_DEP_1)
	v_div_fixup_f64 v[0:1], v[6:7], v[4:5], v[0:1]
	v_fma_f64 v[0:1], v[0:1], v[0:1], 1.0
	s_delay_alu instid0(VALU_DEP_1) | instskip(SKIP_1) | instid1(VALU_DEP_1)
	v_cmp_gt_f64_e32 vcc_lo, 0x10000000, v[0:1]
	v_cndmask_b32_e64 v3, 0, 0x100, vcc_lo
	v_ldexp_f64 v[0:1], v[0:1], v3
	v_cndmask_b32_e64 v3, 0, 0xffffff80, vcc_lo
	s_delay_alu instid0(VALU_DEP_2) | instskip(SKIP_1) | instid1(TRANS32_DEP_1)
	v_rsq_f64_e32 v[6:7], v[0:1]
	v_cmp_class_f64_e64 vcc_lo, v[0:1], 0x260
	v_mul_f64_e32 v[8:9], v[0:1], v[6:7]
	v_mul_f64_e32 v[6:7], 0.5, v[6:7]
	s_delay_alu instid0(VALU_DEP_1) | instskip(NEXT) | instid1(VALU_DEP_1)
	v_fma_f64 v[20:21], -v[6:7], v[8:9], 0.5
	v_fmac_f64_e32 v[8:9], v[8:9], v[20:21]
	v_fmac_f64_e32 v[6:7], v[6:7], v[20:21]
	s_delay_alu instid0(VALU_DEP_2) | instskip(NEXT) | instid1(VALU_DEP_1)
	v_fma_f64 v[20:21], -v[8:9], v[8:9], v[0:1]
	v_fmac_f64_e32 v[8:9], v[20:21], v[6:7]
	s_delay_alu instid0(VALU_DEP_1) | instskip(NEXT) | instid1(VALU_DEP_1)
	v_fma_f64 v[20:21], -v[8:9], v[8:9], v[0:1]
	v_fmac_f64_e32 v[8:9], v[20:21], v[6:7]
	s_delay_alu instid0(VALU_DEP_1) | instskip(NEXT) | instid1(VALU_DEP_1)
	v_ldexp_f64 v[6:7], v[8:9], v3
	v_dual_cndmask_b32 v1, v7, v1 :: v_dual_cndmask_b32 v0, v6, v0
	s_delay_alu instid0(VALU_DEP_1)
	v_mul_f64_e32 v[6:7], v[4:5], v[0:1]
.LBB72_99:                              ;   in Loop: Header=BB72_95 Depth=1
	s_or_b32 exec_lo, exec_lo, s12
                                        ; implicit-def: $vgpr0_vgpr1
                                        ; implicit-def: $vgpr4_vgpr5
.LBB72_100:                             ;   in Loop: Header=BB72_95 Depth=1
	s_and_not1_saveexec_b32 s5, s5
	s_cbranch_execz .LBB72_102
; %bb.101:                              ;   in Loop: Header=BB72_95 Depth=1
	v_div_scale_f64 v[6:7], null, v[0:1], v[0:1], v[4:5]
	v_div_scale_f64 v[22:23], vcc_lo, v[4:5], v[0:1], v[4:5]
	s_delay_alu instid0(VALU_DEP_2) | instskip(SKIP_1) | instid1(TRANS32_DEP_1)
	v_rcp_f64_e32 v[8:9], v[6:7]
	v_nop
	v_fma_f64 v[20:21], -v[6:7], v[8:9], 1.0
	s_delay_alu instid0(VALU_DEP_1) | instskip(NEXT) | instid1(VALU_DEP_1)
	v_fmac_f64_e32 v[8:9], v[8:9], v[20:21]
	v_fma_f64 v[20:21], -v[6:7], v[8:9], 1.0
	s_delay_alu instid0(VALU_DEP_1) | instskip(NEXT) | instid1(VALU_DEP_1)
	v_fmac_f64_e32 v[8:9], v[8:9], v[20:21]
	v_mul_f64_e32 v[20:21], v[22:23], v[8:9]
	s_delay_alu instid0(VALU_DEP_1) | instskip(NEXT) | instid1(VALU_DEP_1)
	v_fma_f64 v[6:7], -v[6:7], v[20:21], v[22:23]
	v_div_fmas_f64 v[6:7], v[6:7], v[8:9], v[20:21]
	s_delay_alu instid0(VALU_DEP_1) | instskip(NEXT) | instid1(VALU_DEP_1)
	v_div_fixup_f64 v[4:5], v[6:7], v[0:1], v[4:5]
	v_fma_f64 v[4:5], v[4:5], v[4:5], 1.0
	s_delay_alu instid0(VALU_DEP_1) | instskip(SKIP_1) | instid1(VALU_DEP_1)
	v_cmp_gt_f64_e32 vcc_lo, 0x10000000, v[4:5]
	v_cndmask_b32_e64 v3, 0, 0x100, vcc_lo
	v_ldexp_f64 v[4:5], v[4:5], v3
	v_cndmask_b32_e64 v3, 0, 0xffffff80, vcc_lo
	s_delay_alu instid0(VALU_DEP_2) | instskip(SKIP_1) | instid1(TRANS32_DEP_1)
	v_rsq_f64_e32 v[6:7], v[4:5]
	v_cmp_class_f64_e64 vcc_lo, v[4:5], 0x260
	v_mul_f64_e32 v[8:9], v[4:5], v[6:7]
	v_mul_f64_e32 v[6:7], 0.5, v[6:7]
	s_delay_alu instid0(VALU_DEP_1) | instskip(NEXT) | instid1(VALU_DEP_1)
	v_fma_f64 v[20:21], -v[6:7], v[8:9], 0.5
	v_fmac_f64_e32 v[8:9], v[8:9], v[20:21]
	v_fmac_f64_e32 v[6:7], v[6:7], v[20:21]
	s_delay_alu instid0(VALU_DEP_2) | instskip(NEXT) | instid1(VALU_DEP_1)
	v_fma_f64 v[20:21], -v[8:9], v[8:9], v[4:5]
	v_fmac_f64_e32 v[8:9], v[20:21], v[6:7]
	s_delay_alu instid0(VALU_DEP_1) | instskip(NEXT) | instid1(VALU_DEP_1)
	v_fma_f64 v[20:21], -v[8:9], v[8:9], v[4:5]
	v_fmac_f64_e32 v[8:9], v[20:21], v[6:7]
	s_delay_alu instid0(VALU_DEP_1) | instskip(NEXT) | instid1(VALU_DEP_1)
	v_ldexp_f64 v[6:7], v[8:9], v3
	v_dual_cndmask_b32 v5, v7, v5 :: v_dual_cndmask_b32 v4, v6, v4
	s_delay_alu instid0(VALU_DEP_1)
	v_mul_f64_e32 v[6:7], v[0:1], v[4:5]
.LBB72_102:                             ;   in Loop: Header=BB72_95 Depth=1
	s_or_b32 exec_lo, exec_lo, s5
	s_delay_alu instid0(VALU_DEP_1) | instskip(SKIP_2) | instid1(VALU_DEP_2)
	v_cmp_gt_f64_e32 vcc_lo, 0x10000000, v[6:7]
	v_cndmask_b32_e64 v0, 0, 0x100, vcc_lo
	v_cndmask_b32_e64 v3, 0, 0xffffff80, vcc_lo
	v_ldexp_f64 v[0:1], v[6:7], v0
	s_delay_alu instid0(VALU_DEP_1) | instskip(SKIP_1) | instid1(TRANS32_DEP_1)
	v_rsq_f64_e32 v[4:5], v[0:1]
	v_cmp_class_f64_e64 vcc_lo, v[0:1], 0x260
	v_mul_f64_e32 v[6:7], v[0:1], v[4:5]
	v_mul_f64_e32 v[4:5], 0.5, v[4:5]
	s_delay_alu instid0(VALU_DEP_1) | instskip(NEXT) | instid1(VALU_DEP_1)
	v_fma_f64 v[8:9], -v[4:5], v[6:7], 0.5
	v_fmac_f64_e32 v[6:7], v[6:7], v[8:9]
	v_fmac_f64_e32 v[4:5], v[4:5], v[8:9]
	s_delay_alu instid0(VALU_DEP_2) | instskip(NEXT) | instid1(VALU_DEP_1)
	v_fma_f64 v[8:9], -v[6:7], v[6:7], v[0:1]
	v_fmac_f64_e32 v[6:7], v[8:9], v[4:5]
	s_delay_alu instid0(VALU_DEP_1) | instskip(NEXT) | instid1(VALU_DEP_1)
	v_fma_f64 v[8:9], -v[6:7], v[6:7], v[0:1]
	v_fmac_f64_e32 v[6:7], v[8:9], v[4:5]
	s_delay_alu instid0(VALU_DEP_1) | instskip(NEXT) | instid1(VALU_DEP_1)
	v_ldexp_f64 v[4:5], v[6:7], v3
	v_dual_mov_b32 v3, v2 :: v_dual_cndmask_b32 v1, v5, v1, vcc_lo
	s_delay_alu instid0(VALU_DEP_2)
	v_cndmask_b32_e32 v0, v4, v0, vcc_lo
	ds_store_b128 v12, v[0:3]
.LBB72_103:                             ;   in Loop: Header=BB72_95 Depth=1
	s_or_b32 exec_lo, exec_lo, s2
	s_lshl_b32 s5, s3, 4
	s_mul_i32 s2, s3, 0x210
	s_wait_dscnt 0x0
	s_add_co_i32 s2, s2, s5
	s_delay_alu instid0(SALU_CYCLE_1)
	v_dual_mov_b32 v0, s2 :: v_dual_add_nc_u32 v3, s5, v10
	ds_load_b128 v[4:7], v3
	ds_load_b128 v[20:23], v0 offset:16896
	s_wait_dscnt 0x0
	v_cmp_neq_f64_e32 vcc_lo, 0, v[20:21]
	v_cmp_neq_f64_e64 s2, 0, v[22:23]
	s_or_b32 vcc_lo, vcc_lo, s2
	v_dual_cndmask_b32 v9, 0, v23 :: v_dual_cndmask_b32 v8, 0, v22
	v_cndmask_b32_e32 v1, 0x3ff00000, v21, vcc_lo
	v_cndmask_b32_e32 v0, 0, v20, vcc_lo
	s_nor_b32 s5, vcc_lo, s1
	s_delay_alu instid0(SALU_CYCLE_1)
	s_and_saveexec_b32 s2, s5
	s_cbranch_execz .LBB72_107
; %bb.104:                              ;   in Loop: Header=BB72_95 Depth=1
	v_mbcnt_lo_u32_b32 v0, exec_lo, 0
	s_mov_b32 s5, exec_lo
	s_delay_alu instid0(VALU_DEP_1)
	v_cmpx_eq_u32_e32 0, v0
	s_cbranch_execz .LBB72_106
; %bb.105:                              ;   in Loop: Header=BB72_95 Depth=1
	v_mov_b32_e32 v0, s4
	global_atomic_min_i32 v2, v0, s[10:11] scope:SCOPE_DEV
.LBB72_106:                             ;   in Loop: Header=BB72_95 Depth=1
	s_wait_xcnt 0x0
	s_or_b32 exec_lo, exec_lo, s5
	v_mov_b64_e32 v[0:1], 1.0
	v_mov_b64_e32 v[8:9], 0
.LBB72_107:                             ;   in Loop: Header=BB72_95 Depth=1
	s_or_b32 exec_lo, exec_lo, s2
	s_delay_alu instid0(SALU_CYCLE_1)
	s_mov_b32 s2, exec_lo
	v_cmpx_lt_u32_e64 s3, v17
	s_cbranch_execz .LBB72_94
; %bb.108:                              ;   in Loop: Header=BB72_95 Depth=1
	s_delay_alu instid0(VALU_DEP_2) | instskip(NEXT) | instid1(VALU_DEP_1)
	v_mul_f64_e32 v[24:25], v[8:9], v[8:9]
	v_fmac_f64_e32 v[24:25], v[0:1], v[0:1]
	s_delay_alu instid0(VALU_DEP_1) | instskip(SKIP_1) | instid1(VALU_DEP_2)
	v_div_scale_f64 v[26:27], null, v[24:25], v[24:25], 1.0
	v_div_scale_f64 v[30:31], vcc_lo, 1.0, v[24:25], 1.0
	v_rcp_f64_e32 v[28:29], v[26:27]
	v_nop
	s_delay_alu instid0(TRANS32_DEP_1) | instskip(NEXT) | instid1(VALU_DEP_1)
	v_fma_f64 v[20:21], -v[26:27], v[28:29], 1.0
	v_fmac_f64_e32 v[28:29], v[28:29], v[20:21]
	s_delay_alu instid0(VALU_DEP_1) | instskip(NEXT) | instid1(VALU_DEP_1)
	v_fma_f64 v[20:21], -v[26:27], v[28:29], 1.0
	v_fmac_f64_e32 v[28:29], v[28:29], v[20:21]
	v_lshl_add_u32 v20, s3, 4, v11
	ds_load_b128 v[20:23], v20
	s_wait_dscnt 0x0
	v_add_f64_e64 v[6:7], v[6:7], -v[22:23]
	v_add_f64_e64 v[4:5], v[4:5], -v[20:21]
	v_mul_f64_e32 v[32:33], v[30:31], v[28:29]
	s_delay_alu instid0(VALU_DEP_3) | instskip(NEXT) | instid1(VALU_DEP_3)
	v_mul_f64_e32 v[20:21], v[8:9], v[6:7]
	v_mul_f64_e64 v[8:9], v[8:9], -v[4:5]
	s_delay_alu instid0(VALU_DEP_3) | instskip(NEXT) | instid1(VALU_DEP_3)
	v_fma_f64 v[22:23], -v[26:27], v[32:33], v[30:31]
	v_fmac_f64_e32 v[20:21], v[4:5], v[0:1]
	s_delay_alu instid0(VALU_DEP_3) | instskip(NEXT) | instid1(VALU_DEP_3)
	v_fmac_f64_e32 v[8:9], v[6:7], v[0:1]
	v_div_fmas_f64 v[22:23], v[22:23], v[28:29], v[32:33]
	s_delay_alu instid0(VALU_DEP_1) | instskip(NEXT) | instid1(VALU_DEP_1)
	v_div_fixup_f64 v[22:23], v[22:23], v[24:25], 1.0
	v_mul_f64_e32 v[4:5], v[22:23], v[20:21]
	s_delay_alu instid0(VALU_DEP_4)
	v_mul_f64_e32 v[6:7], v[22:23], v[8:9]
	ds_store_b128 v3, v[4:7]
	s_wait_storecnt_dscnt 0x0
	s_and_b32 exec_lo, exec_lo, s0
	s_cbranch_execz .LBB72_94
; %bb.109:                              ;   in Loop: Header=BB72_95 Depth=1
	v_dual_mov_b32 v0, v15 :: v_dual_mov_b32 v1, v14
	v_mov_b32_e32 v3, v16
	s_mov_b32 s5, 0
.LBB72_110:                             ;   Parent Loop BB72_95 Depth=1
                                        ; =>  This Inner Loop Header: Depth=2
	ds_load_b128 v[20:23], v0
	ds_load_b128 v[24:27], v1
	v_add_nc_u32_e32 v3, 2, v3
	v_add_nc_u32_e32 v0, 0x420, v0
	s_delay_alu instid0(VALU_DEP_2) | instskip(SKIP_4) | instid1(VALU_DEP_2)
	v_cmp_le_i32_e32 vcc_lo, s29, v3
	s_or_b32 s5, vcc_lo, s5
	s_wait_dscnt 0x0
	v_fmac_f64_e32 v[24:25], v[4:5], v[20:21]
	v_fmac_f64_e32 v[26:27], v[6:7], v[20:21]
	;; [unrolled: 1-line block ×3, first 2 shown]
	s_delay_alu instid0(VALU_DEP_2)
	v_fma_f64 v[26:27], v[4:5], -v[22:23], v[26:27]
	ds_store_b128 v1, v[24:27]
	v_add_nc_u32_e32 v1, 32, v1
	s_and_not1_b32 exec_lo, exec_lo, s5
	s_cbranch_execnz .LBB72_110
	s_branch .LBB72_94
.LBB72_111:
	s_and_saveexec_b32 s1, s0
	s_cbranch_execz .LBB72_120
; %bb.112:
	s_mul_i32 s28, s28, s29
	v_cmp_gt_i32_e64 s0, s29, v17
	v_dual_add_nc_u32 v0, s28, v17 :: v_dual_mov_b32 v2, v16
	v_add3_u32 v1, v18, v19, 0x4200
	s_cmp_lg_u32 s30, 0
	s_mov_b32 s2, 0
	s_delay_alu instid0(VALU_DEP_2)
	v_mul_lo_u32 v0, v0, s29
	s_cselect_b32 s3, -1, 0
	s_branch .LBB72_116
.LBB72_113:                             ;   in Loop: Header=BB72_116 Depth=1
	s_delay_alu instid0(VALU_DEP_1)
	v_add_nc_u32_e32 v3, v0, v2
.LBB72_114:                             ;   in Loop: Header=BB72_116 Depth=1
	ds_load_2addr_b64 v[4:7], v1 offset1:1
	s_wait_dscnt 0x0
	global_store_b128 v3, v[4:7], s[18:19] scale_offset
.LBB72_115:                             ;   in Loop: Header=BB72_116 Depth=1
	s_wait_xcnt 0x0
	s_or_b32 exec_lo, exec_lo, s4
	v_dual_add_nc_u32 v2, 2, v2 :: v_dual_add_nc_u32 v1, 32, v1
	s_delay_alu instid0(VALU_DEP_1) | instskip(SKIP_1) | instid1(SALU_CYCLE_1)
	v_cmp_le_i32_e32 vcc_lo, s29, v2
	s_or_b32 s2, vcc_lo, s2
	s_and_not1_b32 exec_lo, exec_lo, s2
	s_cbranch_execz .LBB72_120
.LBB72_116:                             ; =>This Inner Loop Header: Depth=1
	s_and_saveexec_b32 s4, s0
	s_cbranch_execz .LBB72_115
; %bb.117:                              ;   in Loop: Header=BB72_116 Depth=1
	s_and_b32 vcc_lo, exec_lo, s3
	s_cbranch_vccz .LBB72_119
; %bb.118:                              ;   in Loop: Header=BB72_116 Depth=1
	v_add_nc_u32_e32 v3, s28, v2
	s_delay_alu instid0(VALU_DEP_1)
	v_mad_u32 v3, v3, s29, v17
	s_cbranch_execnz .LBB72_114
	s_branch .LBB72_113
.LBB72_119:                             ;   in Loop: Header=BB72_116 Depth=1
                                        ; implicit-def: $vgpr3
	s_branch .LBB72_113
.LBB72_120:
	s_or_b32 exec_lo, exec_lo, s1
	v_or_b32_e32 v0, v16, v17
	s_mov_b32 s0, 0
	s_mov_b32 s1, exec_lo
	s_delay_alu instid0(VALU_DEP_1)
	v_cmpx_eq_u32_e32 0, v0
	s_cbranch_execz .LBB72_122
; %bb.121:
	v_dual_mov_b32 v0, 0 :: v_dual_mov_b32 v1, 1
	s_add_nc_u64 s[2:3], s[6:7], s[8:9]
	global_wb scope:SCOPE_DEV
	s_wait_storecnt 0x0
	global_store_b32 v0, v1, s[2:3] scope:SCOPE_DEV
.LBB72_122:
	s_wait_xcnt 0x0
	s_or_b32 exec_lo, exec_lo, s1
	s_delay_alu instid0(SALU_CYCLE_1)
	s_and_b32 vcc_lo, exec_lo, s0
	s_cbranch_vccnz .LBB72_125
.LBB72_123:
	s_endpgm
.LBB72_124:
	s_cbranch_execz .LBB72_123
.LBB72_125:
	v_or_b32_e32 v0, v16, v17
	s_mov_b32 s0, exec_lo
	s_delay_alu instid0(VALU_DEP_1)
	v_cmpx_eq_u32_e32 0, v0
	s_cbranch_execz .LBB72_123
; %bb.126:
	v_mbcnt_lo_u32_b32 v0, exec_lo, 0
	s_mov_b32 s0, exec_lo
	s_delay_alu instid0(VALU_DEP_1)
	v_cmpx_eq_u32_e32 0, v0
	s_cbranch_execz .LBB72_128
; %bb.127:
	s_add_co_i32 s1, s16, s17
	s_delay_alu instid0(SALU_CYCLE_1)
	v_dual_mov_b32 v0, 0 :: v_dual_mov_b32 v1, s1
	global_atomic_min_i32 v0, v1, s[10:11] scope:SCOPE_DEV
.LBB72_128:
	s_wait_xcnt 0x0
	s_or_b32 exec_lo, exec_lo, s0
	v_dual_mov_b32 v0, 0 :: v_dual_mov_b32 v1, 1
	s_add_nc_u64 s[0:1], s[6:7], s[8:9]
	global_wb scope:SCOPE_DEV
	s_wait_storecnt 0x0
	global_store_b32 v0, v1, s[0:1] scope:SCOPE_DEV
	s_endpgm
	.section	.rodata,"a",@progbits
	.p2align	6, 0x0
	.amdhsa_kernel _ZN9rocsparseL19bsric0_17_32_kernelILi64ELi64ELi32E21rocsparse_complex_numIdEEEv20rocsparse_direction_iiPKiS5_PT2_S5_PiS5_S8_21rocsparse_index_base_
		.amdhsa_group_segment_fixed_size 51456
		.amdhsa_private_segment_fixed_size 0
		.amdhsa_kernarg_size 76
		.amdhsa_user_sgpr_count 2
		.amdhsa_user_sgpr_dispatch_ptr 0
		.amdhsa_user_sgpr_queue_ptr 0
		.amdhsa_user_sgpr_kernarg_segment_ptr 1
		.amdhsa_user_sgpr_dispatch_id 0
		.amdhsa_user_sgpr_kernarg_preload_length 0
		.amdhsa_user_sgpr_kernarg_preload_offset 0
		.amdhsa_user_sgpr_private_segment_size 0
		.amdhsa_wavefront_size32 1
		.amdhsa_uses_dynamic_stack 0
		.amdhsa_enable_private_segment 0
		.amdhsa_system_sgpr_workgroup_id_x 1
		.amdhsa_system_sgpr_workgroup_id_y 0
		.amdhsa_system_sgpr_workgroup_id_z 0
		.amdhsa_system_sgpr_workgroup_info 0
		.amdhsa_system_vgpr_workitem_id 1
		.amdhsa_next_free_vgpr 257
		.amdhsa_next_free_sgpr 45
		.amdhsa_named_barrier_count 0
		.amdhsa_reserve_vcc 1
		.amdhsa_float_round_mode_32 0
		.amdhsa_float_round_mode_16_64 0
		.amdhsa_float_denorm_mode_32 3
		.amdhsa_float_denorm_mode_16_64 3
		.amdhsa_fp16_overflow 0
		.amdhsa_memory_ordered 1
		.amdhsa_forward_progress 1
		.amdhsa_inst_pref_size 38
		.amdhsa_round_robin_scheduling 0
		.amdhsa_exception_fp_ieee_invalid_op 0
		.amdhsa_exception_fp_denorm_src 0
		.amdhsa_exception_fp_ieee_div_zero 0
		.amdhsa_exception_fp_ieee_overflow 0
		.amdhsa_exception_fp_ieee_underflow 0
		.amdhsa_exception_fp_ieee_inexact 0
		.amdhsa_exception_int_div_zero 0
	.end_amdhsa_kernel
	.section	.text._ZN9rocsparseL19bsric0_17_32_kernelILi64ELi64ELi32E21rocsparse_complex_numIdEEEv20rocsparse_direction_iiPKiS5_PT2_S5_PiS5_S8_21rocsparse_index_base_,"axG",@progbits,_ZN9rocsparseL19bsric0_17_32_kernelILi64ELi64ELi32E21rocsparse_complex_numIdEEEv20rocsparse_direction_iiPKiS5_PT2_S5_PiS5_S8_21rocsparse_index_base_,comdat
.Lfunc_end72:
	.size	_ZN9rocsparseL19bsric0_17_32_kernelILi64ELi64ELi32E21rocsparse_complex_numIdEEEv20rocsparse_direction_iiPKiS5_PT2_S5_PiS5_S8_21rocsparse_index_base_, .Lfunc_end72-_ZN9rocsparseL19bsric0_17_32_kernelILi64ELi64ELi32E21rocsparse_complex_numIdEEEv20rocsparse_direction_iiPKiS5_PT2_S5_PiS5_S8_21rocsparse_index_base_
                                        ; -- End function
	.set _ZN9rocsparseL19bsric0_17_32_kernelILi64ELi64ELi32E21rocsparse_complex_numIdEEEv20rocsparse_direction_iiPKiS5_PT2_S5_PiS5_S8_21rocsparse_index_base_.num_vgpr, 38
	.set _ZN9rocsparseL19bsric0_17_32_kernelILi64ELi64ELi32E21rocsparse_complex_numIdEEEv20rocsparse_direction_iiPKiS5_PT2_S5_PiS5_S8_21rocsparse_index_base_.num_agpr, 0
	.set _ZN9rocsparseL19bsric0_17_32_kernelILi64ELi64ELi32E21rocsparse_complex_numIdEEEv20rocsparse_direction_iiPKiS5_PT2_S5_PiS5_S8_21rocsparse_index_base_.numbered_sgpr, 45
	.set _ZN9rocsparseL19bsric0_17_32_kernelILi64ELi64ELi32E21rocsparse_complex_numIdEEEv20rocsparse_direction_iiPKiS5_PT2_S5_PiS5_S8_21rocsparse_index_base_.num_named_barrier, 0
	.set _ZN9rocsparseL19bsric0_17_32_kernelILi64ELi64ELi32E21rocsparse_complex_numIdEEEv20rocsparse_direction_iiPKiS5_PT2_S5_PiS5_S8_21rocsparse_index_base_.private_seg_size, 0
	.set _ZN9rocsparseL19bsric0_17_32_kernelILi64ELi64ELi32E21rocsparse_complex_numIdEEEv20rocsparse_direction_iiPKiS5_PT2_S5_PiS5_S8_21rocsparse_index_base_.uses_vcc, 1
	.set _ZN9rocsparseL19bsric0_17_32_kernelILi64ELi64ELi32E21rocsparse_complex_numIdEEEv20rocsparse_direction_iiPKiS5_PT2_S5_PiS5_S8_21rocsparse_index_base_.uses_flat_scratch, 0
	.set _ZN9rocsparseL19bsric0_17_32_kernelILi64ELi64ELi32E21rocsparse_complex_numIdEEEv20rocsparse_direction_iiPKiS5_PT2_S5_PiS5_S8_21rocsparse_index_base_.has_dyn_sized_stack, 0
	.set _ZN9rocsparseL19bsric0_17_32_kernelILi64ELi64ELi32E21rocsparse_complex_numIdEEEv20rocsparse_direction_iiPKiS5_PT2_S5_PiS5_S8_21rocsparse_index_base_.has_recursion, 0
	.set _ZN9rocsparseL19bsric0_17_32_kernelILi64ELi64ELi32E21rocsparse_complex_numIdEEEv20rocsparse_direction_iiPKiS5_PT2_S5_PiS5_S8_21rocsparse_index_base_.has_indirect_call, 0
	.section	.AMDGPU.csdata,"",@progbits
; Kernel info:
; codeLenInByte = 4788
; TotalNumSgprs: 47
; NumVgprs: 38
; ScratchSize: 0
; MemoryBound: 1
; FloatMode: 240
; IeeeMode: 1
; LDSByteSize: 51456 bytes/workgroup (compile time only)
; SGPRBlocks: 0
; VGPRBlocks: 16
; NumSGPRsForWavesPerEU: 47
; NumVGPRsForWavesPerEU: 257
; NamedBarCnt: 0
; Occupancy: 3
; WaveLimiterHint : 1
; COMPUTE_PGM_RSRC2:SCRATCH_EN: 0
; COMPUTE_PGM_RSRC2:USER_SGPR: 2
; COMPUTE_PGM_RSRC2:TRAP_HANDLER: 0
; COMPUTE_PGM_RSRC2:TGID_X_EN: 1
; COMPUTE_PGM_RSRC2:TGID_Y_EN: 0
; COMPUTE_PGM_RSRC2:TGID_Z_EN: 0
; COMPUTE_PGM_RSRC2:TIDIG_COMP_CNT: 1
	.section	.text._ZN9rocsparseL17bsric0_2_8_kernelILi64ELi128ELi8E21rocsparse_complex_numIdEEEv20rocsparse_direction_iiPKiS5_PT2_S5_PiS5_S8_21rocsparse_index_base_,"axG",@progbits,_ZN9rocsparseL17bsric0_2_8_kernelILi64ELi128ELi8E21rocsparse_complex_numIdEEEv20rocsparse_direction_iiPKiS5_PT2_S5_PiS5_S8_21rocsparse_index_base_,comdat
	.globl	_ZN9rocsparseL17bsric0_2_8_kernelILi64ELi128ELi8E21rocsparse_complex_numIdEEEv20rocsparse_direction_iiPKiS5_PT2_S5_PiS5_S8_21rocsparse_index_base_ ; -- Begin function _ZN9rocsparseL17bsric0_2_8_kernelILi64ELi128ELi8E21rocsparse_complex_numIdEEEv20rocsparse_direction_iiPKiS5_PT2_S5_PiS5_S8_21rocsparse_index_base_
	.p2align	8
	.type	_ZN9rocsparseL17bsric0_2_8_kernelILi64ELi128ELi8E21rocsparse_complex_numIdEEEv20rocsparse_direction_iiPKiS5_PT2_S5_PiS5_S8_21rocsparse_index_base_,@function
_ZN9rocsparseL17bsric0_2_8_kernelILi64ELi128ELi8E21rocsparse_complex_numIdEEEv20rocsparse_direction_iiPKiS5_PT2_S5_PiS5_S8_21rocsparse_index_base_: ; @_ZN9rocsparseL17bsric0_2_8_kernelILi64ELi128ELi8E21rocsparse_complex_numIdEEEv20rocsparse_direction_iiPKiS5_PT2_S5_PiS5_S8_21rocsparse_index_base_
; %bb.0:
	s_load_b256 s[4:11], s[0:1], 0x28
	s_bfe_u32 s2, ttmp6, 0x4000c
	s_and_b32 s3, ttmp6, 15
	s_add_co_i32 s2, s2, 1
	s_getreg_b32 s12, hwreg(HW_REG_IB_STS2, 6, 4)
	s_mul_i32 s2, ttmp9, s2
	v_and_b32_e32 v16, 0x3ff, v0
	s_add_co_i32 s3, s3, s2
	s_cmp_eq_u32 s12, 0
	v_bfe_u32 v17, v0, 10, 10
	s_cselect_b32 s2, ttmp9, s3
	s_wait_kmcnt 0x0
	s_load_b32 s16, s[8:9], s2 offset:0x0 scale_offset
	s_wait_kmcnt 0x0
	s_ashr_i32 s17, s16, 31
	s_delay_alu instid0(SALU_CYCLE_1) | instskip(NEXT) | instid1(SALU_CYCLE_1)
	s_lshl_b64 s[8:9], s[16:17], 2
	s_add_nc_u64 s[2:3], s[4:5], s[8:9]
	s_load_b32 s29, s[2:3], 0x0
	s_load_b32 s17, s[0:1], 0x48
	s_wait_kmcnt 0x0
	s_cmp_lg_u32 s29, -1
	s_cbranch_scc0 .LBB73_91
; %bb.1:
	s_clause 0x1
	s_load_b128 s[12:15], s[0:1], 0x10
	s_load_b64 s[18:19], s[0:1], 0x20
	s_wait_kmcnt 0x0
	s_add_nc_u64 s[2:3], s[12:13], s[8:9]
	s_load_b32 s3, s[2:3], 0x0
	s_wait_xcnt 0x0
	s_mov_b32 s2, exec_lo
	s_wait_kmcnt 0x0
	s_sub_co_i32 s30, s3, s17
	v_lshlrev_b32_e32 v1, 3, v17
	s_delay_alu instid0(VALU_DEP_1) | instskip(NEXT) | instid1(VALU_DEP_1)
	v_add_nc_u32_e32 v2, v1, v16
	v_add_nc_u32_e32 v0, s30, v2
	s_delay_alu instid0(VALU_DEP_1)
	v_cmpx_ge_i32_e64 s29, v0
	s_cbranch_execz .LBB73_13
; %bb.2:
	v_dual_add_nc_u32 v2, s3, v2 :: v_dual_add_nc_u32 v1, s3, v1
	s_add_co_i32 s20, s29, 1
	v_not_b32_e32 v3, v16
	s_mov_b32 s21, -1
	s_delay_alu instid0(VALU_DEP_2) | instskip(NEXT) | instid1(VALU_DEP_1)
	v_subrev_nc_u32_e32 v2, s17, v2
	v_add_max_i32_e64 v2, v2, 64, s20
	s_mov_b32 s20, exec_lo
	s_delay_alu instid0(VALU_DEP_1) | instskip(NEXT) | instid1(VALU_DEP_1)
	v_add3_u32 v2, s17, v2, v3
	v_sub_nc_u32_e32 v1, v2, v1
	s_delay_alu instid0(VALU_DEP_1)
	v_cmpx_lt_u32_e32 63, v1
	s_cbranch_execz .LBB73_10
; %bb.3:
	v_dual_lshrrev_b32 v4, 6, v1 :: v_dual_add_nc_u32 v1, 64, v0
	s_delay_alu instid0(VALU_DEP_1) | instskip(NEXT) | instid1(VALU_DEP_1)
	v_add_nc_u32_e32 v2, -1, v4
	v_lshrrev_b32_e32 v3, 1, v2
	s_delay_alu instid0(VALU_DEP_1)
	v_add_nc_u32_e32 v5, 1, v3
	v_cmp_lt_u32_e32 vcc_lo, 13, v2
	v_mov_b64_e32 v[2:3], v[0:1]
	s_and_saveexec_b32 s21, vcc_lo
	s_cbranch_execz .LBB73_7
; %bb.4:
	v_mov_b64_e32 v[2:3], v[0:1]
	v_and_b32_e32 v6, -8, v5
	s_mov_b32 s22, 0
.LBB73_5:                               ; =>This Inner Loop Header: Depth=1
	s_clause 0x1
	global_load_b32 v1, v2, s[14:15] scale_offset
	global_load_b32 v7, v3, s[14:15] scale_offset
	v_add_nc_u32_e32 v14, 0x200, v3
	v_add_nc_u32_e32 v12, 0x180, v3
	;; [unrolled: 1-line block ×14, first 2 shown]
	s_clause 0xd
	global_load_b32 v24, v14, s[14:15] scale_offset
	global_load_b32 v25, v12, s[14:15] scale_offset
	;; [unrolled: 1-line block ×14, first 2 shown]
	v_subrev_nc_u32_e32 v38, s30, v2
	v_subrev_nc_u32_e32 v39, s30, v3
	v_add_nc_u32_e32 v6, -8, v6
	s_wait_xcnt 0x9
	v_subrev_nc_u32_e32 v9, s30, v9
	v_subrev_nc_u32_e32 v8, s30, v8
	v_dual_lshlrev_b32 v38, 2, v38 :: v_dual_lshlrev_b32 v39, 2, v39
	s_wait_xcnt 0x8
	v_subrev_nc_u32_e32 v11, s30, v11
	v_subrev_nc_u32_e32 v10, s30, v10
	v_cmp_eq_u32_e32 vcc_lo, 0, v6
	s_wait_xcnt 0x7
	v_subrev_nc_u32_e32 v13, s30, v13
	v_add_nc_u32_e32 v3, 0x400, v3
	v_subrev_nc_u32_e32 v12, s30, v12
	v_subrev_nc_u32_e32 v14, s30, v14
	s_wait_xcnt 0x6
	v_subrev_nc_u32_e32 v15, s30, v15
	s_wait_xcnt 0x3
	;; [unrolled: 2-line block ×3, first 2 shown]
	v_subrev_nc_u32_e32 v19, s30, v19
	v_subrev_nc_u32_e32 v20, s30, v20
	s_wait_xcnt 0x1
	v_subrev_nc_u32_e32 v21, s30, v21
	v_subrev_nc_u32_e32 v22, s30, v22
	s_wait_xcnt 0x0
	v_subrev_nc_u32_e32 v23, s30, v23
	v_add_nc_u32_e32 v2, 0x400, v2
	v_dual_lshlrev_b32 v9, 2, v9 :: v_dual_lshlrev_b32 v8, 2, v8
	v_dual_lshlrev_b32 v11, 2, v11 :: v_dual_lshlrev_b32 v10, 2, v10
	v_lshlrev_b32_e32 v13, 2, v13
	s_or_b32 s22, vcc_lo, s22
	v_dual_lshlrev_b32 v12, 2, v12 :: v_dual_lshlrev_b32 v15, 2, v15
	v_dual_lshlrev_b32 v14, 2, v14 :: v_dual_lshlrev_b32 v19, 2, v19
	;; [unrolled: 1-line block ×4, first 2 shown]
	v_lshlrev_b32_e32 v22, 2, v22
	s_wait_loadcnt 0xf
	v_subrev_nc_u32_e32 v1, s17, v1
	s_wait_loadcnt 0xe
	v_subrev_nc_u32_e32 v7, s17, v7
	ds_store_b32 v38, v1 offset:5632
	ds_store_b32 v39, v7 offset:5632
	s_wait_loadcnt 0xa
	v_subrev_nc_u32_e32 v1, s17, v27
	s_wait_loadcnt 0x9
	v_subrev_nc_u32_e32 v7, s17, v28
	;; [unrolled: 2-line block ×3, first 2 shown]
	v_subrev_nc_u32_e32 v26, s17, v26
	s_wait_loadcnt 0x7
	v_subrev_nc_u32_e32 v28, s17, v30
	v_subrev_nc_u32_e32 v25, s17, v25
	;; [unrolled: 1-line block ×3, first 2 shown]
	s_wait_loadcnt 0x6
	v_subrev_nc_u32_e32 v29, s17, v31
	s_wait_loadcnt 0x3
	v_subrev_nc_u32_e32 v30, s17, v34
	;; [unrolled: 2-line block ×3, first 2 shown]
	v_subrev_nc_u32_e32 v33, s17, v33
	s_wait_loadcnt 0x1
	v_subrev_nc_u32_e32 v34, s17, v36
	v_subrev_nc_u32_e32 v32, s17, v32
	s_wait_loadcnt 0x0
	v_subrev_nc_u32_e32 v35, s17, v37
	ds_store_b32 v9, v7 offset:5632
	ds_store_b32 v8, v1 offset:5632
	;; [unrolled: 1-line block ×14, first 2 shown]
	s_and_not1_b32 exec_lo, exec_lo, s22
	s_cbranch_execnz .LBB73_5
; %bb.6:
	s_or_b32 exec_lo, exec_lo, s22
.LBB73_7:
	s_delay_alu instid0(SALU_CYCLE_1) | instskip(SKIP_3) | instid1(VALU_DEP_1)
	s_or_b32 exec_lo, exec_lo, s21
	v_and_b32_e32 v1, 7, v5
	s_mov_b32 s22, 0
	s_mov_b32 s21, exec_lo
	v_cmpx_ne_u32_e32 0, v1
	s_cbranch_execz .LBB73_9
.LBB73_8:                               ; =>This Inner Loop Header: Depth=1
	s_clause 0x1
	global_load_b32 v5, v2, s[14:15] scale_offset
	global_load_b32 v6, v3, s[14:15] scale_offset
	v_subrev_nc_u32_e32 v7, s30, v2
	v_add_nc_u32_e32 v1, -1, v1
	v_subrev_nc_u32_e32 v8, s30, v3
	s_wait_xcnt 0x0
	v_add_nc_u32_e32 v3, 0x80, v3
	v_add_nc_u32_e32 v2, 0x80, v2
	v_lshlrev_b32_e32 v7, 2, v7
	v_cmp_eq_u32_e32 vcc_lo, 0, v1
	v_lshlrev_b32_e32 v8, 2, v8
	s_or_b32 s22, vcc_lo, s22
	s_wait_loadcnt 0x1
	v_subrev_nc_u32_e32 v5, s17, v5
	s_wait_loadcnt 0x0
	v_subrev_nc_u32_e32 v6, s17, v6
	ds_store_b32 v7, v5 offset:5632
	ds_store_b32 v8, v6 offset:5632
	s_and_not1_b32 exec_lo, exec_lo, s22
	s_cbranch_execnz .LBB73_8
.LBB73_9:
	s_or_b32 exec_lo, exec_lo, s21
	v_add_nc_u32_e32 v1, 1, v4
	s_delay_alu instid0(VALU_DEP_1) | instskip(NEXT) | instid1(VALU_DEP_1)
	v_and_b32_e32 v2, 0x7fffffe, v1
	v_cmp_ne_u32_e32 vcc_lo, v1, v2
	v_lshl_add_u32 v0, v2, 6, v0
	s_or_not1_b32 s21, vcc_lo, exec_lo
.LBB73_10:
	s_or_b32 exec_lo, exec_lo, s20
	s_delay_alu instid0(SALU_CYCLE_1)
	s_and_b32 exec_lo, exec_lo, s21
	s_cbranch_execz .LBB73_13
; %bb.11:
	v_add_nc_u32_e32 v1, s17, v0
	s_delay_alu instid0(VALU_DEP_1) | instskip(SKIP_2) | instid1(VALU_DEP_2)
	v_subrev_nc_u32_e32 v2, s3, v1
	v_ashrrev_i32_e32 v1, 31, v0
	s_mov_b32 s3, 0
	v_lshl_add_u32 v4, v2, 2, 0x1600
	s_delay_alu instid0(VALU_DEP_2)
	v_lshl_add_u64 v[2:3], v[0:1], 2, s[14:15]
.LBB73_12:                              ; =>This Inner Loop Header: Depth=1
	global_load_b32 v1, v[2:3], off
	v_add_nc_u32_e32 v0, 64, v0
	s_wait_xcnt 0x0
	v_add_nc_u64_e32 v[2:3], 0x100, v[2:3]
	s_delay_alu instid0(VALU_DEP_2)
	v_cmp_lt_i32_e32 vcc_lo, s29, v0
	s_or_b32 s3, vcc_lo, s3
	s_wait_loadcnt 0x0
	v_subrev_nc_u32_e32 v1, s17, v1
	ds_store_b32 v4, v1
	v_add_nc_u32_e32 v4, 0x100, v4
	s_and_not1_b32 exec_lo, exec_lo, s3
	s_cbranch_execnz .LBB73_12
.LBB73_13:
	s_or_b32 exec_lo, exec_lo, s2
	s_clause 0x1
	s_load_b32 s31, s[0:1], 0x0
	s_load_b32 s28, s[0:1], 0x8
	s_wait_xcnt 0x0
	s_movk_i32 s0, 0x90
	v_mov_b32_e32 v0, 0
	v_mad_u32_u24 v19, v17, s0, 0xd80
	s_cmp_ge_i32 s30, s29
	s_delay_alu instid0(VALU_DEP_2) | instskip(NEXT) | instid1(VALU_DEP_2)
	v_dual_mov_b32 v1, v0 :: v_dual_mov_b32 v2, v0
	v_lshl_add_u32 v18, v16, 4, v19
	v_mov_b32_e32 v3, v0
	ds_store_b128 v18, v[0:3]
	s_wait_dscnt 0x0
	s_cbranch_scc1 .LBB73_66
; %bb.14:
	s_movk_i32 s3, 0x900
	s_movk_i32 s2, 0x480
	s_wait_kmcnt 0x0
	s_cmp_lg_u32 s31, 0
	v_mul_lo_u32 v23, s28, v16
	v_mul_lo_u32 v24, s28, v17
	v_cmp_gt_i32_e64 s0, s28, v16
	v_cmp_gt_i32_e64 s1, s28, v17
	v_mad_u32_u24 v1, 0x90, v17, s3
	v_dual_lshlrev_b32 v2, 4, v16 :: v_dual_bitop2_b32 v3, v16, v17 bitop3:0x54
	v_mad_u32_u24 v22, 0x90, v17, s2
	s_cselect_b32 s33, -1, 0
	s_cmp_eq_u32 s31, 0
	s_delay_alu instid0(VALU_DEP_2)
	v_add_nc_u32_e32 v20, v1, v2
	s_cselect_b32 vcc_lo, -1, 0
	s_and_b32 s34, s0, s1
	v_mad_u32_u24 v21, 0x90, v17, v2
	v_add_nc_u32_e32 v25, v22, v2
	v_cmp_ne_u32_e64 s2, 0, v3
	v_mad_u32_u24 v26, 0x90, v16, s3
	v_dual_cndmask_b32 v27, v17, v16 :: v_dual_cndmask_b32 v28, v16, v17
	s_cmp_gt_i32 s28, 0
	s_mul_i32 s36, s28, s28
	s_cselect_b32 s35, -1, 0
	s_mov_b32 s20, s30
	s_branch .LBB73_17
.LBB73_15:                              ;   in Loop: Header=BB73_17 Depth=1
	s_wait_xcnt 0x0
	s_or_b32 exec_lo, exec_lo, s3
	s_add_co_i32 s20, s20, 1
	global_wb scope:SCOPE_DEV
	s_wait_storecnt 0x0
	global_inv scope:SCOPE_DEV
	s_cmp_ge_i32 s20, s29
	s_cselect_b32 s25, -1, 0
.LBB73_16:                              ;   in Loop: Header=BB73_17 Depth=1
	s_delay_alu instid0(SALU_CYCLE_1)
	s_and_b32 vcc_lo, exec_lo, s25
	s_cbranch_vccnz .LBB73_66
.LBB73_17:                              ; =>This Loop Header: Depth=1
                                        ;     Child Loop BB73_22 Depth 2
                                        ;     Child Loop BB73_33 Depth 2
	;; [unrolled: 1-line block ×4, first 2 shown]
                                        ;       Child Loop BB73_63 Depth 3
	s_ashr_i32 s21, s20, 31
	s_delay_alu instid0(SALU_CYCLE_1) | instskip(NEXT) | instid1(SALU_CYCLE_1)
	s_lshl_b64 s[22:23], s[20:21], 2
	s_add_nc_u64 s[22:23], s[14:15], s[22:23]
	s_load_b32 s21, s[22:23], 0x0
	s_wait_kmcnt 0x0
	s_sub_co_i32 s24, s21, s17
	s_delay_alu instid0(SALU_CYCLE_1)
	s_ashr_i32 s25, s24, 31
	s_wait_xcnt 0x0
	s_lshl_b64 s[22:23], s[24:25], 2
	s_mov_b32 s25, -1
	s_add_nc_u64 s[26:27], s[4:5], s[22:23]
	s_load_b32 s3, s[26:27], 0x0
	s_wait_kmcnt 0x0
	s_cmp_eq_u32 s3, -1
	s_cbranch_scc1 .LBB73_16
; %bb.18:                               ;   in Loop: Header=BB73_17 Depth=1
	v_mad_u32 v4, s20, s28, v28
	v_mov_b64_e32 v[2:3], 0
	s_delay_alu instid0(VALU_DEP_2) | instskip(NEXT) | instid1(VALU_DEP_2)
	v_mad_u32 v29, v4, s28, v27
	v_mov_b64_e32 v[4:5], v[2:3]
	s_and_saveexec_b32 s25, s34
	s_cbranch_execz .LBB73_20
; %bb.19:                               ;   in Loop: Header=BB73_17 Depth=1
	global_load_b128 v[2:5], v29, s[18:19] scale_offset
.LBB73_20:                              ;   in Loop: Header=BB73_17 Depth=1
	s_wait_xcnt 0x0
	s_or_b32 exec_lo, exec_lo, s25
	s_add_nc_u64 s[26:27], s[12:13], s[22:23]
	ds_load_b32 v6, v0 offset:5632
	s_load_b32 s25, s[26:27], 0x0
	s_wait_loadcnt 0x0
	ds_store_b128 v20, v[2:5]
	s_wait_dscnt 0x1
	v_cmp_ge_i32_e32 vcc_lo, s24, v6
	s_wait_kmcnt 0x0
	s_wait_xcnt 0x0
	s_sub_co_i32 s26, s25, s17
	s_delay_alu instid0(SALU_CYCLE_1) | instskip(SKIP_1) | instid1(SALU_CYCLE_1)
	s_cmp_le_i32 s26, s3
	s_cselect_b32 s25, -1, 0
	s_and_b32 s25, s25, vcc_lo
	s_delay_alu instid0(SALU_CYCLE_1)
	s_and_not1_b32 vcc_lo, exec_lo, s25
	s_mov_b32 s25, 0
	s_cbranch_vccnz .LBB73_32
; %bb.21:                               ;   in Loop: Header=BB73_17 Depth=1
	s_mov_b32 s37, 0
	s_mov_b32 s38, 0
.LBB73_22:                              ;   Parent Loop BB73_17 Depth=1
                                        ; =>  This Inner Loop Header: Depth=2
	s_ashr_i32 s27, s26, 31
	s_lshl_b32 s25, s38, 2
	s_lshl_b64 s[40:41], s[26:27], 2
	v_mov_b32_e32 v2, s25
	s_add_nc_u64 s[40:41], s[14:15], s[40:41]
                                        ; implicit-def: $sgpr39
	s_load_b32 s25, s[40:41], 0x0
	s_wait_xcnt 0x0
	s_mov_b32 s41, -1
	ds_load_b32 v2, v2 offset:5632
                                        ; implicit-def: $sgpr40
	s_wait_kmcnt 0x0
	s_sub_co_i32 s42, s25, s17
                                        ; implicit-def: $sgpr25
	s_wait_dscnt 0x0
	v_readfirstlane_b32 s27, v2
	v_cmp_ge_i32_e32 vcc_lo, s42, v2
	s_cbranch_vccz .LBB73_28
; %bb.23:                               ;   in Loop: Header=BB73_22 Depth=2
	s_cmp_le_i32 s42, s27
                                        ; implicit-def: $sgpr25
                                        ; implicit-def: $sgpr40
                                        ; implicit-def: $sgpr39
	s_cbranch_scc0 .LBB73_25
; %bb.24:                               ;   in Loop: Header=BB73_22 Depth=2
	s_add_co_i32 s25, s38, s30
	s_lshl_b32 s39, s37, 2
	s_mul_i32 s25, s25, s36
	s_delay_alu instid0(SALU_CYCLE_1)
	v_dual_mov_b32 v2, s39 :: v_dual_mov_b32 v3, s25
	s_mul_i32 s39, s26, s36
	s_add_co_i32 s40, s26, 1
	v_mov_b32_e32 v4, s39
	s_add_co_i32 s39, s38, 1
	s_add_co_i32 s25, s37, 1
	s_mov_b32 s41, 0
	ds_store_2addr_stride64_b32 v2, v4, v3 offset0:18 offset1:20
.LBB73_25:                              ;   in Loop: Header=BB73_22 Depth=2
	s_and_not1_b32 vcc_lo, exec_lo, s41
	s_cbranch_vccnz .LBB73_27
; %bb.26:                               ;   in Loop: Header=BB73_22 Depth=2
	s_add_co_i32 s39, s38, 1
	s_mov_b32 s25, s37
	s_mov_b32 s40, s26
.LBB73_27:                              ;   in Loop: Header=BB73_22 Depth=2
	s_mov_b32 s41, 0
.LBB73_28:                              ;   in Loop: Header=BB73_22 Depth=2
	s_delay_alu instid0(SALU_CYCLE_1)
	s_and_not1_b32 vcc_lo, exec_lo, s41
	s_cbranch_vccnz .LBB73_30
; %bb.29:                               ;   in Loop: Header=BB73_22 Depth=2
	s_add_co_i32 s40, s26, 1
	s_mov_b32 s39, s38
	s_mov_b32 s25, s37
.LBB73_30:                              ;   in Loop: Header=BB73_22 Depth=2
	s_cmp_le_i32 s40, s3
	s_cselect_b32 s26, -1, 0
	s_cmp_le_i32 s27, s24
	s_cselect_b32 s27, -1, 0
	s_delay_alu instid0(SALU_CYCLE_1) | instskip(NEXT) | instid1(SALU_CYCLE_1)
	s_and_b32 s26, s26, s27
	s_and_b32 vcc_lo, exec_lo, s26
	s_cbranch_vccz .LBB73_32
; %bb.31:                               ;   in Loop: Header=BB73_22 Depth=2
	s_mov_b32 s37, s25
	s_mov_b32 s26, s40
	;; [unrolled: 1-line block ×3, first 2 shown]
	s_branch .LBB73_22
.LBB73_32:                              ;   in Loop: Header=BB73_17 Depth=1
	s_add_nc_u64 s[22:23], s[6:7], s[22:23]
	s_wait_dscnt 0x0
.LBB73_33:                              ;   Parent Loop BB73_17 Depth=1
                                        ; =>  This Inner Loop Header: Depth=2
	global_load_b32 v2, v0, s[22:23] scope:SCOPE_DEV
	s_wait_loadcnt 0x0
	v_cmp_eq_u32_e32 vcc_lo, 0, v2
	s_cbranch_vccnz .LBB73_33
; %bb.34:                               ;   in Loop: Header=BB73_17 Depth=1
	v_mov_b64_e32 v[4:5], 0
	v_mov_b64_e32 v[6:7], 0
	;; [unrolled: 1-line block ×3, first 2 shown]
	global_inv scope:SCOPE_DEV
	s_and_saveexec_b32 s22, s34
	s_cbranch_execz .LBB73_36
; %bb.35:                               ;   in Loop: Header=BB73_17 Depth=1
	v_mad_u32 v2, s3, s28, v28
	s_delay_alu instid0(VALU_DEP_1)
	v_mad_u32 v2, v2, s28, v27
	global_load_b128 v[6:9], v2, s[18:19] scale_offset
.LBB73_36:                              ;   in Loop: Header=BB73_17 Depth=1
	s_wait_xcnt 0x0
	s_or_b32 exec_lo, exec_lo, s22
	v_mov_b64_e32 v[2:3], 0
	s_cmp_lt_i32 s25, 2
	s_wait_loadcnt 0x0
	ds_store_b128 v21, v[6:9]
	s_wait_dscnt 0x0
	s_cbranch_scc1 .LBB73_55
; %bb.37:                               ;   in Loop: Header=BB73_17 Depth=1
	v_mov_b64_e32 v[12:13], 0
	v_mov_b64_e32 v[14:15], 0
	s_add_co_i32 s3, s25, -2
	s_mov_b32 s22, 0
	s_and_not1_b32 vcc_lo, exec_lo, s35
	s_cbranch_vccz .LBB73_40
	s_branch .LBB73_39
.LBB73_38:                              ;   in Loop: Header=BB73_17 Depth=1
	s_delay_alu instid0(VALU_DEP_2) | instskip(NEXT) | instid1(VALU_DEP_2)
	v_mov_b64_e32 v[12:13], v[4:5]
	v_mov_b64_e32 v[14:15], v[2:3]
	s_mov_b32 s22, s23
	s_and_not1_b32 vcc_lo, exec_lo, s35
	s_cbranch_vccz .LBB73_40
.LBB73_39:                              ;   in Loop: Header=BB73_17 Depth=1
	s_delay_alu instid0(VALU_DEP_2) | instskip(NEXT) | instid1(VALU_DEP_2)
	v_mov_b64_e32 v[4:5], v[12:13]
	v_mov_b64_e32 v[2:3], v[14:15]
	s_branch .LBB73_54
.LBB73_40:                              ;   in Loop: Header=BB73_17 Depth=1
	s_lshl_b32 s23, s22, 2
	s_delay_alu instid0(SALU_CYCLE_1)
	v_mov_b32_e32 v2, s23
	s_mov_b32 s23, 0
	ds_load_2addr_stride64_b32 v[2:3], v2 offset0:18 offset1:20
	s_wait_dscnt 0x0
	v_dual_add_nc_u32 v30, v2, v23 :: v_dual_add_nc_u32 v33, v16, v2
	v_dual_add_nc_u32 v31, v3, v24 :: v_dual_add_nc_u32 v32, v17, v3
	s_and_b32 vcc_lo, exec_lo, s33
	s_mov_b32 s24, -1
                                        ; implicit-def: $vgpr4_vgpr5
	s_cbranch_vccz .LBB73_47
	s_branch .LBB73_42
.LBB73_41:                              ;   in Loop: Header=BB73_47 Depth=2
	s_delay_alu instid0(VALU_DEP_2) | instskip(NEXT) | instid1(VALU_DEP_3)
	v_mov_b64_e32 v[12:13], v[4:5]
	v_mov_b64_e32 v[14:15], v[2:3]
	s_and_b32 vcc_lo, exec_lo, s33
	s_mov_b32 s24, -1
                                        ; implicit-def: $vgpr4_vgpr5
	s_cbranch_vccz .LBB73_47
.LBB73_42:                              ;   in Loop: Header=BB73_17 Depth=1
	v_mov_b64_e32 v[4:5], 0
	v_mov_b64_e32 v[8:9], 0
	;; [unrolled: 1-line block ×3, first 2 shown]
	s_and_saveexec_b32 s24, s0
	s_cbranch_execz .LBB73_44
; %bb.43:                               ;   in Loop: Header=BB73_17 Depth=1
	global_load_b128 v[8:11], v33, s[18:19] scale_offset
.LBB73_44:                              ;   in Loop: Header=BB73_17 Depth=1
	s_wait_xcnt 0x0
	s_or_b32 exec_lo, exec_lo, s24
	v_mov_b64_e32 v[6:7], 0
	s_and_saveexec_b32 s24, s1
	s_cbranch_execz .LBB73_46
; %bb.45:                               ;   in Loop: Header=BB73_17 Depth=1
	global_load_b128 v[4:7], v32, s[18:19] scale_offset
.LBB73_46:                              ;   in Loop: Header=BB73_17 Depth=1
	s_wait_xcnt 0x0
	s_or_b32 exec_lo, exec_lo, s24
	s_wait_loadcnt 0x0
	v_fma_f64 v[2:3], v[8:9], v[4:5], v[14:15]
	v_fma_f64 v[4:5], v[10:11], v[4:5], v[12:13]
	s_mov_b32 s24, 0
	s_delay_alu instid0(VALU_DEP_2) | instskip(NEXT) | instid1(VALU_DEP_2)
	v_fmac_f64_e32 v[2:3], v[10:11], v[6:7]
	v_fma_f64 v[4:5], v[8:9], -v[6:7], v[4:5]
.LBB73_47:                              ;   Parent Loop BB73_17 Depth=1
                                        ; =>  This Inner Loop Header: Depth=2
	s_and_b32 vcc_lo, exec_lo, s24
	s_cbranch_vccz .LBB73_53
; %bb.48:                               ;   in Loop: Header=BB73_47 Depth=2
	v_mov_b64_e32 v[2:3], 0
	v_mov_b64_e32 v[6:7], 0
	;; [unrolled: 1-line block ×3, first 2 shown]
	s_and_saveexec_b32 s24, s0
	s_cbranch_execz .LBB73_50
; %bb.49:                               ;   in Loop: Header=BB73_47 Depth=2
	v_add_nc_u32_e32 v4, s23, v30
	global_load_b128 v[6:9], v4, s[18:19] scale_offset
.LBB73_50:                              ;   in Loop: Header=BB73_47 Depth=2
	s_wait_xcnt 0x0
	s_or_b32 exec_lo, exec_lo, s24
	v_mov_b64_e32 v[4:5], 0
	s_and_saveexec_b32 s24, s1
	s_cbranch_execz .LBB73_52
; %bb.51:                               ;   in Loop: Header=BB73_47 Depth=2
	v_add_nc_u32_e32 v2, s23, v31
	global_load_b128 v[2:5], v2, s[18:19] scale_offset
.LBB73_52:                              ;   in Loop: Header=BB73_47 Depth=2
	s_wait_xcnt 0x0
	s_or_b32 exec_lo, exec_lo, s24
	s_wait_loadcnt 0x0
	v_fmac_f64_e32 v[14:15], v[6:7], v[2:3]
	v_fmac_f64_e32 v[12:13], v[8:9], v[2:3]
	s_delay_alu instid0(VALU_DEP_2) | instskip(NEXT) | instid1(VALU_DEP_2)
	v_fmac_f64_e32 v[14:15], v[8:9], v[4:5]
	v_fma_f64 v[4:5], v[6:7], -v[4:5], v[12:13]
	s_delay_alu instid0(VALU_DEP_2)
	v_mov_b64_e32 v[2:3], v[14:15]
.LBB73_53:                              ;   in Loop: Header=BB73_47 Depth=2
	v_dual_add_nc_u32 v32, s28, v32 :: v_dual_add_nc_u32 v33, s28, v33
	s_add_co_i32 s23, s23, 1
	s_delay_alu instid0(SALU_CYCLE_1)
	s_cmp_eq_u32 s28, s23
	s_cbranch_scc0 .LBB73_41
.LBB73_54:                              ;   in Loop: Header=BB73_17 Depth=1
	s_add_co_i32 s23, s22, 1
	s_cmp_eq_u32 s22, s3
	s_cbranch_scc0 .LBB73_38
.LBB73_55:                              ;   in Loop: Header=BB73_17 Depth=1
	s_and_not1_b32 vcc_lo, exec_lo, s35
	ds_store_b128 v25, v[2:5]
	s_wait_dscnt 0x0
	s_cbranch_vccnz .LBB73_64
; %bb.56:                               ;   in Loop: Header=BB73_17 Depth=1
	s_mov_b32 s22, 0
	s_mov_b32 s23, 0
	s_branch .LBB73_58
.LBB73_57:                              ;   in Loop: Header=BB73_58 Depth=2
	v_mul_f64_e32 v[30:31], v[12:13], v[12:13]
	s_wait_dscnt 0x0
	s_delay_alu instid0(VALU_DEP_2) | instskip(NEXT) | instid1(VALU_DEP_4)
	v_add_f64_e64 v[4:5], v[4:5], -v[8:9]
	v_add_f64_e64 v[2:3], v[2:3], -v[6:7]
	s_addk_co_i32 s22, 0x90
	s_delay_alu instid0(VALU_DEP_3) | instskip(NEXT) | instid1(VALU_DEP_3)
	v_fmac_f64_e32 v[30:31], v[10:11], v[10:11]
	v_mul_f64_e32 v[6:7], v[12:13], v[4:5]
	s_delay_alu instid0(VALU_DEP_3) | instskip(NEXT) | instid1(VALU_DEP_3)
	v_mul_f64_e64 v[12:13], v[12:13], -v[2:3]
	v_div_scale_f64 v[32:33], null, v[30:31], v[30:31], 1.0
	v_div_scale_f64 v[38:39], vcc_lo, 1.0, v[30:31], 1.0
	s_delay_alu instid0(VALU_DEP_4) | instskip(NEXT) | instid1(VALU_DEP_4)
	v_fmac_f64_e32 v[6:7], v[2:3], v[10:11]
	v_fmac_f64_e32 v[12:13], v[4:5], v[10:11]
	s_delay_alu instid0(VALU_DEP_4) | instskip(SKIP_1) | instid1(TRANS32_DEP_1)
	v_rcp_f64_e32 v[34:35], v[32:33]
	v_nop
	v_fma_f64 v[36:37], -v[32:33], v[34:35], 1.0
	s_delay_alu instid0(VALU_DEP_1) | instskip(NEXT) | instid1(VALU_DEP_1)
	v_fmac_f64_e32 v[34:35], v[34:35], v[36:37]
	v_fma_f64 v[36:37], -v[32:33], v[34:35], 1.0
	s_delay_alu instid0(VALU_DEP_1) | instskip(NEXT) | instid1(VALU_DEP_1)
	v_fmac_f64_e32 v[34:35], v[34:35], v[36:37]
	v_mul_f64_e32 v[36:37], v[38:39], v[34:35]
	s_delay_alu instid0(VALU_DEP_1) | instskip(NEXT) | instid1(VALU_DEP_1)
	v_fma_f64 v[8:9], -v[32:33], v[36:37], v[38:39]
	v_div_fmas_f64 v[8:9], v[8:9], v[34:35], v[36:37]
	s_delay_alu instid0(VALU_DEP_1) | instskip(NEXT) | instid1(VALU_DEP_1)
	v_div_fixup_f64 v[8:9], v[8:9], v[30:31], 1.0
	v_mul_f64_e32 v[2:3], v[8:9], v[6:7]
	v_mul_f64_e32 v[4:5], v[8:9], v[12:13]
	v_lshl_add_u32 v6, s23, 4, v26
	s_add_co_i32 s23, s23, 1
	s_delay_alu instid0(SALU_CYCLE_1)
	s_cmp_eq_u32 s23, s28
	ds_store_b128 v14, v[2:5]
	s_wait_storecnt_dscnt 0x0
	ds_load_b128 v[6:9], v6
	ds_load_b128 v[10:13], v18
	s_wait_dscnt 0x0
	v_fmac_f64_e32 v[10:11], v[2:3], v[6:7]
	v_fmac_f64_e32 v[12:13], v[4:5], v[6:7]
	s_delay_alu instid0(VALU_DEP_2) | instskip(NEXT) | instid1(VALU_DEP_2)
	v_fmac_f64_e32 v[10:11], v[4:5], v[8:9]
	v_fma_f64 v[12:13], v[2:3], -v[8:9], v[12:13]
	ds_store_b128 v18, v[10:13]
	s_wait_dscnt 0x0
	s_cbranch_scc1 .LBB73_64
.LBB73_58:                              ;   Parent Loop BB73_17 Depth=1
                                        ; =>  This Loop Header: Depth=2
                                        ;       Child Loop BB73_63 Depth 3
	s_lshl_b32 s24, s23, 4
	s_mul_i32 s3, s23, 0x90
	v_add_nc_u32_e32 v14, s24, v1
	s_add_co_i32 s3, s3, s24
	s_delay_alu instid0(SALU_CYCLE_1)
	v_mov_b32_e32 v2, s3
	ds_load_b128 v[6:9], v2
	ds_load_b128 v[2:5], v14
	s_wait_dscnt 0x1
	v_cmp_neq_f64_e32 vcc_lo, 0, v[6:7]
	v_cmp_neq_f64_e64 s3, 0, v[8:9]
	s_or_b32 vcc_lo, vcc_lo, s3
	v_dual_cndmask_b32 v13, 0, v9 :: v_dual_cndmask_b32 v12, 0, v8
	v_cndmask_b32_e32 v11, 0x3ff00000, v7, vcc_lo
	v_cndmask_b32_e32 v10, 0, v6, vcc_lo
	s_nor_b32 s24, vcc_lo, s2
	s_delay_alu instid0(SALU_CYCLE_1)
	s_and_saveexec_b32 s3, s24
	s_cbranch_execz .LBB73_62
; %bb.59:                               ;   in Loop: Header=BB73_58 Depth=2
	v_mbcnt_lo_u32_b32 v6, exec_lo, 0
	s_mov_b32 s24, exec_lo
	s_delay_alu instid0(VALU_DEP_1)
	v_cmpx_eq_u32_e32 0, v6
	s_cbranch_execz .LBB73_61
; %bb.60:                               ;   in Loop: Header=BB73_58 Depth=2
	v_mov_b32_e32 v6, s21
	global_atomic_min_i32 v0, v6, s[10:11] scope:SCOPE_DEV
.LBB73_61:                              ;   in Loop: Header=BB73_58 Depth=2
	s_wait_xcnt 0x0
	s_or_b32 exec_lo, exec_lo, s24
	v_mov_b64_e32 v[10:11], 1.0
	v_mov_b64_e32 v[12:13], 0
.LBB73_62:                              ;   in Loop: Header=BB73_58 Depth=2
	s_or_b32 exec_lo, exec_lo, s3
	v_lshl_add_u32 v6, s23, 4, v22
	v_mov_b32_e32 v15, v1
	s_cmp_eq_u32 s23, 0
	s_mov_b32 s3, s22
	s_mov_b32 s24, s23
	ds_load_b128 v[6:9], v6
	s_cbranch_scc1 .LBB73_57
.LBB73_63:                              ;   Parent Loop BB73_17 Depth=1
                                        ;     Parent Loop BB73_58 Depth=2
                                        ; =>    This Inner Loop Header: Depth=3
	v_mov_b32_e32 v34, s3
	s_add_co_i32 s24, s24, -1
	s_add_co_i32 s3, s3, 16
	s_cmp_eq_u32 s24, 0
	ds_load_b128 v[30:33], v15
	ds_load_b128 v[34:37], v34
	v_add_nc_u32_e32 v15, 16, v15
	s_wait_dscnt 0x0
	v_fmac_f64_e32 v[6:7], v[34:35], v[30:31]
	v_fmac_f64_e32 v[8:9], v[36:37], v[30:31]
	s_delay_alu instid0(VALU_DEP_2) | instskip(NEXT) | instid1(VALU_DEP_2)
	v_fmac_f64_e32 v[6:7], v[36:37], v[32:33]
	v_fma_f64 v[8:9], v[34:35], -v[32:33], v[8:9]
	s_cbranch_scc0 .LBB73_63
	s_branch .LBB73_57
.LBB73_64:                              ;   in Loop: Header=BB73_17 Depth=1
	s_and_saveexec_b32 s3, s34
	s_cbranch_execz .LBB73_15
; %bb.65:                               ;   in Loop: Header=BB73_17 Depth=1
	ds_load_2addr_b64 v[2:5], v20 offset1:1
	s_wait_dscnt 0x0
	global_store_b128 v29, v[2:5], s[18:19] scale_offset
	s_branch .LBB73_15
.LBB73_66:
	s_wait_kmcnt 0x0
	s_cmp_eq_u32 s31, 0
	v_max_i32_e32 v4, v16, v17
	s_cselect_b32 vcc_lo, -1, 0
	v_mov_b64_e32 v[2:3], 0
	v_dual_cndmask_b32 v10, v17, v16, vcc_lo :: v_dual_cndmask_b32 v0, v16, v17, vcc_lo
	s_delay_alu instid0(VALU_DEP_3) | instskip(NEXT) | instid1(VALU_DEP_2)
	v_cmp_gt_i32_e64 s0, s28, v4
	v_mad_u32 v11, s29, s28, v0
	v_mov_b64_e32 v[0:1], 0
	s_and_saveexec_b32 s1, s0
	s_cbranch_execz .LBB73_68
; %bb.67:
	s_delay_alu instid0(VALU_DEP_2)
	v_mad_u32 v0, v11, s28, v10
	global_load_b128 v[0:3], v0, s[18:19] scale_offset
.LBB73_68:
	s_wait_xcnt 0x0
	s_or_b32 exec_lo, exec_lo, s1
	s_movk_i32 s1, 0x90
	s_movk_i32 s3, 0x900
	v_mad_u32_u24 v13, v17, s1, 0x900
	s_cmp_lt_i32 s28, 1
	s_delay_alu instid0(VALU_DEP_1)
	v_lshl_add_u32 v12, v16, 4, v13
	s_wait_loadcnt 0x0
	ds_store_b128 v12, v[0:3]
	s_wait_dscnt 0x0
	s_cbranch_scc1 .LBB73_85
; %bb.69:
	v_dual_lshlrev_b32 v1, 4, v17 :: v_dual_bitop2_b32 v0, v16, v17 bitop3:0x54
	v_mad_u32_u24 v14, v16, s1, 0x900
	v_mov_b32_e32 v2, 0
	s_mov_b32 s4, 0
	s_delay_alu instid0(VALU_DEP_3)
	v_cmp_ne_u32_e64 s1, 0, v0
	v_dual_add_nc_u32 v15, v13, v1 :: v_dual_add_nc_u32 v19, v19, v1
	s_add_co_i32 s5, s16, s17
	s_branch .LBB73_71
.LBB73_70:                              ;   in Loop: Header=BB73_71 Depth=1
	s_or_b32 exec_lo, exec_lo, s2
	v_dual_add_nc_u32 v13, 16, v13 :: v_dual_add_nc_u32 v14, 16, v14
	s_add_co_i32 s4, s4, 1
	s_addk_co_i32 s3, 0xa0
	s_cmp_eq_u32 s28, s4
	s_wait_storecnt_dscnt 0x0
	s_cbranch_scc1 .LBB73_85
.LBB73_71:                              ; =>This Inner Loop Header: Depth=1
	s_mov_b32 s2, exec_lo
	v_cmpx_eq_u32_e64 s4, v17
	s_cbranch_execz .LBB73_79
; %bb.72:                               ;   in Loop: Header=BB73_71 Depth=1
	ds_load_b128 v[4:7], v19
	ds_load_b128 v[20:23], v15
	s_mov_b32 s12, exec_lo
	s_wait_dscnt 0x0
	v_add_f64_e64 v[0:1], v[20:21], -v[4:5]
	v_add_f64_e64 v[8:9], v[22:23], -v[6:7]
                                        ; implicit-def: $vgpr6_vgpr7
	s_delay_alu instid0(VALU_DEP_2) | instskip(SKIP_1) | instid1(VALU_DEP_3)
	v_cmp_gt_f64_e32 vcc_lo, 0, v[0:1]
	v_xor_b32_e32 v3, 0x80000000, v1
	v_xor_b32_e32 v4, 0x80000000, v9
	s_delay_alu instid0(VALU_DEP_2) | instskip(SKIP_1) | instid1(VALU_DEP_3)
	v_cndmask_b32_e32 v1, v1, v3, vcc_lo
	v_cmp_gt_f64_e32 vcc_lo, 0, v[8:9]
	v_dual_cndmask_b32 v5, v9, v4 :: v_dual_mov_b32 v4, v8
	s_delay_alu instid0(VALU_DEP_1)
	v_cmpx_ngt_f64_e32 v[0:1], v[4:5]
	s_xor_b32 s12, exec_lo, s12
	s_cbranch_execz .LBB73_76
; %bb.73:                               ;   in Loop: Header=BB73_71 Depth=1
	v_mov_b64_e32 v[6:7], 0
	s_mov_b32 s13, exec_lo
	v_cmpx_neq_f64_e32 0, v[8:9]
	s_cbranch_execz .LBB73_75
; %bb.74:                               ;   in Loop: Header=BB73_71 Depth=1
	v_div_scale_f64 v[6:7], null, v[4:5], v[4:5], v[0:1]
	v_div_scale_f64 v[22:23], vcc_lo, v[0:1], v[4:5], v[0:1]
	s_delay_alu instid0(VALU_DEP_2) | instskip(SKIP_1) | instid1(TRANS32_DEP_1)
	v_rcp_f64_e32 v[8:9], v[6:7]
	v_nop
	v_fma_f64 v[20:21], -v[6:7], v[8:9], 1.0
	s_delay_alu instid0(VALU_DEP_1) | instskip(NEXT) | instid1(VALU_DEP_1)
	v_fmac_f64_e32 v[8:9], v[8:9], v[20:21]
	v_fma_f64 v[20:21], -v[6:7], v[8:9], 1.0
	s_delay_alu instid0(VALU_DEP_1) | instskip(NEXT) | instid1(VALU_DEP_1)
	v_fmac_f64_e32 v[8:9], v[8:9], v[20:21]
	v_mul_f64_e32 v[20:21], v[22:23], v[8:9]
	s_delay_alu instid0(VALU_DEP_1) | instskip(NEXT) | instid1(VALU_DEP_1)
	v_fma_f64 v[6:7], -v[6:7], v[20:21], v[22:23]
	v_div_fmas_f64 v[6:7], v[6:7], v[8:9], v[20:21]
	s_delay_alu instid0(VALU_DEP_1) | instskip(NEXT) | instid1(VALU_DEP_1)
	v_div_fixup_f64 v[0:1], v[6:7], v[4:5], v[0:1]
	v_fma_f64 v[0:1], v[0:1], v[0:1], 1.0
	s_delay_alu instid0(VALU_DEP_1) | instskip(SKIP_1) | instid1(VALU_DEP_1)
	v_cmp_gt_f64_e32 vcc_lo, 0x10000000, v[0:1]
	v_cndmask_b32_e64 v3, 0, 0x100, vcc_lo
	v_ldexp_f64 v[0:1], v[0:1], v3
	v_cndmask_b32_e64 v3, 0, 0xffffff80, vcc_lo
	s_delay_alu instid0(VALU_DEP_2) | instskip(SKIP_1) | instid1(TRANS32_DEP_1)
	v_rsq_f64_e32 v[6:7], v[0:1]
	v_cmp_class_f64_e64 vcc_lo, v[0:1], 0x260
	v_mul_f64_e32 v[8:9], v[0:1], v[6:7]
	v_mul_f64_e32 v[6:7], 0.5, v[6:7]
	s_delay_alu instid0(VALU_DEP_1) | instskip(NEXT) | instid1(VALU_DEP_1)
	v_fma_f64 v[20:21], -v[6:7], v[8:9], 0.5
	v_fmac_f64_e32 v[8:9], v[8:9], v[20:21]
	v_fmac_f64_e32 v[6:7], v[6:7], v[20:21]
	s_delay_alu instid0(VALU_DEP_2) | instskip(NEXT) | instid1(VALU_DEP_1)
	v_fma_f64 v[20:21], -v[8:9], v[8:9], v[0:1]
	v_fmac_f64_e32 v[8:9], v[20:21], v[6:7]
	s_delay_alu instid0(VALU_DEP_1) | instskip(NEXT) | instid1(VALU_DEP_1)
	v_fma_f64 v[20:21], -v[8:9], v[8:9], v[0:1]
	v_fmac_f64_e32 v[8:9], v[20:21], v[6:7]
	s_delay_alu instid0(VALU_DEP_1) | instskip(NEXT) | instid1(VALU_DEP_1)
	v_ldexp_f64 v[6:7], v[8:9], v3
	v_dual_cndmask_b32 v1, v7, v1 :: v_dual_cndmask_b32 v0, v6, v0
	s_delay_alu instid0(VALU_DEP_1)
	v_mul_f64_e32 v[6:7], v[4:5], v[0:1]
.LBB73_75:                              ;   in Loop: Header=BB73_71 Depth=1
	s_or_b32 exec_lo, exec_lo, s13
                                        ; implicit-def: $vgpr0_vgpr1
                                        ; implicit-def: $vgpr4_vgpr5
.LBB73_76:                              ;   in Loop: Header=BB73_71 Depth=1
	s_and_not1_saveexec_b32 s12, s12
	s_cbranch_execz .LBB73_78
; %bb.77:                               ;   in Loop: Header=BB73_71 Depth=1
	v_div_scale_f64 v[6:7], null, v[0:1], v[0:1], v[4:5]
	v_div_scale_f64 v[22:23], vcc_lo, v[4:5], v[0:1], v[4:5]
	s_delay_alu instid0(VALU_DEP_2) | instskip(SKIP_1) | instid1(TRANS32_DEP_1)
	v_rcp_f64_e32 v[8:9], v[6:7]
	v_nop
	v_fma_f64 v[20:21], -v[6:7], v[8:9], 1.0
	s_delay_alu instid0(VALU_DEP_1) | instskip(NEXT) | instid1(VALU_DEP_1)
	v_fmac_f64_e32 v[8:9], v[8:9], v[20:21]
	v_fma_f64 v[20:21], -v[6:7], v[8:9], 1.0
	s_delay_alu instid0(VALU_DEP_1) | instskip(NEXT) | instid1(VALU_DEP_1)
	v_fmac_f64_e32 v[8:9], v[8:9], v[20:21]
	v_mul_f64_e32 v[20:21], v[22:23], v[8:9]
	s_delay_alu instid0(VALU_DEP_1) | instskip(NEXT) | instid1(VALU_DEP_1)
	v_fma_f64 v[6:7], -v[6:7], v[20:21], v[22:23]
	v_div_fmas_f64 v[6:7], v[6:7], v[8:9], v[20:21]
	s_delay_alu instid0(VALU_DEP_1) | instskip(NEXT) | instid1(VALU_DEP_1)
	v_div_fixup_f64 v[4:5], v[6:7], v[0:1], v[4:5]
	v_fma_f64 v[4:5], v[4:5], v[4:5], 1.0
	s_delay_alu instid0(VALU_DEP_1) | instskip(SKIP_1) | instid1(VALU_DEP_1)
	v_cmp_gt_f64_e32 vcc_lo, 0x10000000, v[4:5]
	v_cndmask_b32_e64 v3, 0, 0x100, vcc_lo
	v_ldexp_f64 v[4:5], v[4:5], v3
	v_cndmask_b32_e64 v3, 0, 0xffffff80, vcc_lo
	s_delay_alu instid0(VALU_DEP_2) | instskip(SKIP_1) | instid1(TRANS32_DEP_1)
	v_rsq_f64_e32 v[6:7], v[4:5]
	v_cmp_class_f64_e64 vcc_lo, v[4:5], 0x260
	v_mul_f64_e32 v[8:9], v[4:5], v[6:7]
	v_mul_f64_e32 v[6:7], 0.5, v[6:7]
	s_delay_alu instid0(VALU_DEP_1) | instskip(NEXT) | instid1(VALU_DEP_1)
	v_fma_f64 v[20:21], -v[6:7], v[8:9], 0.5
	v_fmac_f64_e32 v[8:9], v[8:9], v[20:21]
	v_fmac_f64_e32 v[6:7], v[6:7], v[20:21]
	s_delay_alu instid0(VALU_DEP_2) | instskip(NEXT) | instid1(VALU_DEP_1)
	v_fma_f64 v[20:21], -v[8:9], v[8:9], v[4:5]
	v_fmac_f64_e32 v[8:9], v[20:21], v[6:7]
	s_delay_alu instid0(VALU_DEP_1) | instskip(NEXT) | instid1(VALU_DEP_1)
	v_fma_f64 v[20:21], -v[8:9], v[8:9], v[4:5]
	v_fmac_f64_e32 v[8:9], v[20:21], v[6:7]
	s_delay_alu instid0(VALU_DEP_1) | instskip(NEXT) | instid1(VALU_DEP_1)
	v_ldexp_f64 v[6:7], v[8:9], v3
	v_dual_cndmask_b32 v5, v7, v5 :: v_dual_cndmask_b32 v4, v6, v4
	s_delay_alu instid0(VALU_DEP_1)
	v_mul_f64_e32 v[6:7], v[0:1], v[4:5]
.LBB73_78:                              ;   in Loop: Header=BB73_71 Depth=1
	s_or_b32 exec_lo, exec_lo, s12
	s_delay_alu instid0(VALU_DEP_1) | instskip(SKIP_2) | instid1(VALU_DEP_2)
	v_cmp_gt_f64_e32 vcc_lo, 0x10000000, v[6:7]
	v_cndmask_b32_e64 v0, 0, 0x100, vcc_lo
	v_cndmask_b32_e64 v3, 0, 0xffffff80, vcc_lo
	v_ldexp_f64 v[0:1], v[6:7], v0
	s_delay_alu instid0(VALU_DEP_1) | instskip(SKIP_1) | instid1(TRANS32_DEP_1)
	v_rsq_f64_e32 v[4:5], v[0:1]
	v_cmp_class_f64_e64 vcc_lo, v[0:1], 0x260
	v_mul_f64_e32 v[6:7], v[0:1], v[4:5]
	v_mul_f64_e32 v[4:5], 0.5, v[4:5]
	s_delay_alu instid0(VALU_DEP_1) | instskip(NEXT) | instid1(VALU_DEP_1)
	v_fma_f64 v[8:9], -v[4:5], v[6:7], 0.5
	v_fmac_f64_e32 v[6:7], v[6:7], v[8:9]
	v_fmac_f64_e32 v[4:5], v[4:5], v[8:9]
	s_delay_alu instid0(VALU_DEP_2) | instskip(NEXT) | instid1(VALU_DEP_1)
	v_fma_f64 v[8:9], -v[6:7], v[6:7], v[0:1]
	v_fmac_f64_e32 v[6:7], v[8:9], v[4:5]
	s_delay_alu instid0(VALU_DEP_1) | instskip(NEXT) | instid1(VALU_DEP_1)
	v_fma_f64 v[8:9], -v[6:7], v[6:7], v[0:1]
	v_fmac_f64_e32 v[6:7], v[8:9], v[4:5]
	s_delay_alu instid0(VALU_DEP_1) | instskip(NEXT) | instid1(VALU_DEP_1)
	v_ldexp_f64 v[4:5], v[6:7], v3
	v_dual_mov_b32 v3, v2 :: v_dual_cndmask_b32 v1, v5, v1, vcc_lo
	s_delay_alu instid0(VALU_DEP_2)
	v_cndmask_b32_e32 v0, v4, v0, vcc_lo
	ds_store_b128 v15, v[0:3]
.LBB73_79:                              ;   in Loop: Header=BB73_71 Depth=1
	s_or_b32 exec_lo, exec_lo, s2
	v_mov_b32_e32 v0, s3
	s_wait_dscnt 0x0
	ds_load_b128 v[6:9], v0
	s_wait_dscnt 0x0
	v_cmp_neq_f64_e32 vcc_lo, 0, v[6:7]
	v_cmp_neq_f64_e64 s2, 0, v[8:9]
	s_or_b32 vcc_lo, vcc_lo, s2
	v_dual_cndmask_b32 v5, 0, v9 :: v_dual_cndmask_b32 v4, 0, v8
	v_cndmask_b32_e32 v0, 0, v6, vcc_lo
	v_cndmask_b32_e32 v1, 0x3ff00000, v7, vcc_lo
	s_nor_b32 s12, vcc_lo, s1
	s_delay_alu instid0(SALU_CYCLE_1)
	s_and_saveexec_b32 s2, s12
	s_cbranch_execz .LBB73_83
; %bb.80:                               ;   in Loop: Header=BB73_71 Depth=1
	v_mbcnt_lo_u32_b32 v0, exec_lo, 0
	s_mov_b32 s12, exec_lo
	s_delay_alu instid0(VALU_DEP_1)
	v_cmpx_eq_u32_e32 0, v0
	s_cbranch_execz .LBB73_82
; %bb.81:                               ;   in Loop: Header=BB73_71 Depth=1
	v_mov_b32_e32 v0, s5
	global_atomic_min_i32 v2, v0, s[10:11] scope:SCOPE_DEV
.LBB73_82:                              ;   in Loop: Header=BB73_71 Depth=1
	s_wait_xcnt 0x0
	s_or_b32 exec_lo, exec_lo, s12
	v_mov_b64_e32 v[0:1], 1.0
	v_mov_b64_e32 v[4:5], 0
.LBB73_83:                              ;   in Loop: Header=BB73_71 Depth=1
	s_or_b32 exec_lo, exec_lo, s2
	s_delay_alu instid0(SALU_CYCLE_1)
	s_mov_b32 s2, exec_lo
	v_cmpx_lt_u32_e64 s4, v17
	s_cbranch_execz .LBB73_70
; %bb.84:                               ;   in Loop: Header=BB73_71 Depth=1
	s_delay_alu instid0(VALU_DEP_2) | instskip(NEXT) | instid1(VALU_DEP_1)
	v_mul_f64_e32 v[24:25], v[4:5], v[4:5]
	v_fmac_f64_e32 v[24:25], v[0:1], v[0:1]
	s_delay_alu instid0(VALU_DEP_1) | instskip(SKIP_1) | instid1(VALU_DEP_2)
	v_div_scale_f64 v[26:27], null, v[24:25], v[24:25], 1.0
	v_div_scale_f64 v[30:31], vcc_lo, 1.0, v[24:25], 1.0
	v_rcp_f64_e32 v[28:29], v[26:27]
	v_nop
	s_delay_alu instid0(TRANS32_DEP_1) | instskip(NEXT) | instid1(VALU_DEP_1)
	v_fma_f64 v[6:7], -v[26:27], v[28:29], 1.0
	v_fmac_f64_e32 v[28:29], v[28:29], v[6:7]
	s_delay_alu instid0(VALU_DEP_1) | instskip(NEXT) | instid1(VALU_DEP_1)
	v_fma_f64 v[6:7], -v[26:27], v[28:29], 1.0
	v_fmac_f64_e32 v[28:29], v[28:29], v[6:7]
	ds_load_b128 v[6:9], v13
	ds_load_b128 v[20:23], v13 offset:1152
	s_wait_dscnt 0x0
	v_add_f64_e64 v[8:9], v[8:9], -v[22:23]
	v_add_f64_e64 v[6:7], v[6:7], -v[20:21]
	v_mul_f64_e32 v[32:33], v[30:31], v[28:29]
	s_delay_alu instid0(VALU_DEP_3) | instskip(NEXT) | instid1(VALU_DEP_2)
	v_mul_f64_e32 v[20:21], v[4:5], v[8:9]
	v_fma_f64 v[22:23], -v[26:27], v[32:33], v[30:31]
	s_delay_alu instid0(VALU_DEP_4) | instskip(NEXT) | instid1(VALU_DEP_3)
	v_mul_f64_e64 v[26:27], v[4:5], -v[6:7]
	v_fmac_f64_e32 v[20:21], v[6:7], v[0:1]
	s_delay_alu instid0(VALU_DEP_3) | instskip(NEXT) | instid1(VALU_DEP_3)
	v_div_fmas_f64 v[22:23], v[22:23], v[28:29], v[32:33]
	v_fmac_f64_e32 v[26:27], v[8:9], v[0:1]
	s_delay_alu instid0(VALU_DEP_2) | instskip(NEXT) | instid1(VALU_DEP_1)
	v_div_fixup_f64 v[6:7], v[22:23], v[24:25], 1.0
	v_mul_f64_e32 v[4:5], v[6:7], v[20:21]
	s_delay_alu instid0(VALU_DEP_3)
	v_mul_f64_e32 v[6:7], v[6:7], v[26:27]
	ds_store_b128 v13, v[4:7]
	s_wait_storecnt_dscnt 0x0
	ds_load_b128 v[20:23], v14
	ds_load_b128 v[24:27], v18
	s_wait_dscnt 0x0
	v_fmac_f64_e32 v[24:25], v[4:5], v[20:21]
	v_fmac_f64_e32 v[26:27], v[6:7], v[20:21]
	s_delay_alu instid0(VALU_DEP_2) | instskip(NEXT) | instid1(VALU_DEP_2)
	v_fmac_f64_e32 v[24:25], v[6:7], v[22:23]
	v_fma_f64 v[26:27], v[4:5], -v[22:23], v[26:27]
	ds_store_b128 v18, v[24:27]
	s_branch .LBB73_70
.LBB73_85:
	s_and_saveexec_b32 s1, s0
	s_cbranch_execz .LBB73_87
; %bb.86:
	ds_load_2addr_b64 v[0:3], v12 offset1:1
	v_mad_u32 v4, v11, s28, v10
	s_wait_dscnt 0x0
	global_store_b128 v4, v[0:3], s[18:19] scale_offset
.LBB73_87:
	s_wait_xcnt 0x0
	s_or_b32 exec_lo, exec_lo, s1
	v_or_b32_e32 v0, v16, v17
	s_mov_b32 s0, 0
	s_mov_b32 s1, exec_lo
	s_delay_alu instid0(VALU_DEP_1)
	v_cmpx_eq_u32_e32 0, v0
	s_cbranch_execz .LBB73_89
; %bb.88:
	v_dual_mov_b32 v0, 0 :: v_dual_mov_b32 v1, 1
	s_add_nc_u64 s[2:3], s[6:7], s[8:9]
	global_wb scope:SCOPE_DEV
	s_wait_storecnt 0x0
	global_store_b32 v0, v1, s[2:3] scope:SCOPE_DEV
.LBB73_89:
	s_wait_xcnt 0x0
	s_or_b32 exec_lo, exec_lo, s1
	s_delay_alu instid0(SALU_CYCLE_1)
	s_and_b32 vcc_lo, exec_lo, s0
	s_cbranch_vccnz .LBB73_92
.LBB73_90:
	s_endpgm
.LBB73_91:
	s_cbranch_execz .LBB73_90
.LBB73_92:
	v_or_b32_e32 v0, v16, v17
	s_mov_b32 s0, exec_lo
	s_delay_alu instid0(VALU_DEP_1)
	v_cmpx_eq_u32_e32 0, v0
	s_cbranch_execz .LBB73_90
; %bb.93:
	v_mbcnt_lo_u32_b32 v0, exec_lo, 0
	s_mov_b32 s0, exec_lo
	s_delay_alu instid0(VALU_DEP_1)
	v_cmpx_eq_u32_e32 0, v0
	s_cbranch_execz .LBB73_95
; %bb.94:
	s_add_co_i32 s1, s16, s17
	s_delay_alu instid0(SALU_CYCLE_1)
	v_dual_mov_b32 v0, 0 :: v_dual_mov_b32 v1, s1
	global_atomic_min_i32 v0, v1, s[10:11] scope:SCOPE_DEV
.LBB73_95:
	s_wait_xcnt 0x0
	s_or_b32 exec_lo, exec_lo, s0
	v_dual_mov_b32 v0, 0 :: v_dual_mov_b32 v1, 1
	s_add_nc_u64 s[0:1], s[6:7], s[8:9]
	global_wb scope:SCOPE_DEV
	s_wait_storecnt 0x0
	global_store_b32 v0, v1, s[0:1] scope:SCOPE_DEV
	s_endpgm
	.section	.rodata,"a",@progbits
	.p2align	6, 0x0
	.amdhsa_kernel _ZN9rocsparseL17bsric0_2_8_kernelILi64ELi128ELi8E21rocsparse_complex_numIdEEEv20rocsparse_direction_iiPKiS5_PT2_S5_PiS5_S8_21rocsparse_index_base_
		.amdhsa_group_segment_fixed_size 6144
		.amdhsa_private_segment_fixed_size 0
		.amdhsa_kernarg_size 76
		.amdhsa_user_sgpr_count 2
		.amdhsa_user_sgpr_dispatch_ptr 0
		.amdhsa_user_sgpr_queue_ptr 0
		.amdhsa_user_sgpr_kernarg_segment_ptr 1
		.amdhsa_user_sgpr_dispatch_id 0
		.amdhsa_user_sgpr_kernarg_preload_length 0
		.amdhsa_user_sgpr_kernarg_preload_offset 0
		.amdhsa_user_sgpr_private_segment_size 0
		.amdhsa_wavefront_size32 1
		.amdhsa_uses_dynamic_stack 0
		.amdhsa_enable_private_segment 0
		.amdhsa_system_sgpr_workgroup_id_x 1
		.amdhsa_system_sgpr_workgroup_id_y 0
		.amdhsa_system_sgpr_workgroup_id_z 0
		.amdhsa_system_sgpr_workgroup_info 0
		.amdhsa_system_vgpr_workitem_id 1
		.amdhsa_next_free_vgpr 40
		.amdhsa_next_free_sgpr 43
		.amdhsa_named_barrier_count 0
		.amdhsa_reserve_vcc 1
		.amdhsa_float_round_mode_32 0
		.amdhsa_float_round_mode_16_64 0
		.amdhsa_float_denorm_mode_32 3
		.amdhsa_float_denorm_mode_16_64 3
		.amdhsa_fp16_overflow 0
		.amdhsa_memory_ordered 1
		.amdhsa_forward_progress 1
		.amdhsa_inst_pref_size 40
		.amdhsa_round_robin_scheduling 0
		.amdhsa_exception_fp_ieee_invalid_op 0
		.amdhsa_exception_fp_denorm_src 0
		.amdhsa_exception_fp_ieee_div_zero 0
		.amdhsa_exception_fp_ieee_overflow 0
		.amdhsa_exception_fp_ieee_underflow 0
		.amdhsa_exception_fp_ieee_inexact 0
		.amdhsa_exception_int_div_zero 0
	.end_amdhsa_kernel
	.section	.text._ZN9rocsparseL17bsric0_2_8_kernelILi64ELi128ELi8E21rocsparse_complex_numIdEEEv20rocsparse_direction_iiPKiS5_PT2_S5_PiS5_S8_21rocsparse_index_base_,"axG",@progbits,_ZN9rocsparseL17bsric0_2_8_kernelILi64ELi128ELi8E21rocsparse_complex_numIdEEEv20rocsparse_direction_iiPKiS5_PT2_S5_PiS5_S8_21rocsparse_index_base_,comdat
.Lfunc_end73:
	.size	_ZN9rocsparseL17bsric0_2_8_kernelILi64ELi128ELi8E21rocsparse_complex_numIdEEEv20rocsparse_direction_iiPKiS5_PT2_S5_PiS5_S8_21rocsparse_index_base_, .Lfunc_end73-_ZN9rocsparseL17bsric0_2_8_kernelILi64ELi128ELi8E21rocsparse_complex_numIdEEEv20rocsparse_direction_iiPKiS5_PT2_S5_PiS5_S8_21rocsparse_index_base_
                                        ; -- End function
	.set _ZN9rocsparseL17bsric0_2_8_kernelILi64ELi128ELi8E21rocsparse_complex_numIdEEEv20rocsparse_direction_iiPKiS5_PT2_S5_PiS5_S8_21rocsparse_index_base_.num_vgpr, 40
	.set _ZN9rocsparseL17bsric0_2_8_kernelILi64ELi128ELi8E21rocsparse_complex_numIdEEEv20rocsparse_direction_iiPKiS5_PT2_S5_PiS5_S8_21rocsparse_index_base_.num_agpr, 0
	.set _ZN9rocsparseL17bsric0_2_8_kernelILi64ELi128ELi8E21rocsparse_complex_numIdEEEv20rocsparse_direction_iiPKiS5_PT2_S5_PiS5_S8_21rocsparse_index_base_.numbered_sgpr, 43
	.set _ZN9rocsparseL17bsric0_2_8_kernelILi64ELi128ELi8E21rocsparse_complex_numIdEEEv20rocsparse_direction_iiPKiS5_PT2_S5_PiS5_S8_21rocsparse_index_base_.num_named_barrier, 0
	.set _ZN9rocsparseL17bsric0_2_8_kernelILi64ELi128ELi8E21rocsparse_complex_numIdEEEv20rocsparse_direction_iiPKiS5_PT2_S5_PiS5_S8_21rocsparse_index_base_.private_seg_size, 0
	.set _ZN9rocsparseL17bsric0_2_8_kernelILi64ELi128ELi8E21rocsparse_complex_numIdEEEv20rocsparse_direction_iiPKiS5_PT2_S5_PiS5_S8_21rocsparse_index_base_.uses_vcc, 1
	.set _ZN9rocsparseL17bsric0_2_8_kernelILi64ELi128ELi8E21rocsparse_complex_numIdEEEv20rocsparse_direction_iiPKiS5_PT2_S5_PiS5_S8_21rocsparse_index_base_.uses_flat_scratch, 0
	.set _ZN9rocsparseL17bsric0_2_8_kernelILi64ELi128ELi8E21rocsparse_complex_numIdEEEv20rocsparse_direction_iiPKiS5_PT2_S5_PiS5_S8_21rocsparse_index_base_.has_dyn_sized_stack, 0
	.set _ZN9rocsparseL17bsric0_2_8_kernelILi64ELi128ELi8E21rocsparse_complex_numIdEEEv20rocsparse_direction_iiPKiS5_PT2_S5_PiS5_S8_21rocsparse_index_base_.has_recursion, 0
	.set _ZN9rocsparseL17bsric0_2_8_kernelILi64ELi128ELi8E21rocsparse_complex_numIdEEEv20rocsparse_direction_iiPKiS5_PT2_S5_PiS5_S8_21rocsparse_index_base_.has_indirect_call, 0
	.section	.AMDGPU.csdata,"",@progbits
; Kernel info:
; codeLenInByte = 5116
; TotalNumSgprs: 45
; NumVgprs: 40
; ScratchSize: 0
; MemoryBound: 1
; FloatMode: 240
; IeeeMode: 1
; LDSByteSize: 6144 bytes/workgroup (compile time only)
; SGPRBlocks: 0
; VGPRBlocks: 2
; NumSGPRsForWavesPerEU: 45
; NumVGPRsForWavesPerEU: 40
; NamedBarCnt: 0
; Occupancy: 14
; WaveLimiterHint : 1
; COMPUTE_PGM_RSRC2:SCRATCH_EN: 0
; COMPUTE_PGM_RSRC2:USER_SGPR: 2
; COMPUTE_PGM_RSRC2:TRAP_HANDLER: 0
; COMPUTE_PGM_RSRC2:TGID_X_EN: 1
; COMPUTE_PGM_RSRC2:TGID_Y_EN: 0
; COMPUTE_PGM_RSRC2:TGID_Z_EN: 0
; COMPUTE_PGM_RSRC2:TIDIG_COMP_CNT: 1
	.section	.text._ZN9rocsparseL18bsric0_9_16_kernelILi64ELi128ELi16E21rocsparse_complex_numIdEEEv20rocsparse_direction_iiPKiS5_PT2_S5_PiS5_S8_21rocsparse_index_base_,"axG",@progbits,_ZN9rocsparseL18bsric0_9_16_kernelILi64ELi128ELi16E21rocsparse_complex_numIdEEEv20rocsparse_direction_iiPKiS5_PT2_S5_PiS5_S8_21rocsparse_index_base_,comdat
	.globl	_ZN9rocsparseL18bsric0_9_16_kernelILi64ELi128ELi16E21rocsparse_complex_numIdEEEv20rocsparse_direction_iiPKiS5_PT2_S5_PiS5_S8_21rocsparse_index_base_ ; -- Begin function _ZN9rocsparseL18bsric0_9_16_kernelILi64ELi128ELi16E21rocsparse_complex_numIdEEEv20rocsparse_direction_iiPKiS5_PT2_S5_PiS5_S8_21rocsparse_index_base_
	.p2align	8
	.type	_ZN9rocsparseL18bsric0_9_16_kernelILi64ELi128ELi16E21rocsparse_complex_numIdEEEv20rocsparse_direction_iiPKiS5_PT2_S5_PiS5_S8_21rocsparse_index_base_,@function
_ZN9rocsparseL18bsric0_9_16_kernelILi64ELi128ELi16E21rocsparse_complex_numIdEEEv20rocsparse_direction_iiPKiS5_PT2_S5_PiS5_S8_21rocsparse_index_base_: ; @_ZN9rocsparseL18bsric0_9_16_kernelILi64ELi128ELi16E21rocsparse_complex_numIdEEEv20rocsparse_direction_iiPKiS5_PT2_S5_PiS5_S8_21rocsparse_index_base_
; %bb.0:
	s_load_b256 s[4:11], s[0:1], 0x28
	s_bfe_u32 s2, ttmp6, 0x4000c
	s_and_b32 s3, ttmp6, 15
	s_add_co_i32 s2, s2, 1
	s_getreg_b32 s12, hwreg(HW_REG_IB_STS2, 6, 4)
	s_mul_i32 s2, ttmp9, s2
	v_and_b32_e32 v16, 0x3ff, v0
	s_add_co_i32 s3, s3, s2
	s_cmp_eq_u32 s12, 0
	v_bfe_u32 v17, v0, 10, 10
	s_cselect_b32 s2, ttmp9, s3
	s_wait_kmcnt 0x0
	s_load_b32 s16, s[8:9], s2 offset:0x0 scale_offset
	s_wait_kmcnt 0x0
	s_ashr_i32 s17, s16, 31
	s_delay_alu instid0(SALU_CYCLE_1) | instskip(NEXT) | instid1(SALU_CYCLE_1)
	s_lshl_b64 s[8:9], s[16:17], 2
	s_add_nc_u64 s[2:3], s[4:5], s[8:9]
	s_load_b32 s28, s[2:3], 0x0
	s_load_b32 s17, s[0:1], 0x48
	s_wait_kmcnt 0x0
	s_cmp_lg_u32 s28, -1
	s_cbranch_scc0 .LBB74_134
; %bb.1:
	s_clause 0x1
	s_load_b128 s[12:15], s[0:1], 0x10
	s_load_b64 s[18:19], s[0:1], 0x20
	v_dual_lshlrev_b32 v0, 2, v17 :: v_dual_lshlrev_b32 v20, 4, v17
	s_wait_kmcnt 0x0
	s_add_nc_u64 s[2:3], s[12:13], s[8:9]
	s_load_b32 s2, s[2:3], 0x0
	s_wait_kmcnt 0x0
	s_sub_co_i32 s31, s2, s17
	s_mov_b32 s2, exec_lo
	v_add3_u32 v0, v0, v16, s31
	s_delay_alu instid0(VALU_DEP_1)
	v_cmpx_ge_i32_e64 s28, v0
	s_cbranch_execz .LBB74_4
; %bb.2:
	v_lshlrev_b32_e32 v1, 2, v16
	s_mov_b32 s3, 0
	s_delay_alu instid0(VALU_DEP_1)
	v_add3_u32 v1, v20, v1, 0x4800
.LBB74_3:                               ; =>This Inner Loop Header: Depth=1
	global_load_b32 v2, v0, s[14:15] scale_offset
	s_wait_xcnt 0x0
	v_add_nc_u32_e32 v0, 64, v0
	s_delay_alu instid0(VALU_DEP_1)
	v_cmp_lt_i32_e32 vcc_lo, s28, v0
	s_or_b32 s3, vcc_lo, s3
	s_wait_loadcnt 0x0
	v_subrev_nc_u32_e32 v2, s17, v2
	ds_store_b32 v1, v2
	v_add_nc_u32_e32 v1, 0x100, v1
	s_and_not1_b32 exec_lo, exec_lo, s3
	s_cbranch_execnz .LBB74_3
.LBB74_4:
	s_or_b32 exec_lo, exec_lo, s2
	v_mul_u32_u24_e32 v18, 0x110, v17
	v_lshlrev_b32_e32 v19, 4, v16
	s_mov_b32 s2, exec_lo
	v_cmpx_gt_u32_e32 16, v16
	s_cbranch_execz .LBB74_7
; %bb.5:
	v_dual_mov_b32 v0, 0 :: v_dual_add_nc_u32 v4, -4, v16
	v_add3_u32 v5, v18, v19, 0x3300
	s_mov_b32 s3, 0
	s_delay_alu instid0(VALU_DEP_2)
	v_dual_mov_b32 v1, v0 :: v_dual_mov_b32 v2, v0
	v_mov_b32_e32 v3, v0
.LBB74_6:                               ; =>This Inner Loop Header: Depth=1
	v_add_nc_u32_e32 v4, 4, v4
	ds_store_b128 v5, v[0:3]
	v_add_nc_u32_e32 v5, 64, v5
	v_cmp_lt_u32_e32 vcc_lo, 11, v4
	s_or_b32 s3, vcc_lo, s3
	s_delay_alu instid0(SALU_CYCLE_1)
	s_and_not1_b32 exec_lo, exec_lo, s3
	s_cbranch_execnz .LBB74_6
.LBB74_7:
	s_or_b32 exec_lo, exec_lo, s2
	s_clause 0x1
	s_load_b32 s29, s[0:1], 0x8
	s_load_b32 s30, s[0:1], 0x0
	s_cmp_ge_i32 s31, s28
	s_wait_dscnt 0x0
	s_wait_kmcnt 0x0
	v_cmp_gt_i32_e64 s0, s29, v16
	s_cbranch_scc1 .LBB74_89
; %bb.8:
	v_mad_u32 v0, s29, s31, v17
	v_mul_lo_u32 v24, s29, v17
	v_mul_lo_u32 v26, v16, s29
	v_or_b32_e32 v1, v16, v17
	v_mad_u32_u24 v22, 0x110, v17, v19
	s_movk_i32 s3, 0x110
	s_movk_i32 s2, 0x1100
	s_cmp_lg_u32 s30, 0
	v_cmp_gt_i32_e64 s1, s29, v17
	v_mad_u32_u24 v21, v17, s3, 0x2200
	v_mad_u32_u24 v23, 0x110, v17, s2
	v_mul_lo_u32 v29, s29, v0
	v_add_nc_u32_e32 v25, 0x1100, v22
	v_add_nc_u32_e32 v27, 0x3300, v22
	v_mad_u32_u24 v28, v16, s3, 0x2200
	v_add_nc_u32_e32 v30, 0x2200, v22
	v_mov_b32_e32 v0, 0
	v_cmp_ne_u32_e64 s2, 0, v1
	s_cselect_b32 s33, -1, 0
	s_cmp_gt_i32 s29, 0
	s_mul_i32 s35, s29, s29
	s_cselect_b32 s34, -1, 0
	s_lshl_b32 s36, s29, 2
	s_mov_b32 s20, s31
	s_branch .LBB74_10
.LBB74_9:                               ;   in Loop: Header=BB74_10 Depth=1
	s_or_b32 exec_lo, exec_lo, s3
	s_add_co_i32 s20, s20, 1
	v_add_nc_u32_e32 v29, s35, v29
	s_cmp_ge_i32 s20, s28
	global_wb scope:SCOPE_DEV
	s_wait_storecnt 0x0
	global_inv scope:SCOPE_DEV
	s_cselect_b32 s3, -1, 0
	s_delay_alu instid0(SALU_CYCLE_1)
	s_and_b32 vcc_lo, exec_lo, s3
	s_cbranch_vccnz .LBB74_89
.LBB74_10:                              ; =>This Loop Header: Depth=1
                                        ;     Child Loop BB74_14 Depth 2
                                        ;     Child Loop BB74_26 Depth 2
	;; [unrolled: 1-line block ×5, first 2 shown]
                                        ;       Child Loop BB74_56 Depth 3
                                        ;     Child Loop BB74_70 Depth 2
                                        ;       Child Loop BB74_75 Depth 3
                                        ;       Child Loop BB74_78 Depth 3
                                        ;     Child Loop BB74_84 Depth 2
	s_ashr_i32 s21, s20, 31
	s_delay_alu instid0(SALU_CYCLE_1) | instskip(NEXT) | instid1(SALU_CYCLE_1)
	s_lshl_b64 s[22:23], s[20:21], 2
	s_add_nc_u64 s[22:23], s[14:15], s[22:23]
	s_load_b32 s37, s[22:23], 0x0
	s_wait_kmcnt 0x0
	s_sub_co_i32 s24, s37, s17
	s_delay_alu instid0(SALU_CYCLE_1) | instskip(SKIP_2) | instid1(SALU_CYCLE_1)
	s_ashr_i32 s25, s24, 31
	s_wait_xcnt 0x0
	s_lshl_b64 s[22:23], s[24:25], 2
	s_add_nc_u64 s[26:27], s[4:5], s[22:23]
	s_load_b32 s3, s[26:27], 0x0
	s_wait_kmcnt 0x0
	s_cmp_eq_u32 s3, -1
	s_cbranch_scc1 .LBB74_88
; %bb.11:                               ;   in Loop: Header=BB74_10 Depth=1
	s_wait_xcnt 0x0
	s_add_nc_u64 s[26:27], s[12:13], s[22:23]
	s_mul_i32 s21, s20, s29
	s_load_b32 s25, s[26:27], 0x0
	s_wait_xcnt 0x0
	s_and_saveexec_b32 s26, s0
	s_cbranch_execz .LBB74_24
; %bb.12:                               ;   in Loop: Header=BB74_10 Depth=1
	v_dual_mov_b32 v8, v25 :: v_dual_mov_b32 v9, v16
	s_mov_b32 s27, 0
	s_branch .LBB74_14
.LBB74_13:                              ;   in Loop: Header=BB74_14 Depth=2
	s_wait_xcnt 0x0
	s_or_b32 exec_lo, exec_lo, s39
	v_dual_mov_b32 v1, v0 :: v_dual_add_nc_u32 v9, 4, v9
	v_dual_mov_b32 v2, v0 :: v_dual_mov_b32 v3, v0
	s_wait_loadcnt 0x0
	ds_store_b128 v8, v[4:7] offset:4352
	ds_store_b128 v8, v[0:3]
	v_cmp_le_i32_e32 vcc_lo, s29, v9
	v_add_nc_u32_e32 v8, 64, v8
	s_or_b32 s27, vcc_lo, s27
	s_delay_alu instid0(SALU_CYCLE_1)
	s_and_not1_b32 exec_lo, exec_lo, s27
	s_cbranch_execz .LBB74_24
.LBB74_14:                              ;   Parent Loop BB74_10 Depth=1
                                        ; =>  This Inner Loop Header: Depth=2
	s_and_b32 vcc_lo, exec_lo, s33
	s_cbranch_vccz .LBB74_21
; %bb.15:                               ;   in Loop: Header=BB74_14 Depth=2
	s_mov_b32 s39, 0
	s_mov_b32 s38, 0
                                        ; implicit-def: $vgpr1
	s_and_saveexec_b32 s40, s1
	s_delay_alu instid0(SALU_CYCLE_1)
	s_xor_b32 s40, exec_lo, s40
; %bb.16:                               ;   in Loop: Header=BB74_14 Depth=2
	v_add_nc_u32_e32 v1, s21, v9
	s_mov_b32 s38, exec_lo
	s_delay_alu instid0(VALU_DEP_1)
	v_mad_u32 v1, v1, s29, v17
; %bb.17:                               ;   in Loop: Header=BB74_14 Depth=2
	s_or_b32 exec_lo, exec_lo, s40
	s_delay_alu instid0(SALU_CYCLE_1)
	s_and_b32 vcc_lo, exec_lo, s39
	s_cbranch_vccz .LBB74_22
.LBB74_18:                              ;   in Loop: Header=BB74_14 Depth=2
                                        ; implicit-def: $vgpr1
	s_and_saveexec_b32 s39, s1
; %bb.19:                               ;   in Loop: Header=BB74_14 Depth=2
	v_add_nc_u32_e32 v1, v29, v9
	s_or_b32 s38, s38, exec_lo
; %bb.20:                               ;   in Loop: Header=BB74_14 Depth=2
	s_or_b32 exec_lo, exec_lo, s39
	v_mov_b64_e32 v[4:5], 0
	v_mov_b64_e32 v[6:7], 0
	s_and_saveexec_b32 s39, s38
	s_cbranch_execz .LBB74_13
	s_branch .LBB74_23
.LBB74_21:                              ;   in Loop: Header=BB74_14 Depth=2
	s_mov_b32 s38, 0
                                        ; implicit-def: $vgpr1
	s_cbranch_execnz .LBB74_18
.LBB74_22:                              ;   in Loop: Header=BB74_14 Depth=2
	v_mov_b64_e32 v[4:5], 0
	v_mov_b64_e32 v[6:7], 0
	s_and_saveexec_b32 s39, s38
	s_cbranch_execz .LBB74_13
.LBB74_23:                              ;   in Loop: Header=BB74_14 Depth=2
	global_load_b128 v[4:7], v1, s[18:19] scale_offset
	s_branch .LBB74_13
.LBB74_24:                              ;   in Loop: Header=BB74_10 Depth=1
	s_or_b32 exec_lo, exec_lo, s26
	ds_load_b32 v1, v0 offset:18432
	s_wait_kmcnt 0x0
	s_sub_co_i32 s26, s25, s17
	s_delay_alu instid0(SALU_CYCLE_1) | instskip(SKIP_4) | instid1(SALU_CYCLE_1)
	s_cmp_le_i32 s26, s3
	s_cselect_b32 s25, -1, 0
	s_wait_dscnt 0x0
	v_cmp_ge_i32_e32 vcc_lo, s24, v1
	s_and_b32 s25, s25, vcc_lo
	s_and_not1_b32 vcc_lo, exec_lo, s25
	s_mov_b32 s25, 0
	s_cbranch_vccnz .LBB74_36
; %bb.25:                               ;   in Loop: Header=BB74_10 Depth=1
	s_mov_b32 s38, 0
	s_mov_b32 s39, 0
.LBB74_26:                              ;   Parent Loop BB74_10 Depth=1
                                        ; =>  This Inner Loop Header: Depth=2
	s_ashr_i32 s27, s26, 31
	s_lshl_b32 s25, s39, 2
	s_wait_xcnt 0x0
	s_lshl_b64 s[40:41], s[26:27], 2
	v_mov_b32_e32 v1, s25
	s_add_nc_u64 s[40:41], s[14:15], s[40:41]
	s_mov_b32 s42, -1
	s_load_b32 s25, s[40:41], 0x0
                                        ; implicit-def: $sgpr41
                                        ; implicit-def: $sgpr40
	ds_load_b32 v1, v1 offset:18432
	s_wait_kmcnt 0x0
	s_sub_co_i32 s43, s25, s17
                                        ; implicit-def: $sgpr25
	s_wait_dscnt 0x0
	v_readfirstlane_b32 s27, v1
	v_cmp_ge_i32_e32 vcc_lo, s43, v1
	s_cbranch_vccz .LBB74_32
; %bb.27:                               ;   in Loop: Header=BB74_26 Depth=2
	s_cmp_le_i32 s43, s27
                                        ; implicit-def: $sgpr25
                                        ; implicit-def: $sgpr41
                                        ; implicit-def: $sgpr40
	s_cbranch_scc0 .LBB74_29
; %bb.28:                               ;   in Loop: Header=BB74_26 Depth=2
	s_add_co_i32 s25, s39, s31
	s_wait_xcnt 0x0
	s_lshl_b32 s40, s38, 2
	s_mul_i32 s25, s25, s35
	s_delay_alu instid0(SALU_CYCLE_1)
	v_dual_mov_b32 v1, s40 :: v_dual_mov_b32 v2, s25
	s_mul_i32 s40, s26, s35
	s_add_co_i32 s41, s26, 1
	v_mov_b32_e32 v3, s40
	s_add_co_i32 s40, s39, 1
	s_add_co_i32 s25, s38, 1
	s_mov_b32 s42, 0
	ds_store_2addr_stride64_b32 v1, v3, v2 offset0:68 offset1:70
.LBB74_29:                              ;   in Loop: Header=BB74_26 Depth=2
	s_and_not1_b32 vcc_lo, exec_lo, s42
	s_cbranch_vccnz .LBB74_31
; %bb.30:                               ;   in Loop: Header=BB74_26 Depth=2
	s_wait_xcnt 0x0
	s_add_co_i32 s40, s39, 1
	s_mov_b32 s25, s38
	s_mov_b32 s41, s26
.LBB74_31:                              ;   in Loop: Header=BB74_26 Depth=2
	s_mov_b32 s42, 0
.LBB74_32:                              ;   in Loop: Header=BB74_26 Depth=2
	s_delay_alu instid0(SALU_CYCLE_1)
	s_and_not1_b32 vcc_lo, exec_lo, s42
	s_cbranch_vccnz .LBB74_34
; %bb.33:                               ;   in Loop: Header=BB74_26 Depth=2
	s_wait_xcnt 0x0
	s_add_co_i32 s41, s26, 1
	s_mov_b32 s40, s39
	s_mov_b32 s25, s38
.LBB74_34:                              ;   in Loop: Header=BB74_26 Depth=2
	s_cmp_le_i32 s41, s3
	s_cselect_b32 s26, -1, 0
	s_cmp_le_i32 s27, s24
	s_cselect_b32 s27, -1, 0
	s_delay_alu instid0(SALU_CYCLE_1) | instskip(NEXT) | instid1(SALU_CYCLE_1)
	s_and_b32 s26, s26, s27
	s_and_b32 vcc_lo, exec_lo, s26
	s_cbranch_vccz .LBB74_36
; %bb.35:                               ;   in Loop: Header=BB74_26 Depth=2
	s_mov_b32 s38, s25
	s_mov_b32 s26, s41
	;; [unrolled: 1-line block ×3, first 2 shown]
	s_branch .LBB74_26
.LBB74_36:                              ;   in Loop: Header=BB74_10 Depth=1
	s_add_nc_u64 s[22:23], s[6:7], s[22:23]
	s_wait_dscnt 0x0
.LBB74_37:                              ;   Parent Loop BB74_10 Depth=1
                                        ; =>  This Inner Loop Header: Depth=2
	global_load_b32 v1, v0, s[22:23] scope:SCOPE_DEV
	s_wait_loadcnt 0x0
	v_cmp_eq_u32_e32 vcc_lo, 0, v1
	s_cbranch_vccnz .LBB74_37
; %bb.38:                               ;   in Loop: Header=BB74_10 Depth=1
	global_inv scope:SCOPE_DEV
	s_wait_xcnt 0x0
	s_and_saveexec_b32 s22, s0
	s_cbranch_execz .LBB74_51
; %bb.39:                               ;   in Loop: Header=BB74_10 Depth=1
	s_mul_i32 s3, s3, s29
	s_delay_alu instid0(SALU_CYCLE_1) | instskip(SKIP_2) | instid1(VALU_DEP_2)
	v_dual_mov_b32 v7, v16 :: v_dual_add_nc_u32 v1, s3, v17
	v_mov_b32_e32 v6, v22
	s_mov_b32 s23, 0
	v_mul_lo_u32 v1, v1, s29
	s_branch .LBB74_41
.LBB74_40:                              ;   in Loop: Header=BB74_41 Depth=2
	s_wait_xcnt 0x0
	s_or_b32 exec_lo, exec_lo, s26
	v_add_nc_u32_e32 v7, 4, v7
	s_wait_loadcnt 0x0
	ds_store_b128 v6, v[2:5]
	v_add_nc_u32_e32 v6, 64, v6
	v_cmp_le_i32_e32 vcc_lo, s29, v7
	s_or_b32 s23, vcc_lo, s23
	s_delay_alu instid0(SALU_CYCLE_1)
	s_and_not1_b32 exec_lo, exec_lo, s23
	s_cbranch_execz .LBB74_51
.LBB74_41:                              ;   Parent Loop BB74_10 Depth=1
                                        ; =>  This Inner Loop Header: Depth=2
	s_and_b32 vcc_lo, exec_lo, s33
	s_cbranch_vccz .LBB74_48
; %bb.42:                               ;   in Loop: Header=BB74_41 Depth=2
	s_mov_b32 s26, 0
	s_mov_b32 s24, 0
                                        ; implicit-def: $vgpr8
	s_and_saveexec_b32 s27, s1
	s_delay_alu instid0(SALU_CYCLE_1)
	s_xor_b32 s27, exec_lo, s27
; %bb.43:                               ;   in Loop: Header=BB74_41 Depth=2
	v_add_nc_u32_e32 v2, s3, v7
	s_mov_b32 s24, exec_lo
	s_delay_alu instid0(VALU_DEP_1)
	v_mad_u32 v8, v2, s29, v17
; %bb.44:                               ;   in Loop: Header=BB74_41 Depth=2
	s_or_b32 exec_lo, exec_lo, s27
	s_delay_alu instid0(SALU_CYCLE_1)
	s_and_b32 vcc_lo, exec_lo, s26
	s_cbranch_vccz .LBB74_49
.LBB74_45:                              ;   in Loop: Header=BB74_41 Depth=2
                                        ; implicit-def: $vgpr8
	s_and_saveexec_b32 s26, s1
; %bb.46:                               ;   in Loop: Header=BB74_41 Depth=2
	s_delay_alu instid0(VALU_DEP_1)
	v_add_nc_u32_e32 v8, v1, v7
	s_or_b32 s24, s24, exec_lo
; %bb.47:                               ;   in Loop: Header=BB74_41 Depth=2
	s_or_b32 exec_lo, exec_lo, s26
	v_mov_b64_e32 v[2:3], 0
	v_mov_b64_e32 v[4:5], 0
	s_and_saveexec_b32 s26, s24
	s_cbranch_execz .LBB74_40
	s_branch .LBB74_50
.LBB74_48:                              ;   in Loop: Header=BB74_41 Depth=2
	s_mov_b32 s24, 0
                                        ; implicit-def: $vgpr8
	s_cbranch_execnz .LBB74_45
.LBB74_49:                              ;   in Loop: Header=BB74_41 Depth=2
	v_mov_b64_e32 v[2:3], 0
	v_mov_b64_e32 v[4:5], 0
	s_and_saveexec_b32 s26, s24
	s_cbranch_execz .LBB74_40
.LBB74_50:                              ;   in Loop: Header=BB74_41 Depth=2
	global_load_b128 v[2:5], v8, s[18:19] scale_offset
	s_branch .LBB74_40
.LBB74_51:                              ;   in Loop: Header=BB74_10 Depth=1
	s_or_b32 exec_lo, exec_lo, s22
	s_cmp_lt_i32 s25, 2
	s_cbranch_scc1 .LBB74_67
; %bb.52:                               ;   in Loop: Header=BB74_10 Depth=1
	s_add_co_i32 s3, s25, -2
	s_mov_b32 s22, 0
	s_branch .LBB74_54
.LBB74_53:                              ;   in Loop: Header=BB74_54 Depth=2
	s_or_b32 exec_lo, exec_lo, s23
	s_add_co_i32 s23, s22, 1
	s_cmp_eq_u32 s22, s3
	s_mov_b32 s22, s23
	s_cbranch_scc1 .LBB74_67
.LBB74_54:                              ;   Parent Loop BB74_10 Depth=1
                                        ; =>  This Loop Header: Depth=2
                                        ;       Child Loop BB74_56 Depth 3
	s_and_saveexec_b32 s23, s0
	s_cbranch_execz .LBB74_53
; %bb.55:                               ;   in Loop: Header=BB74_54 Depth=2
	s_lshl_b32 s24, s22, 2
	s_delay_alu instid0(SALU_CYCLE_1)
	v_dual_mov_b32 v34, v16 :: v_dual_mov_b32 v1, s24
	s_mov_b32 s24, 0
	ds_load_2addr_stride64_b32 v[2:3], v1 offset0:68 offset1:70
	s_wait_dscnt 0x0
	v_dual_add_nc_u32 v1, v3, v24 :: v_dual_add_nc_u32 v32, v16, v2
	v_dual_add_nc_u32 v31, v17, v3 :: v_dual_add_nc_u32 v33, v26, v2
.LBB74_56:                              ;   Parent Loop BB74_10 Depth=1
                                        ;     Parent Loop BB74_54 Depth=2
                                        ; =>    This Inner Loop Header: Depth=3
	v_mov_b64_e32 v[10:11], 0
	v_mov_b64_e32 v[12:13], 0
	s_delay_alu instid0(VALU_DEP_3)
	v_dual_mov_b32 v35, v32 :: v_dual_mov_b32 v36, v31
	s_mov_b32 s25, 0
	s_and_b32 vcc_lo, exec_lo, s33
	s_cbranch_vccnz .LBB74_59
	s_branch .LBB74_58
.LBB74_57:                              ;   in Loop: Header=BB74_56 Depth=3
	s_delay_alu instid0(VALU_DEP_2) | instskip(NEXT) | instid1(VALU_DEP_3)
	v_mov_b64_e32 v[10:11], v[2:3]
	v_mov_b64_e32 v[12:13], v[14:15]
	s_and_b32 vcc_lo, exec_lo, s33
	s_cbranch_vccnz .LBB74_59
.LBB74_58:                              ;   in Loop: Header=BB74_56 Depth=3
                                        ; implicit-def: $vgpr2_vgpr3
                                        ; implicit-def: $vgpr14_vgpr15
	s_cbranch_execz .LBB74_65
	s_branch .LBB74_62
.LBB74_59:                              ;   in Loop: Header=BB74_56 Depth=3
	global_load_b128 v[2:5], v35, s[18:19] scale_offset
	v_mov_b64_e32 v[6:7], 0
	v_mov_b64_e32 v[8:9], 0
	s_wait_xcnt 0x0
	s_and_saveexec_b32 s26, s1
	s_cbranch_execz .LBB74_61
; %bb.60:                               ;   in Loop: Header=BB74_56 Depth=3
	global_load_b128 v[6:9], v36, s[18:19] scale_offset
.LBB74_61:                              ;   in Loop: Header=BB74_56 Depth=3
	s_wait_xcnt 0x0
	s_or_b32 exec_lo, exec_lo, s26
	s_wait_loadcnt 0x0
	v_fma_f64 v[14:15], v[2:3], v[6:7], v[12:13]
	v_fma_f64 v[6:7], v[4:5], v[6:7], v[10:11]
	s_delay_alu instid0(VALU_DEP_2) | instskip(NEXT) | instid1(VALU_DEP_2)
	v_fmac_f64_e32 v[14:15], v[4:5], v[8:9]
	v_fma_f64 v[2:3], v[2:3], -v[8:9], v[6:7]
	s_branch .LBB74_65
.LBB74_62:                              ;   in Loop: Header=BB74_56 Depth=3
	v_add_nc_u32_e32 v2, s25, v33
	v_mov_b64_e32 v[6:7], 0
	v_mov_b64_e32 v[8:9], 0
	global_load_b128 v[2:5], v2, s[18:19] scale_offset
	s_wait_xcnt 0x0
	s_and_saveexec_b32 s26, s1
	s_cbranch_execz .LBB74_64
; %bb.63:                               ;   in Loop: Header=BB74_56 Depth=3
	v_add_nc_u32_e32 v6, s25, v1
	global_load_b128 v[6:9], v6, s[18:19] scale_offset
.LBB74_64:                              ;   in Loop: Header=BB74_56 Depth=3
	s_wait_xcnt 0x0
	s_or_b32 exec_lo, exec_lo, s26
	s_wait_loadcnt 0x0
	v_fmac_f64_e32 v[12:13], v[2:3], v[6:7]
	v_fmac_f64_e32 v[10:11], v[4:5], v[6:7]
	s_delay_alu instid0(VALU_DEP_2) | instskip(NEXT) | instid1(VALU_DEP_2)
	v_fmac_f64_e32 v[12:13], v[4:5], v[8:9]
	v_fma_f64 v[2:3], v[2:3], -v[8:9], v[10:11]
	s_delay_alu instid0(VALU_DEP_2)
	v_mov_b64_e32 v[14:15], v[12:13]
.LBB74_65:                              ;   in Loop: Header=BB74_56 Depth=3
	v_dual_add_nc_u32 v36, s29, v36 :: v_dual_add_nc_u32 v35, s29, v35
	s_add_co_i32 s25, s25, 1
	s_delay_alu instid0(SALU_CYCLE_1)
	s_cmp_eq_u32 s29, s25
	s_cbranch_scc0 .LBB74_57
; %bb.66:                               ;   in Loop: Header=BB74_56 Depth=3
	v_lshl_add_u32 v8, v34, 4, v23
	v_dual_add_nc_u32 v33, s36, v33 :: v_dual_add_nc_u32 v34, 4, v34
	v_add_nc_u32_e32 v32, 4, v32
	ds_load_b128 v[4:7], v8
	v_cmp_le_i32_e32 vcc_lo, s29, v34
	s_or_b32 s24, vcc_lo, s24
	s_wait_dscnt 0x0
	v_add_f64_e32 v[4:5], v[14:15], v[4:5]
	v_add_f64_e32 v[6:7], v[2:3], v[6:7]
	ds_store_b128 v8, v[4:7]
	s_and_not1_b32 exec_lo, exec_lo, s24
	s_cbranch_execnz .LBB74_56
	s_branch .LBB74_53
.LBB74_67:                              ;   in Loop: Header=BB74_10 Depth=1
	s_and_not1_b32 vcc_lo, exec_lo, s34
	s_wait_loadcnt_dscnt 0x0
	s_cbranch_vccnz .LBB74_79
; %bb.68:                               ;   in Loop: Header=BB74_10 Depth=1
	v_mov_b32_e32 v1, v28
	s_mov_b32 s22, 0
	s_mov_b32 s23, 0
	s_branch .LBB74_70
.LBB74_69:                              ;   in Loop: Header=BB74_70 Depth=2
	s_or_b32 exec_lo, exec_lo, s3
	v_add_nc_u32_e32 v1, 16, v1
	s_add_co_i32 s23, s23, 1
	s_addk_co_i32 s22, 0x110
	s_cmp_eq_u32 s23, s29
	s_wait_dscnt 0x0
	s_cbranch_scc1 .LBB74_79
.LBB74_70:                              ;   Parent Loop BB74_10 Depth=1
                                        ; =>  This Loop Header: Depth=2
                                        ;       Child Loop BB74_75 Depth 3
                                        ;       Child Loop BB74_78 Depth 3
	s_lshl_b32 s24, s23, 4
	s_mul_i32 s3, s23, 0x110
	v_add_nc_u32_e32 v14, s24, v21
	s_add_co_i32 s3, s3, s24
	s_delay_alu instid0(SALU_CYCLE_1)
	v_mov_b32_e32 v2, s3
	ds_load_b128 v[6:9], v2
	ds_load_b128 v[2:5], v14
	s_wait_dscnt 0x1
	v_cmp_neq_f64_e32 vcc_lo, 0, v[6:7]
	v_cmp_neq_f64_e64 s3, 0, v[8:9]
	s_or_b32 vcc_lo, vcc_lo, s3
	v_cndmask_b32_e32 v11, 0x3ff00000, v7, vcc_lo
	v_dual_cndmask_b32 v10, 0, v6 :: v_dual_cndmask_b32 v13, 0, v9
	v_cndmask_b32_e32 v12, 0, v8, vcc_lo
	s_nor_b32 s24, vcc_lo, s2
	s_delay_alu instid0(SALU_CYCLE_1)
	s_and_saveexec_b32 s3, s24
	s_cbranch_execz .LBB74_74
; %bb.71:                               ;   in Loop: Header=BB74_70 Depth=2
	v_mbcnt_lo_u32_b32 v6, exec_lo, 0
	s_mov_b32 s24, exec_lo
	s_delay_alu instid0(VALU_DEP_1)
	v_cmpx_eq_u32_e32 0, v6
	s_cbranch_execz .LBB74_73
; %bb.72:                               ;   in Loop: Header=BB74_70 Depth=2
	v_mov_b32_e32 v6, s37
	global_atomic_min_i32 v0, v6, s[10:11] scope:SCOPE_DEV
.LBB74_73:                              ;   in Loop: Header=BB74_70 Depth=2
	s_wait_xcnt 0x0
	s_or_b32 exec_lo, exec_lo, s24
	v_mov_b64_e32 v[12:13], 0
	v_mov_b64_e32 v[10:11], 1.0
.LBB74_74:                              ;   in Loop: Header=BB74_70 Depth=2
	s_or_b32 exec_lo, exec_lo, s3
	v_lshl_add_u32 v6, s23, 4, v23
	v_mov_b32_e32 v15, v21
	s_cmp_eq_u32 s23, 0
	s_mov_b32 s3, s22
	s_mov_b32 s24, s23
	ds_load_b128 v[6:9], v6
	s_cbranch_scc1 .LBB74_76
.LBB74_75:                              ;   Parent Loop BB74_10 Depth=1
                                        ;     Parent Loop BB74_70 Depth=2
                                        ; =>    This Inner Loop Header: Depth=3
	v_mov_b32_e32 v31, s3
	s_add_co_i32 s24, s24, -1
	s_add_co_i32 s3, s3, 16
	s_cmp_eq_u32 s24, 0
	ds_load_b128 v[32:35], v15
	ds_load_b128 v[36:39], v31
	v_add_nc_u32_e32 v15, 16, v15
	s_wait_dscnt 0x0
	v_fmac_f64_e32 v[6:7], v[36:37], v[32:33]
	v_fmac_f64_e32 v[8:9], v[38:39], v[32:33]
	s_delay_alu instid0(VALU_DEP_2) | instskip(NEXT) | instid1(VALU_DEP_2)
	v_fmac_f64_e32 v[6:7], v[38:39], v[34:35]
	v_fma_f64 v[8:9], v[36:37], -v[34:35], v[8:9]
	s_cbranch_scc0 .LBB74_75
.LBB74_76:                              ;   in Loop: Header=BB74_70 Depth=2
	v_mul_f64_e32 v[32:33], v[12:13], v[12:13]
	s_wait_dscnt 0x0
	s_delay_alu instid0(VALU_DEP_2) | instskip(NEXT) | instid1(VALU_DEP_4)
	v_add_f64_e64 v[4:5], v[4:5], -v[8:9]
	v_add_f64_e64 v[2:3], v[2:3], -v[6:7]
	s_delay_alu instid0(VALU_DEP_3) | instskip(NEXT) | instid1(VALU_DEP_3)
	v_fmac_f64_e32 v[32:33], v[10:11], v[10:11]
	v_mul_f64_e32 v[6:7], v[12:13], v[4:5]
	s_delay_alu instid0(VALU_DEP_3) | instskip(NEXT) | instid1(VALU_DEP_3)
	v_mul_f64_e64 v[12:13], v[12:13], -v[2:3]
	v_div_scale_f64 v[34:35], null, v[32:33], v[32:33], 1.0
	v_div_scale_f64 v[40:41], vcc_lo, 1.0, v[32:33], 1.0
	s_delay_alu instid0(VALU_DEP_4) | instskip(NEXT) | instid1(VALU_DEP_4)
	v_fmac_f64_e32 v[6:7], v[2:3], v[10:11]
	v_fmac_f64_e32 v[12:13], v[4:5], v[10:11]
	s_delay_alu instid0(VALU_DEP_4) | instskip(SKIP_1) | instid1(TRANS32_DEP_1)
	v_rcp_f64_e32 v[36:37], v[34:35]
	v_nop
	v_fma_f64 v[38:39], -v[34:35], v[36:37], 1.0
	s_delay_alu instid0(VALU_DEP_1) | instskip(NEXT) | instid1(VALU_DEP_1)
	v_fmac_f64_e32 v[36:37], v[36:37], v[38:39]
	v_fma_f64 v[38:39], -v[34:35], v[36:37], 1.0
	s_delay_alu instid0(VALU_DEP_1) | instskip(NEXT) | instid1(VALU_DEP_1)
	v_fmac_f64_e32 v[36:37], v[36:37], v[38:39]
	v_mul_f64_e32 v[38:39], v[40:41], v[36:37]
	s_delay_alu instid0(VALU_DEP_1) | instskip(NEXT) | instid1(VALU_DEP_1)
	v_fma_f64 v[8:9], -v[34:35], v[38:39], v[40:41]
	v_div_fmas_f64 v[8:9], v[8:9], v[36:37], v[38:39]
	s_delay_alu instid0(VALU_DEP_1) | instskip(NEXT) | instid1(VALU_DEP_1)
	v_div_fixup_f64 v[8:9], v[8:9], v[32:33], 1.0
	v_mul_f64_e32 v[2:3], v[8:9], v[6:7]
	v_mul_f64_e32 v[4:5], v[8:9], v[12:13]
	ds_store_b128 v14, v[2:5]
	s_wait_storecnt_dscnt 0x0
	s_and_saveexec_b32 s3, s0
	s_cbranch_execz .LBB74_69
; %bb.77:                               ;   in Loop: Header=BB74_70 Depth=2
	v_dual_mov_b32 v6, v1 :: v_dual_mov_b32 v7, v27
	v_mov_b32_e32 v8, v16
	s_mov_b32 s24, 0
.LBB74_78:                              ;   Parent Loop BB74_10 Depth=1
                                        ;     Parent Loop BB74_70 Depth=2
                                        ; =>    This Inner Loop Header: Depth=3
	ds_load_b128 v[10:13], v6
	ds_load_b128 v[32:35], v7
	v_add_nc_u32_e32 v8, 4, v8
	v_add_nc_u32_e32 v6, 0x440, v6
	s_delay_alu instid0(VALU_DEP_2) | instskip(SKIP_4) | instid1(VALU_DEP_2)
	v_cmp_le_i32_e32 vcc_lo, s29, v8
	s_or_b32 s24, vcc_lo, s24
	s_wait_dscnt 0x0
	v_fmac_f64_e32 v[32:33], v[2:3], v[10:11]
	v_fmac_f64_e32 v[34:35], v[4:5], v[10:11]
	;; [unrolled: 1-line block ×3, first 2 shown]
	s_delay_alu instid0(VALU_DEP_2)
	v_fma_f64 v[34:35], v[2:3], -v[12:13], v[34:35]
	ds_store_b128 v7, v[32:35]
	v_add_nc_u32_e32 v7, 64, v7
	s_and_not1_b32 exec_lo, exec_lo, s24
	s_cbranch_execnz .LBB74_78
	s_branch .LBB74_69
.LBB74_79:                              ;   in Loop: Header=BB74_10 Depth=1
	s_and_saveexec_b32 s3, s0
	s_cbranch_execz .LBB74_9
; %bb.80:                               ;   in Loop: Header=BB74_10 Depth=1
	v_dual_mov_b32 v1, v30 :: v_dual_mov_b32 v2, v16
	s_mov_b32 s22, 0
	s_branch .LBB74_84
.LBB74_81:                              ;   in Loop: Header=BB74_84 Depth=2
	v_add_nc_u32_e32 v3, v29, v2
.LBB74_82:                              ;   in Loop: Header=BB74_84 Depth=2
	ds_load_2addr_b64 v[4:7], v1 offset1:1
	s_wait_dscnt 0x0
	global_store_b128 v3, v[4:7], s[18:19] scale_offset
.LBB74_83:                              ;   in Loop: Header=BB74_84 Depth=2
	s_wait_xcnt 0x0
	s_or_b32 exec_lo, exec_lo, s23
	v_dual_add_nc_u32 v2, 4, v2 :: v_dual_add_nc_u32 v1, 64, v1
	s_delay_alu instid0(VALU_DEP_1) | instskip(SKIP_1) | instid1(SALU_CYCLE_1)
	v_cmp_le_i32_e32 vcc_lo, s29, v2
	s_or_b32 s22, vcc_lo, s22
	s_and_not1_b32 exec_lo, exec_lo, s22
	s_cbranch_execz .LBB74_9
.LBB74_84:                              ;   Parent Loop BB74_10 Depth=1
                                        ; =>  This Inner Loop Header: Depth=2
	s_and_saveexec_b32 s23, s1
	s_cbranch_execz .LBB74_83
; %bb.85:                               ;   in Loop: Header=BB74_84 Depth=2
	s_and_b32 vcc_lo, exec_lo, s33
	s_cbranch_vccz .LBB74_87
; %bb.86:                               ;   in Loop: Header=BB74_84 Depth=2
	v_add_nc_u32_e32 v3, s21, v2
	s_delay_alu instid0(VALU_DEP_1)
	v_mad_u32 v3, v3, s29, v17
	s_cbranch_execnz .LBB74_82
	s_branch .LBB74_81
.LBB74_87:                              ;   in Loop: Header=BB74_84 Depth=2
                                        ; implicit-def: $vgpr3
	s_branch .LBB74_81
.LBB74_88:                              ;   in Loop: Header=BB74_10 Depth=1
                                        ; implicit-def: $sgpr20
                                        ; implicit-def: $vgpr29
	s_cbranch_execz .LBB74_10
.LBB74_89:
	v_cmp_gt_i32_e64 s0, s29, v16
	s_and_saveexec_b32 s2, s0
	s_cbranch_execz .LBB74_102
; %bb.90:
	s_mul_i32 s3, s28, s29
	v_cmp_gt_i32_e64 s1, s29, v17
	v_dual_add_nc_u32 v0, s3, v17 :: v_dual_mov_b32 v6, v16
	v_add3_u32 v5, v18, v19, 0x2200
	s_cmp_lg_u32 s30, 0
	s_mov_b32 s4, 0
	s_delay_alu instid0(VALU_DEP_2)
	v_mul_lo_u32 v4, v0, s29
	s_cselect_b32 s5, -1, 0
	s_branch .LBB74_92
.LBB74_91:                              ;   in Loop: Header=BB74_92 Depth=1
	s_wait_xcnt 0x0
	s_or_b32 exec_lo, exec_lo, s13
	v_add_nc_u32_e32 v6, 4, v6
	s_wait_loadcnt 0x0
	ds_store_b128 v5, v[0:3]
	v_add_nc_u32_e32 v5, 64, v5
	v_cmp_le_i32_e32 vcc_lo, s29, v6
	s_or_b32 s4, vcc_lo, s4
	s_delay_alu instid0(SALU_CYCLE_1)
	s_and_not1_b32 exec_lo, exec_lo, s4
	s_cbranch_execz .LBB74_102
.LBB74_92:                              ; =>This Inner Loop Header: Depth=1
	s_and_b32 vcc_lo, exec_lo, s5
	s_cbranch_vccz .LBB74_99
; %bb.93:                               ;   in Loop: Header=BB74_92 Depth=1
	s_mov_b32 s13, 0
	s_mov_b32 s12, 0
                                        ; implicit-def: $vgpr7
	s_and_saveexec_b32 s14, s1
	s_delay_alu instid0(SALU_CYCLE_1)
	s_xor_b32 s14, exec_lo, s14
; %bb.94:                               ;   in Loop: Header=BB74_92 Depth=1
	v_add_nc_u32_e32 v0, s3, v6
	s_mov_b32 s12, exec_lo
	s_delay_alu instid0(VALU_DEP_1)
	v_mad_u32 v7, v0, s29, v17
; %bb.95:                               ;   in Loop: Header=BB74_92 Depth=1
	s_or_b32 exec_lo, exec_lo, s14
	s_delay_alu instid0(SALU_CYCLE_1)
	s_and_b32 vcc_lo, exec_lo, s13
	s_cbranch_vccz .LBB74_100
.LBB74_96:                              ;   in Loop: Header=BB74_92 Depth=1
                                        ; implicit-def: $vgpr7
	s_and_saveexec_b32 s13, s1
; %bb.97:                               ;   in Loop: Header=BB74_92 Depth=1
	s_delay_alu instid0(VALU_DEP_1)
	v_add_nc_u32_e32 v7, v4, v6
	s_or_b32 s12, s12, exec_lo
; %bb.98:                               ;   in Loop: Header=BB74_92 Depth=1
	s_or_b32 exec_lo, exec_lo, s13
	v_mov_b64_e32 v[0:1], 0
	v_mov_b64_e32 v[2:3], 0
	s_and_saveexec_b32 s13, s12
	s_cbranch_execz .LBB74_91
	s_branch .LBB74_101
.LBB74_99:                              ;   in Loop: Header=BB74_92 Depth=1
	s_mov_b32 s12, 0
                                        ; implicit-def: $vgpr7
	s_cbranch_execnz .LBB74_96
.LBB74_100:                             ;   in Loop: Header=BB74_92 Depth=1
	v_mov_b64_e32 v[0:1], 0
	v_mov_b64_e32 v[2:3], 0
	s_and_saveexec_b32 s13, s12
	s_cbranch_execz .LBB74_91
.LBB74_101:                             ;   in Loop: Header=BB74_92 Depth=1
	global_load_b128 v[0:3], v7, s[18:19] scale_offset
	s_branch .LBB74_91
.LBB74_102:
	s_or_b32 exec_lo, exec_lo, s2
	s_cmp_lt_i32 s29, 1
	s_wait_loadcnt_dscnt 0x0
	s_cbranch_scc1 .LBB74_121
; %bb.103:
	s_movk_i32 s2, 0x110
	s_movk_i32 s1, 0x3300
	v_mad_u32_u24 v10, v17, s2, 0x2200
	v_or_b32_e32 v0, v16, v17
	v_mad_u32_u24 v11, 0x110, v17, s1
	v_add3_u32 v14, v18, v19, 0x3300
	v_mad_u32_u24 v15, v16, s2, 0x2200
	v_add_nc_u32_e32 v12, v10, v20
	v_cmp_ne_u32_e64 s1, 0, v0
	v_dual_mov_b32 v2, 0 :: v_dual_add_nc_u32 v13, v11, v20
	s_mov_b32 s3, 0
	s_add_co_i32 s4, s16, s17
	s_branch .LBB74_105
.LBB74_104:                             ;   in Loop: Header=BB74_105 Depth=1
	s_or_b32 exec_lo, exec_lo, s2
	v_add_nc_u32_e32 v15, 16, v15
	s_add_co_i32 s3, s3, 1
	s_wait_storecnt_dscnt 0x0
	s_cmp_eq_u32 s3, s29
	s_cbranch_scc1 .LBB74_121
.LBB74_105:                             ; =>This Loop Header: Depth=1
                                        ;     Child Loop BB74_120 Depth 2
	s_mov_b32 s2, exec_lo
	v_cmpx_eq_u32_e64 s3, v17
	s_cbranch_execz .LBB74_113
; %bb.106:                              ;   in Loop: Header=BB74_105 Depth=1
	ds_load_b128 v[4:7], v13
	ds_load_b128 v[20:23], v12
	s_mov_b32 s5, exec_lo
	s_wait_dscnt 0x0
	v_add_f64_e64 v[0:1], v[20:21], -v[4:5]
	v_add_f64_e64 v[8:9], v[22:23], -v[6:7]
                                        ; implicit-def: $vgpr6_vgpr7
	s_delay_alu instid0(VALU_DEP_2) | instskip(SKIP_1) | instid1(VALU_DEP_3)
	v_cmp_gt_f64_e32 vcc_lo, 0, v[0:1]
	v_xor_b32_e32 v3, 0x80000000, v1
	v_xor_b32_e32 v4, 0x80000000, v9
	s_delay_alu instid0(VALU_DEP_2) | instskip(SKIP_1) | instid1(VALU_DEP_3)
	v_cndmask_b32_e32 v1, v1, v3, vcc_lo
	v_cmp_gt_f64_e32 vcc_lo, 0, v[8:9]
	v_dual_cndmask_b32 v5, v9, v4 :: v_dual_mov_b32 v4, v8
	s_delay_alu instid0(VALU_DEP_1)
	v_cmpx_ngt_f64_e32 v[0:1], v[4:5]
	s_xor_b32 s5, exec_lo, s5
	s_cbranch_execz .LBB74_110
; %bb.107:                              ;   in Loop: Header=BB74_105 Depth=1
	v_mov_b64_e32 v[6:7], 0
	s_mov_b32 s12, exec_lo
	v_cmpx_neq_f64_e32 0, v[8:9]
	s_cbranch_execz .LBB74_109
; %bb.108:                              ;   in Loop: Header=BB74_105 Depth=1
	v_div_scale_f64 v[6:7], null, v[4:5], v[4:5], v[0:1]
	v_div_scale_f64 v[22:23], vcc_lo, v[0:1], v[4:5], v[0:1]
	s_delay_alu instid0(VALU_DEP_2) | instskip(SKIP_1) | instid1(TRANS32_DEP_1)
	v_rcp_f64_e32 v[8:9], v[6:7]
	v_nop
	v_fma_f64 v[20:21], -v[6:7], v[8:9], 1.0
	s_delay_alu instid0(VALU_DEP_1) | instskip(NEXT) | instid1(VALU_DEP_1)
	v_fmac_f64_e32 v[8:9], v[8:9], v[20:21]
	v_fma_f64 v[20:21], -v[6:7], v[8:9], 1.0
	s_delay_alu instid0(VALU_DEP_1) | instskip(NEXT) | instid1(VALU_DEP_1)
	v_fmac_f64_e32 v[8:9], v[8:9], v[20:21]
	v_mul_f64_e32 v[20:21], v[22:23], v[8:9]
	s_delay_alu instid0(VALU_DEP_1) | instskip(NEXT) | instid1(VALU_DEP_1)
	v_fma_f64 v[6:7], -v[6:7], v[20:21], v[22:23]
	v_div_fmas_f64 v[6:7], v[6:7], v[8:9], v[20:21]
	s_delay_alu instid0(VALU_DEP_1) | instskip(NEXT) | instid1(VALU_DEP_1)
	v_div_fixup_f64 v[0:1], v[6:7], v[4:5], v[0:1]
	v_fma_f64 v[0:1], v[0:1], v[0:1], 1.0
	s_delay_alu instid0(VALU_DEP_1) | instskip(SKIP_1) | instid1(VALU_DEP_1)
	v_cmp_gt_f64_e32 vcc_lo, 0x10000000, v[0:1]
	v_cndmask_b32_e64 v3, 0, 0x100, vcc_lo
	v_ldexp_f64 v[0:1], v[0:1], v3
	v_cndmask_b32_e64 v3, 0, 0xffffff80, vcc_lo
	s_delay_alu instid0(VALU_DEP_2) | instskip(SKIP_1) | instid1(TRANS32_DEP_1)
	v_rsq_f64_e32 v[6:7], v[0:1]
	v_cmp_class_f64_e64 vcc_lo, v[0:1], 0x260
	v_mul_f64_e32 v[8:9], v[0:1], v[6:7]
	v_mul_f64_e32 v[6:7], 0.5, v[6:7]
	s_delay_alu instid0(VALU_DEP_1) | instskip(NEXT) | instid1(VALU_DEP_1)
	v_fma_f64 v[20:21], -v[6:7], v[8:9], 0.5
	v_fmac_f64_e32 v[8:9], v[8:9], v[20:21]
	v_fmac_f64_e32 v[6:7], v[6:7], v[20:21]
	s_delay_alu instid0(VALU_DEP_2) | instskip(NEXT) | instid1(VALU_DEP_1)
	v_fma_f64 v[20:21], -v[8:9], v[8:9], v[0:1]
	v_fmac_f64_e32 v[8:9], v[20:21], v[6:7]
	s_delay_alu instid0(VALU_DEP_1) | instskip(NEXT) | instid1(VALU_DEP_1)
	v_fma_f64 v[20:21], -v[8:9], v[8:9], v[0:1]
	v_fmac_f64_e32 v[8:9], v[20:21], v[6:7]
	s_delay_alu instid0(VALU_DEP_1) | instskip(NEXT) | instid1(VALU_DEP_1)
	v_ldexp_f64 v[6:7], v[8:9], v3
	v_dual_cndmask_b32 v1, v7, v1 :: v_dual_cndmask_b32 v0, v6, v0
	s_delay_alu instid0(VALU_DEP_1)
	v_mul_f64_e32 v[6:7], v[4:5], v[0:1]
.LBB74_109:                             ;   in Loop: Header=BB74_105 Depth=1
	s_or_b32 exec_lo, exec_lo, s12
                                        ; implicit-def: $vgpr0_vgpr1
                                        ; implicit-def: $vgpr4_vgpr5
.LBB74_110:                             ;   in Loop: Header=BB74_105 Depth=1
	s_and_not1_saveexec_b32 s5, s5
	s_cbranch_execz .LBB74_112
; %bb.111:                              ;   in Loop: Header=BB74_105 Depth=1
	v_div_scale_f64 v[6:7], null, v[0:1], v[0:1], v[4:5]
	v_div_scale_f64 v[22:23], vcc_lo, v[4:5], v[0:1], v[4:5]
	s_delay_alu instid0(VALU_DEP_2) | instskip(SKIP_1) | instid1(TRANS32_DEP_1)
	v_rcp_f64_e32 v[8:9], v[6:7]
	v_nop
	v_fma_f64 v[20:21], -v[6:7], v[8:9], 1.0
	s_delay_alu instid0(VALU_DEP_1) | instskip(NEXT) | instid1(VALU_DEP_1)
	v_fmac_f64_e32 v[8:9], v[8:9], v[20:21]
	v_fma_f64 v[20:21], -v[6:7], v[8:9], 1.0
	s_delay_alu instid0(VALU_DEP_1) | instskip(NEXT) | instid1(VALU_DEP_1)
	v_fmac_f64_e32 v[8:9], v[8:9], v[20:21]
	v_mul_f64_e32 v[20:21], v[22:23], v[8:9]
	s_delay_alu instid0(VALU_DEP_1) | instskip(NEXT) | instid1(VALU_DEP_1)
	v_fma_f64 v[6:7], -v[6:7], v[20:21], v[22:23]
	v_div_fmas_f64 v[6:7], v[6:7], v[8:9], v[20:21]
	s_delay_alu instid0(VALU_DEP_1) | instskip(NEXT) | instid1(VALU_DEP_1)
	v_div_fixup_f64 v[4:5], v[6:7], v[0:1], v[4:5]
	v_fma_f64 v[4:5], v[4:5], v[4:5], 1.0
	s_delay_alu instid0(VALU_DEP_1) | instskip(SKIP_1) | instid1(VALU_DEP_1)
	v_cmp_gt_f64_e32 vcc_lo, 0x10000000, v[4:5]
	v_cndmask_b32_e64 v3, 0, 0x100, vcc_lo
	v_ldexp_f64 v[4:5], v[4:5], v3
	v_cndmask_b32_e64 v3, 0, 0xffffff80, vcc_lo
	s_delay_alu instid0(VALU_DEP_2) | instskip(SKIP_1) | instid1(TRANS32_DEP_1)
	v_rsq_f64_e32 v[6:7], v[4:5]
	v_cmp_class_f64_e64 vcc_lo, v[4:5], 0x260
	v_mul_f64_e32 v[8:9], v[4:5], v[6:7]
	v_mul_f64_e32 v[6:7], 0.5, v[6:7]
	s_delay_alu instid0(VALU_DEP_1) | instskip(NEXT) | instid1(VALU_DEP_1)
	v_fma_f64 v[20:21], -v[6:7], v[8:9], 0.5
	v_fmac_f64_e32 v[8:9], v[8:9], v[20:21]
	v_fmac_f64_e32 v[6:7], v[6:7], v[20:21]
	s_delay_alu instid0(VALU_DEP_2) | instskip(NEXT) | instid1(VALU_DEP_1)
	v_fma_f64 v[20:21], -v[8:9], v[8:9], v[4:5]
	v_fmac_f64_e32 v[8:9], v[20:21], v[6:7]
	s_delay_alu instid0(VALU_DEP_1) | instskip(NEXT) | instid1(VALU_DEP_1)
	v_fma_f64 v[20:21], -v[8:9], v[8:9], v[4:5]
	v_fmac_f64_e32 v[8:9], v[20:21], v[6:7]
	s_delay_alu instid0(VALU_DEP_1) | instskip(NEXT) | instid1(VALU_DEP_1)
	v_ldexp_f64 v[6:7], v[8:9], v3
	v_dual_cndmask_b32 v5, v7, v5 :: v_dual_cndmask_b32 v4, v6, v4
	s_delay_alu instid0(VALU_DEP_1)
	v_mul_f64_e32 v[6:7], v[0:1], v[4:5]
.LBB74_112:                             ;   in Loop: Header=BB74_105 Depth=1
	s_or_b32 exec_lo, exec_lo, s5
	s_delay_alu instid0(VALU_DEP_1) | instskip(SKIP_2) | instid1(VALU_DEP_2)
	v_cmp_gt_f64_e32 vcc_lo, 0x10000000, v[6:7]
	v_cndmask_b32_e64 v0, 0, 0x100, vcc_lo
	v_cndmask_b32_e64 v3, 0, 0xffffff80, vcc_lo
	v_ldexp_f64 v[0:1], v[6:7], v0
	s_delay_alu instid0(VALU_DEP_1) | instskip(SKIP_1) | instid1(TRANS32_DEP_1)
	v_rsq_f64_e32 v[4:5], v[0:1]
	v_cmp_class_f64_e64 vcc_lo, v[0:1], 0x260
	v_mul_f64_e32 v[6:7], v[0:1], v[4:5]
	v_mul_f64_e32 v[4:5], 0.5, v[4:5]
	s_delay_alu instid0(VALU_DEP_1) | instskip(NEXT) | instid1(VALU_DEP_1)
	v_fma_f64 v[8:9], -v[4:5], v[6:7], 0.5
	v_fmac_f64_e32 v[6:7], v[6:7], v[8:9]
	v_fmac_f64_e32 v[4:5], v[4:5], v[8:9]
	s_delay_alu instid0(VALU_DEP_2) | instskip(NEXT) | instid1(VALU_DEP_1)
	v_fma_f64 v[8:9], -v[6:7], v[6:7], v[0:1]
	v_fmac_f64_e32 v[6:7], v[8:9], v[4:5]
	s_delay_alu instid0(VALU_DEP_1) | instskip(NEXT) | instid1(VALU_DEP_1)
	v_fma_f64 v[8:9], -v[6:7], v[6:7], v[0:1]
	v_fmac_f64_e32 v[6:7], v[8:9], v[4:5]
	s_delay_alu instid0(VALU_DEP_1) | instskip(NEXT) | instid1(VALU_DEP_1)
	v_ldexp_f64 v[4:5], v[6:7], v3
	v_dual_mov_b32 v3, v2 :: v_dual_cndmask_b32 v1, v5, v1, vcc_lo
	s_delay_alu instid0(VALU_DEP_2)
	v_cndmask_b32_e32 v0, v4, v0, vcc_lo
	ds_store_b128 v12, v[0:3]
.LBB74_113:                             ;   in Loop: Header=BB74_105 Depth=1
	s_or_b32 exec_lo, exec_lo, s2
	s_lshl_b32 s5, s3, 4
	s_mul_i32 s2, s3, 0x110
	s_wait_dscnt 0x0
	s_add_co_i32 s2, s2, s5
	s_delay_alu instid0(SALU_CYCLE_1)
	v_dual_mov_b32 v0, s2 :: v_dual_add_nc_u32 v3, s5, v10
	ds_load_b128 v[4:7], v3
	ds_load_b128 v[20:23], v0 offset:8704
	s_wait_dscnt 0x0
	v_cmp_neq_f64_e32 vcc_lo, 0, v[20:21]
	v_cmp_neq_f64_e64 s2, 0, v[22:23]
	s_or_b32 vcc_lo, vcc_lo, s2
	v_dual_cndmask_b32 v9, 0, v23 :: v_dual_cndmask_b32 v8, 0, v22
	v_cndmask_b32_e32 v1, 0x3ff00000, v21, vcc_lo
	v_cndmask_b32_e32 v0, 0, v20, vcc_lo
	s_nor_b32 s5, vcc_lo, s1
	s_delay_alu instid0(SALU_CYCLE_1)
	s_and_saveexec_b32 s2, s5
	s_cbranch_execz .LBB74_117
; %bb.114:                              ;   in Loop: Header=BB74_105 Depth=1
	v_mbcnt_lo_u32_b32 v0, exec_lo, 0
	s_mov_b32 s5, exec_lo
	s_delay_alu instid0(VALU_DEP_1)
	v_cmpx_eq_u32_e32 0, v0
	s_cbranch_execz .LBB74_116
; %bb.115:                              ;   in Loop: Header=BB74_105 Depth=1
	v_mov_b32_e32 v0, s4
	global_atomic_min_i32 v2, v0, s[10:11] scope:SCOPE_DEV
.LBB74_116:                             ;   in Loop: Header=BB74_105 Depth=1
	s_wait_xcnt 0x0
	s_or_b32 exec_lo, exec_lo, s5
	v_mov_b64_e32 v[0:1], 1.0
	v_mov_b64_e32 v[8:9], 0
.LBB74_117:                             ;   in Loop: Header=BB74_105 Depth=1
	s_or_b32 exec_lo, exec_lo, s2
	s_delay_alu instid0(SALU_CYCLE_1)
	s_mov_b32 s2, exec_lo
	v_cmpx_lt_u32_e64 s3, v17
	s_cbranch_execz .LBB74_104
; %bb.118:                              ;   in Loop: Header=BB74_105 Depth=1
	s_delay_alu instid0(VALU_DEP_2) | instskip(NEXT) | instid1(VALU_DEP_1)
	v_mul_f64_e32 v[24:25], v[8:9], v[8:9]
	v_fmac_f64_e32 v[24:25], v[0:1], v[0:1]
	s_delay_alu instid0(VALU_DEP_1) | instskip(SKIP_1) | instid1(VALU_DEP_2)
	v_div_scale_f64 v[26:27], null, v[24:25], v[24:25], 1.0
	v_div_scale_f64 v[30:31], vcc_lo, 1.0, v[24:25], 1.0
	v_rcp_f64_e32 v[28:29], v[26:27]
	v_nop
	s_delay_alu instid0(TRANS32_DEP_1) | instskip(NEXT) | instid1(VALU_DEP_1)
	v_fma_f64 v[20:21], -v[26:27], v[28:29], 1.0
	v_fmac_f64_e32 v[28:29], v[28:29], v[20:21]
	s_delay_alu instid0(VALU_DEP_1) | instskip(NEXT) | instid1(VALU_DEP_1)
	v_fma_f64 v[20:21], -v[26:27], v[28:29], 1.0
	v_fmac_f64_e32 v[28:29], v[28:29], v[20:21]
	v_lshl_add_u32 v20, s3, 4, v11
	ds_load_b128 v[20:23], v20
	s_wait_dscnt 0x0
	v_add_f64_e64 v[6:7], v[6:7], -v[22:23]
	v_add_f64_e64 v[4:5], v[4:5], -v[20:21]
	v_mul_f64_e32 v[32:33], v[30:31], v[28:29]
	s_delay_alu instid0(VALU_DEP_3) | instskip(NEXT) | instid1(VALU_DEP_3)
	v_mul_f64_e32 v[20:21], v[8:9], v[6:7]
	v_mul_f64_e64 v[8:9], v[8:9], -v[4:5]
	s_delay_alu instid0(VALU_DEP_3) | instskip(NEXT) | instid1(VALU_DEP_3)
	v_fma_f64 v[22:23], -v[26:27], v[32:33], v[30:31]
	v_fmac_f64_e32 v[20:21], v[4:5], v[0:1]
	s_delay_alu instid0(VALU_DEP_3) | instskip(NEXT) | instid1(VALU_DEP_3)
	v_fmac_f64_e32 v[8:9], v[6:7], v[0:1]
	v_div_fmas_f64 v[22:23], v[22:23], v[28:29], v[32:33]
	s_delay_alu instid0(VALU_DEP_1) | instskip(NEXT) | instid1(VALU_DEP_1)
	v_div_fixup_f64 v[22:23], v[22:23], v[24:25], 1.0
	v_mul_f64_e32 v[4:5], v[22:23], v[20:21]
	s_delay_alu instid0(VALU_DEP_4)
	v_mul_f64_e32 v[6:7], v[22:23], v[8:9]
	ds_store_b128 v3, v[4:7]
	s_wait_storecnt_dscnt 0x0
	s_and_b32 exec_lo, exec_lo, s0
	s_cbranch_execz .LBB74_104
; %bb.119:                              ;   in Loop: Header=BB74_105 Depth=1
	v_dual_mov_b32 v0, v15 :: v_dual_mov_b32 v1, v14
	v_mov_b32_e32 v3, v16
	s_mov_b32 s5, 0
.LBB74_120:                             ;   Parent Loop BB74_105 Depth=1
                                        ; =>  This Inner Loop Header: Depth=2
	ds_load_b128 v[20:23], v0
	ds_load_b128 v[24:27], v1
	v_add_nc_u32_e32 v3, 4, v3
	v_add_nc_u32_e32 v0, 0x440, v0
	s_delay_alu instid0(VALU_DEP_2) | instskip(SKIP_4) | instid1(VALU_DEP_2)
	v_cmp_le_i32_e32 vcc_lo, s29, v3
	s_or_b32 s5, vcc_lo, s5
	s_wait_dscnt 0x0
	v_fmac_f64_e32 v[24:25], v[4:5], v[20:21]
	v_fmac_f64_e32 v[26:27], v[6:7], v[20:21]
	;; [unrolled: 1-line block ×3, first 2 shown]
	s_delay_alu instid0(VALU_DEP_2)
	v_fma_f64 v[26:27], v[4:5], -v[22:23], v[26:27]
	ds_store_b128 v1, v[24:27]
	v_add_nc_u32_e32 v1, 64, v1
	s_and_not1_b32 exec_lo, exec_lo, s5
	s_cbranch_execnz .LBB74_120
	s_branch .LBB74_104
.LBB74_121:
	s_and_saveexec_b32 s1, s0
	s_cbranch_execz .LBB74_130
; %bb.122:
	s_mul_i32 s28, s28, s29
	v_cmp_gt_i32_e64 s0, s29, v17
	v_dual_add_nc_u32 v0, s28, v17 :: v_dual_mov_b32 v2, v16
	v_add3_u32 v1, v18, v19, 0x2200
	s_cmp_lg_u32 s30, 0
	s_mov_b32 s2, 0
	s_delay_alu instid0(VALU_DEP_2)
	v_mul_lo_u32 v0, v0, s29
	s_cselect_b32 s3, -1, 0
	s_branch .LBB74_126
.LBB74_123:                             ;   in Loop: Header=BB74_126 Depth=1
	s_delay_alu instid0(VALU_DEP_1)
	v_add_nc_u32_e32 v3, v0, v2
.LBB74_124:                             ;   in Loop: Header=BB74_126 Depth=1
	ds_load_2addr_b64 v[4:7], v1 offset1:1
	s_wait_dscnt 0x0
	global_store_b128 v3, v[4:7], s[18:19] scale_offset
.LBB74_125:                             ;   in Loop: Header=BB74_126 Depth=1
	s_wait_xcnt 0x0
	s_or_b32 exec_lo, exec_lo, s4
	v_dual_add_nc_u32 v2, 4, v2 :: v_dual_add_nc_u32 v1, 64, v1
	s_delay_alu instid0(VALU_DEP_1) | instskip(SKIP_1) | instid1(SALU_CYCLE_1)
	v_cmp_le_i32_e32 vcc_lo, s29, v2
	s_or_b32 s2, vcc_lo, s2
	s_and_not1_b32 exec_lo, exec_lo, s2
	s_cbranch_execz .LBB74_130
.LBB74_126:                             ; =>This Inner Loop Header: Depth=1
	s_and_saveexec_b32 s4, s0
	s_cbranch_execz .LBB74_125
; %bb.127:                              ;   in Loop: Header=BB74_126 Depth=1
	s_and_b32 vcc_lo, exec_lo, s3
	s_cbranch_vccz .LBB74_129
; %bb.128:                              ;   in Loop: Header=BB74_126 Depth=1
	v_add_nc_u32_e32 v3, s28, v2
	s_delay_alu instid0(VALU_DEP_1)
	v_mad_u32 v3, v3, s29, v17
	s_cbranch_execnz .LBB74_124
	s_branch .LBB74_123
.LBB74_129:                             ;   in Loop: Header=BB74_126 Depth=1
                                        ; implicit-def: $vgpr3
	s_branch .LBB74_123
.LBB74_130:
	s_or_b32 exec_lo, exec_lo, s1
	v_or_b32_e32 v0, v16, v17
	s_mov_b32 s0, 0
	s_mov_b32 s1, exec_lo
	s_delay_alu instid0(VALU_DEP_1)
	v_cmpx_eq_u32_e32 0, v0
	s_cbranch_execz .LBB74_132
; %bb.131:
	v_dual_mov_b32 v0, 0 :: v_dual_mov_b32 v1, 1
	s_add_nc_u64 s[2:3], s[6:7], s[8:9]
	global_wb scope:SCOPE_DEV
	s_wait_storecnt 0x0
	global_store_b32 v0, v1, s[2:3] scope:SCOPE_DEV
.LBB74_132:
	s_wait_xcnt 0x0
	s_or_b32 exec_lo, exec_lo, s1
	s_delay_alu instid0(SALU_CYCLE_1)
	s_and_b32 vcc_lo, exec_lo, s0
	s_cbranch_vccnz .LBB74_135
.LBB74_133:
	s_endpgm
.LBB74_134:
	s_cbranch_execz .LBB74_133
.LBB74_135:
	v_or_b32_e32 v0, v16, v17
	s_mov_b32 s0, exec_lo
	s_delay_alu instid0(VALU_DEP_1)
	v_cmpx_eq_u32_e32 0, v0
	s_cbranch_execz .LBB74_133
; %bb.136:
	v_mbcnt_lo_u32_b32 v0, exec_lo, 0
	s_mov_b32 s0, exec_lo
	s_delay_alu instid0(VALU_DEP_1)
	v_cmpx_eq_u32_e32 0, v0
	s_cbranch_execz .LBB74_138
; %bb.137:
	s_add_co_i32 s1, s16, s17
	s_delay_alu instid0(SALU_CYCLE_1)
	v_dual_mov_b32 v0, 0 :: v_dual_mov_b32 v1, s1
	global_atomic_min_i32 v0, v1, s[10:11] scope:SCOPE_DEV
.LBB74_138:
	s_wait_xcnt 0x0
	s_or_b32 exec_lo, exec_lo, s0
	v_dual_mov_b32 v0, 0 :: v_dual_mov_b32 v1, 1
	s_add_nc_u64 s[0:1], s[6:7], s[8:9]
	global_wb scope:SCOPE_DEV
	s_wait_storecnt 0x0
	global_store_b32 v0, v1, s[0:1] scope:SCOPE_DEV
	s_endpgm
	.section	.rodata,"a",@progbits
	.p2align	6, 0x0
	.amdhsa_kernel _ZN9rocsparseL18bsric0_9_16_kernelILi64ELi128ELi16E21rocsparse_complex_numIdEEEv20rocsparse_direction_iiPKiS5_PT2_S5_PiS5_S8_21rocsparse_index_base_
		.amdhsa_group_segment_fixed_size 18944
		.amdhsa_private_segment_fixed_size 0
		.amdhsa_kernarg_size 76
		.amdhsa_user_sgpr_count 2
		.amdhsa_user_sgpr_dispatch_ptr 0
		.amdhsa_user_sgpr_queue_ptr 0
		.amdhsa_user_sgpr_kernarg_segment_ptr 1
		.amdhsa_user_sgpr_dispatch_id 0
		.amdhsa_user_sgpr_kernarg_preload_length 0
		.amdhsa_user_sgpr_kernarg_preload_offset 0
		.amdhsa_user_sgpr_private_segment_size 0
		.amdhsa_wavefront_size32 1
		.amdhsa_uses_dynamic_stack 0
		.amdhsa_enable_private_segment 0
		.amdhsa_system_sgpr_workgroup_id_x 1
		.amdhsa_system_sgpr_workgroup_id_y 0
		.amdhsa_system_sgpr_workgroup_id_z 0
		.amdhsa_system_sgpr_workgroup_info 0
		.amdhsa_system_vgpr_workitem_id 1
		.amdhsa_next_free_vgpr 113
		.amdhsa_next_free_sgpr 44
		.amdhsa_named_barrier_count 0
		.amdhsa_reserve_vcc 1
		.amdhsa_float_round_mode_32 0
		.amdhsa_float_round_mode_16_64 0
		.amdhsa_float_denorm_mode_32 3
		.amdhsa_float_denorm_mode_16_64 3
		.amdhsa_fp16_overflow 0
		.amdhsa_memory_ordered 1
		.amdhsa_forward_progress 1
		.amdhsa_inst_pref_size 39
		.amdhsa_round_robin_scheduling 0
		.amdhsa_exception_fp_ieee_invalid_op 0
		.amdhsa_exception_fp_denorm_src 0
		.amdhsa_exception_fp_ieee_div_zero 0
		.amdhsa_exception_fp_ieee_overflow 0
		.amdhsa_exception_fp_ieee_underflow 0
		.amdhsa_exception_fp_ieee_inexact 0
		.amdhsa_exception_int_div_zero 0
	.end_amdhsa_kernel
	.section	.text._ZN9rocsparseL18bsric0_9_16_kernelILi64ELi128ELi16E21rocsparse_complex_numIdEEEv20rocsparse_direction_iiPKiS5_PT2_S5_PiS5_S8_21rocsparse_index_base_,"axG",@progbits,_ZN9rocsparseL18bsric0_9_16_kernelILi64ELi128ELi16E21rocsparse_complex_numIdEEEv20rocsparse_direction_iiPKiS5_PT2_S5_PiS5_S8_21rocsparse_index_base_,comdat
.Lfunc_end74:
	.size	_ZN9rocsparseL18bsric0_9_16_kernelILi64ELi128ELi16E21rocsparse_complex_numIdEEEv20rocsparse_direction_iiPKiS5_PT2_S5_PiS5_S8_21rocsparse_index_base_, .Lfunc_end74-_ZN9rocsparseL18bsric0_9_16_kernelILi64ELi128ELi16E21rocsparse_complex_numIdEEEv20rocsparse_direction_iiPKiS5_PT2_S5_PiS5_S8_21rocsparse_index_base_
                                        ; -- End function
	.set _ZN9rocsparseL18bsric0_9_16_kernelILi64ELi128ELi16E21rocsparse_complex_numIdEEEv20rocsparse_direction_iiPKiS5_PT2_S5_PiS5_S8_21rocsparse_index_base_.num_vgpr, 42
	.set _ZN9rocsparseL18bsric0_9_16_kernelILi64ELi128ELi16E21rocsparse_complex_numIdEEEv20rocsparse_direction_iiPKiS5_PT2_S5_PiS5_S8_21rocsparse_index_base_.num_agpr, 0
	.set _ZN9rocsparseL18bsric0_9_16_kernelILi64ELi128ELi16E21rocsparse_complex_numIdEEEv20rocsparse_direction_iiPKiS5_PT2_S5_PiS5_S8_21rocsparse_index_base_.numbered_sgpr, 44
	.set _ZN9rocsparseL18bsric0_9_16_kernelILi64ELi128ELi16E21rocsparse_complex_numIdEEEv20rocsparse_direction_iiPKiS5_PT2_S5_PiS5_S8_21rocsparse_index_base_.num_named_barrier, 0
	.set _ZN9rocsparseL18bsric0_9_16_kernelILi64ELi128ELi16E21rocsparse_complex_numIdEEEv20rocsparse_direction_iiPKiS5_PT2_S5_PiS5_S8_21rocsparse_index_base_.private_seg_size, 0
	.set _ZN9rocsparseL18bsric0_9_16_kernelILi64ELi128ELi16E21rocsparse_complex_numIdEEEv20rocsparse_direction_iiPKiS5_PT2_S5_PiS5_S8_21rocsparse_index_base_.uses_vcc, 1
	.set _ZN9rocsparseL18bsric0_9_16_kernelILi64ELi128ELi16E21rocsparse_complex_numIdEEEv20rocsparse_direction_iiPKiS5_PT2_S5_PiS5_S8_21rocsparse_index_base_.uses_flat_scratch, 0
	.set _ZN9rocsparseL18bsric0_9_16_kernelILi64ELi128ELi16E21rocsparse_complex_numIdEEEv20rocsparse_direction_iiPKiS5_PT2_S5_PiS5_S8_21rocsparse_index_base_.has_dyn_sized_stack, 0
	.set _ZN9rocsparseL18bsric0_9_16_kernelILi64ELi128ELi16E21rocsparse_complex_numIdEEEv20rocsparse_direction_iiPKiS5_PT2_S5_PiS5_S8_21rocsparse_index_base_.has_recursion, 0
	.set _ZN9rocsparseL18bsric0_9_16_kernelILi64ELi128ELi16E21rocsparse_complex_numIdEEEv20rocsparse_direction_iiPKiS5_PT2_S5_PiS5_S8_21rocsparse_index_base_.has_indirect_call, 0
	.section	.AMDGPU.csdata,"",@progbits
; Kernel info:
; codeLenInByte = 4952
; TotalNumSgprs: 46
; NumVgprs: 42
; ScratchSize: 0
; MemoryBound: 1
; FloatMode: 240
; IeeeMode: 1
; LDSByteSize: 18944 bytes/workgroup (compile time only)
; SGPRBlocks: 0
; VGPRBlocks: 7
; NumSGPRsForWavesPerEU: 46
; NumVGPRsForWavesPerEU: 113
; NamedBarCnt: 0
; Occupancy: 8
; WaveLimiterHint : 1
; COMPUTE_PGM_RSRC2:SCRATCH_EN: 0
; COMPUTE_PGM_RSRC2:USER_SGPR: 2
; COMPUTE_PGM_RSRC2:TRAP_HANDLER: 0
; COMPUTE_PGM_RSRC2:TGID_X_EN: 1
; COMPUTE_PGM_RSRC2:TGID_Y_EN: 0
; COMPUTE_PGM_RSRC2:TGID_Z_EN: 0
; COMPUTE_PGM_RSRC2:TIDIG_COMP_CNT: 1
	.section	.text._ZN9rocsparseL19bsric0_17_32_kernelILi64ELi128ELi32E21rocsparse_complex_numIdEEEv20rocsparse_direction_iiPKiS5_PT2_S5_PiS5_S8_21rocsparse_index_base_,"axG",@progbits,_ZN9rocsparseL19bsric0_17_32_kernelILi64ELi128ELi32E21rocsparse_complex_numIdEEEv20rocsparse_direction_iiPKiS5_PT2_S5_PiS5_S8_21rocsparse_index_base_,comdat
	.globl	_ZN9rocsparseL19bsric0_17_32_kernelILi64ELi128ELi32E21rocsparse_complex_numIdEEEv20rocsparse_direction_iiPKiS5_PT2_S5_PiS5_S8_21rocsparse_index_base_ ; -- Begin function _ZN9rocsparseL19bsric0_17_32_kernelILi64ELi128ELi32E21rocsparse_complex_numIdEEEv20rocsparse_direction_iiPKiS5_PT2_S5_PiS5_S8_21rocsparse_index_base_
	.p2align	8
	.type	_ZN9rocsparseL19bsric0_17_32_kernelILi64ELi128ELi32E21rocsparse_complex_numIdEEEv20rocsparse_direction_iiPKiS5_PT2_S5_PiS5_S8_21rocsparse_index_base_,@function
_ZN9rocsparseL19bsric0_17_32_kernelILi64ELi128ELi32E21rocsparse_complex_numIdEEEv20rocsparse_direction_iiPKiS5_PT2_S5_PiS5_S8_21rocsparse_index_base_: ; @_ZN9rocsparseL19bsric0_17_32_kernelILi64ELi128ELi32E21rocsparse_complex_numIdEEEv20rocsparse_direction_iiPKiS5_PT2_S5_PiS5_S8_21rocsparse_index_base_
; %bb.0:
	s_load_b256 s[4:11], s[0:1], 0x28
	s_bfe_u32 s2, ttmp6, 0x4000c
	s_and_b32 s3, ttmp6, 15
	s_add_co_i32 s2, s2, 1
	s_getreg_b32 s12, hwreg(HW_REG_IB_STS2, 6, 4)
	s_mul_i32 s2, ttmp9, s2
	v_and_b32_e32 v16, 0x3ff, v0
	s_add_co_i32 s3, s3, s2
	s_cmp_eq_u32 s12, 0
	v_bfe_u32 v17, v0, 10, 10
	s_cselect_b32 s2, ttmp9, s3
	s_wait_kmcnt 0x0
	s_load_b32 s16, s[8:9], s2 offset:0x0 scale_offset
	s_wait_kmcnt 0x0
	s_ashr_i32 s17, s16, 31
	s_delay_alu instid0(SALU_CYCLE_1) | instskip(NEXT) | instid1(SALU_CYCLE_1)
	s_lshl_b64 s[8:9], s[16:17], 2
	s_add_nc_u64 s[2:3], s[4:5], s[8:9]
	s_load_b32 s28, s[2:3], 0x0
	s_load_b32 s17, s[0:1], 0x48
	s_wait_kmcnt 0x0
	s_cmp_lg_u32 s28, -1
	s_cbranch_scc0 .LBB75_124
; %bb.1:
	s_clause 0x1
	s_load_b128 s[12:15], s[0:1], 0x10
	s_load_b64 s[18:19], s[0:1], 0x20
	v_lshlrev_b32_e32 v0, 1, v17
	s_wait_kmcnt 0x0
	s_add_nc_u64 s[2:3], s[12:13], s[8:9]
	s_load_b32 s2, s[2:3], 0x0
	s_wait_kmcnt 0x0
	s_sub_co_i32 s31, s2, s17
	s_mov_b32 s2, exec_lo
	v_add3_u32 v0, v0, v16, s31
	s_delay_alu instid0(VALU_DEP_1)
	v_cmpx_ge_i32_e64 s28, v0
	s_cbranch_execz .LBB75_4
; %bb.2:
	v_dual_lshlrev_b32 v1, 3, v17 :: v_dual_lshlrev_b32 v2, 2, v16
	s_mov_b32 s3, 0
	s_delay_alu instid0(VALU_DEP_1)
	v_add3_u32 v1, v1, v2, 0xca00
.LBB75_3:                               ; =>This Inner Loop Header: Depth=1
	global_load_b32 v2, v0, s[14:15] scale_offset
	s_wait_xcnt 0x0
	v_add_nc_u32_e32 v0, 64, v0
	s_delay_alu instid0(VALU_DEP_1)
	v_cmp_lt_i32_e32 vcc_lo, s28, v0
	s_or_b32 s3, vcc_lo, s3
	s_wait_loadcnt 0x0
	v_subrev_nc_u32_e32 v2, s17, v2
	ds_store_b32 v1, v2
	v_add_nc_u32_e32 v1, 0x100, v1
	s_and_not1_b32 exec_lo, exec_lo, s3
	s_cbranch_execnz .LBB75_3
.LBB75_4:
	s_or_b32 exec_lo, exec_lo, s2
	v_mul_u32_u24_e32 v18, 0x210, v17
	v_lshlrev_b32_e32 v19, 4, v16
	s_mov_b32 s2, exec_lo
	v_cmpx_gt_u32_e32 32, v16
	s_cbranch_execz .LBB75_7
; %bb.5:
	v_dual_mov_b32 v0, 0 :: v_dual_add_nc_u32 v4, -2, v16
	v_add3_u32 v5, v18, v19, 0x8400
	s_mov_b32 s3, 0
	s_delay_alu instid0(VALU_DEP_2)
	v_dual_mov_b32 v1, v0 :: v_dual_mov_b32 v2, v0
	v_mov_b32_e32 v3, v0
.LBB75_6:                               ; =>This Inner Loop Header: Depth=1
	v_add_nc_u32_e32 v4, 2, v4
	ds_store_b128 v5, v[0:3]
	v_add_nc_u32_e32 v5, 32, v5
	v_cmp_lt_u32_e32 vcc_lo, 29, v4
	s_or_b32 s3, vcc_lo, s3
	s_delay_alu instid0(SALU_CYCLE_1)
	s_and_not1_b32 exec_lo, exec_lo, s3
	s_cbranch_execnz .LBB75_6
.LBB75_7:
	s_or_b32 exec_lo, exec_lo, s2
	s_clause 0x1
	s_load_b32 s29, s[0:1], 0x8
	s_load_b32 s30, s[0:1], 0x0
	s_cmp_ge_i32 s31, s28
	s_wait_dscnt 0x0
	s_wait_kmcnt 0x0
	v_cmp_gt_i32_e64 s0, s29, v16
	s_cbranch_scc1 .LBB75_79
; %bb.8:
	v_mad_u32 v0, s29, s31, v17
	v_mul_lo_u32 v21, s29, v17
	v_mul_lo_u32 v23, v16, s29
	v_or_b32_e32 v1, v16, v17
	v_mad_u32_u24 v22, 0x210, v17, v19
	s_cmp_eq_u32 s30, 0
	s_movk_i32 s3, 0x4200
	s_cselect_b32 s33, -1, 0
	s_cmp_lg_u32 s30, 0
	v_cmp_gt_i32_e64 s1, s29, v17
	v_mad_u32_u24 v20, 0x210, v17, s3
	v_mul_lo_u32 v26, s29, v0
	v_add_nc_u32_e32 v24, 0x8400, v22
	v_mad_u32_u24 v25, 0x210, v16, s3
	v_dual_mov_b32 v0, 0 :: v_dual_add_nc_u32 v27, 0x4200, v22
	v_cmp_ne_u32_e64 s2, 0, v1
	s_cselect_b32 s34, -1, 0
	s_cmp_gt_i32 s29, 0
	s_mul_i32 s36, s29, s29
	s_cselect_b32 s35, -1, 0
	s_lshl_b32 s37, s29, 1
	s_mov_b32 s20, s31
	s_branch .LBB75_10
.LBB75_9:                               ;   in Loop: Header=BB75_10 Depth=1
	s_or_b32 exec_lo, exec_lo, s3
	s_add_co_i32 s20, s20, 1
	v_add_nc_u32_e32 v26, s36, v26
	s_cmp_ge_i32 s20, s28
	global_wb scope:SCOPE_DEV
	s_wait_storecnt 0x0
	global_inv scope:SCOPE_DEV
	s_cselect_b32 s3, -1, 0
	s_delay_alu instid0(SALU_CYCLE_1)
	s_and_b32 vcc_lo, exec_lo, s3
	s_cbranch_vccnz .LBB75_79
.LBB75_10:                              ; =>This Loop Header: Depth=1
                                        ;     Child Loop BB75_14 Depth 2
                                        ;     Child Loop BB75_26 Depth 2
	;; [unrolled: 1-line block ×4, first 2 shown]
                                        ;       Child Loop BB75_43 Depth 3
                                        ;         Child Loop BB75_48 Depth 4
                                        ;     Child Loop BB75_57 Depth 2
                                        ;       Child Loop BB75_64 Depth 3
                                        ;       Child Loop BB75_68 Depth 3
                                        ;     Child Loop BB75_73 Depth 2
	s_ashr_i32 s21, s20, 31
	s_delay_alu instid0(SALU_CYCLE_1) | instskip(NEXT) | instid1(SALU_CYCLE_1)
	s_lshl_b64 s[22:23], s[20:21], 2
	s_add_nc_u64 s[22:23], s[14:15], s[22:23]
	s_load_b32 s38, s[22:23], 0x0
	s_wait_kmcnt 0x0
	s_sub_co_i32 s24, s38, s17
	s_delay_alu instid0(SALU_CYCLE_1) | instskip(SKIP_2) | instid1(SALU_CYCLE_1)
	s_ashr_i32 s25, s24, 31
	s_wait_xcnt 0x0
	s_lshl_b64 s[22:23], s[24:25], 2
	s_add_nc_u64 s[26:27], s[4:5], s[22:23]
	s_load_b32 s3, s[26:27], 0x0
	s_wait_kmcnt 0x0
	s_cmp_eq_u32 s3, -1
	s_cbranch_scc1 .LBB75_78
; %bb.11:                               ;   in Loop: Header=BB75_10 Depth=1
	s_wait_xcnt 0x0
	s_add_nc_u64 s[26:27], s[12:13], s[22:23]
	s_mul_i32 s21, s20, s29
	s_load_b32 s25, s[26:27], 0x0
	s_wait_xcnt 0x0
	s_and_saveexec_b32 s26, s0
	s_cbranch_execz .LBB75_24
; %bb.12:                               ;   in Loop: Header=BB75_10 Depth=1
	v_dual_mov_b32 v8, v22 :: v_dual_mov_b32 v9, v16
	s_mov_b32 s27, 0
	s_branch .LBB75_14
.LBB75_13:                              ;   in Loop: Header=BB75_14 Depth=2
	s_wait_xcnt 0x0
	s_or_b32 exec_lo, exec_lo, s40
	v_dual_mov_b32 v1, v0 :: v_dual_add_nc_u32 v9, 2, v9
	v_dual_mov_b32 v2, v0 :: v_dual_mov_b32 v3, v0
	s_wait_loadcnt 0x0
	ds_store_b128 v8, v[4:7] offset:16896
	ds_store_b128 v8, v[0:3]
	v_cmp_le_i32_e32 vcc_lo, s29, v9
	v_add_nc_u32_e32 v8, 32, v8
	s_or_b32 s27, vcc_lo, s27
	s_delay_alu instid0(SALU_CYCLE_1)
	s_and_not1_b32 exec_lo, exec_lo, s27
	s_cbranch_execz .LBB75_24
.LBB75_14:                              ;   Parent Loop BB75_10 Depth=1
                                        ; =>  This Inner Loop Header: Depth=2
	s_mov_b32 s40, -1
	s_and_b32 vcc_lo, exec_lo, s34
	s_mov_b32 s39, 0
                                        ; implicit-def: $vgpr1
	s_cbranch_vccz .LBB75_19
; %bb.15:                               ;   in Loop: Header=BB75_14 Depth=2
	s_mov_b32 s40, 0
                                        ; implicit-def: $vgpr1
	s_and_saveexec_b32 s41, s1
	s_delay_alu instid0(SALU_CYCLE_1)
	s_xor_b32 s41, exec_lo, s41
; %bb.16:                               ;   in Loop: Header=BB75_14 Depth=2
	v_add_nc_u32_e32 v1, s21, v9
	s_mov_b32 s39, exec_lo
	s_delay_alu instid0(VALU_DEP_1)
	v_mad_u32 v1, v1, s29, v17
; %bb.17:                               ;   in Loop: Header=BB75_14 Depth=2
	s_or_b32 exec_lo, exec_lo, s41
	s_delay_alu instid0(SALU_CYCLE_1)
	s_and_b32 vcc_lo, exec_lo, s40
	s_cbranch_vccnz .LBB75_20
.LBB75_18:                              ;   in Loop: Header=BB75_14 Depth=2
	v_mov_b64_e32 v[4:5], 0
	v_mov_b64_e32 v[6:7], 0
	s_and_saveexec_b32 s40, s39
	s_cbranch_execz .LBB75_13
	s_branch .LBB75_23
.LBB75_19:                              ;   in Loop: Header=BB75_14 Depth=2
	s_and_b32 vcc_lo, exec_lo, s40
	s_cbranch_vccz .LBB75_18
.LBB75_20:                              ;   in Loop: Header=BB75_14 Depth=2
                                        ; implicit-def: $vgpr1
	s_and_saveexec_b32 s40, s1
; %bb.21:                               ;   in Loop: Header=BB75_14 Depth=2
	v_add_nc_u32_e32 v1, v26, v9
	s_or_b32 s39, s39, exec_lo
; %bb.22:                               ;   in Loop: Header=BB75_14 Depth=2
	s_or_b32 exec_lo, exec_lo, s40
	v_mov_b64_e32 v[4:5], 0
	v_mov_b64_e32 v[6:7], 0
	s_and_saveexec_b32 s40, s39
	s_cbranch_execz .LBB75_13
.LBB75_23:                              ;   in Loop: Header=BB75_14 Depth=2
	global_load_b128 v[4:7], v1, s[18:19] scale_offset
	s_branch .LBB75_13
.LBB75_24:                              ;   in Loop: Header=BB75_10 Depth=1
	s_or_b32 exec_lo, exec_lo, s26
	ds_load_b32 v1, v0 offset:51712
	s_wait_kmcnt 0x0
	s_sub_co_i32 s26, s25, s17
	s_mov_b32 s27, 0
	s_cmp_le_i32 s26, s3
	s_cselect_b32 s25, -1, 0
	s_wait_dscnt 0x0
	v_cmp_ge_i32_e32 vcc_lo, s24, v1
	s_and_b32 s25, s25, vcc_lo
	s_delay_alu instid0(SALU_CYCLE_1)
	s_and_not1_b32 vcc_lo, exec_lo, s25
	s_cbranch_vccnz .LBB75_36
; %bb.25:                               ;   in Loop: Header=BB75_10 Depth=1
	s_mov_b32 s25, 0
	s_mov_b32 s39, 0
.LBB75_26:                              ;   Parent Loop BB75_10 Depth=1
                                        ; =>  This Inner Loop Header: Depth=2
	s_ashr_i32 s27, s26, 31
	s_lshl_b32 s42, s39, 2
	s_lshl_b64 s[40:41], s[26:27], 2
	v_mov_b32_e32 v1, s42
	s_add_nc_u64 s[40:41], s[14:15], s[40:41]
	s_mov_b32 s43, -1
	s_load_b32 s27, s[40:41], 0x0
                                        ; implicit-def: $sgpr42
                                        ; implicit-def: $sgpr41
	ds_load_b32 v1, v1 offset:51712
	s_wait_kmcnt 0x0
	s_sub_co_i32 s44, s27, s17
                                        ; implicit-def: $sgpr27
	s_wait_dscnt 0x0
	s_wait_xcnt 0x0
	v_readfirstlane_b32 s40, v1
	v_cmp_ge_i32_e32 vcc_lo, s44, v1
	s_cbranch_vccz .LBB75_32
; %bb.27:                               ;   in Loop: Header=BB75_26 Depth=2
	s_cmp_le_i32 s44, s40
                                        ; implicit-def: $sgpr27
                                        ; implicit-def: $sgpr42
                                        ; implicit-def: $sgpr41
	s_cbranch_scc0 .LBB75_29
; %bb.28:                               ;   in Loop: Header=BB75_26 Depth=2
	s_add_co_i32 s27, s39, s31
	s_lshl_b32 s41, s25, 2
	s_mul_i32 s27, s27, s36
	s_delay_alu instid0(SALU_CYCLE_1)
	v_dual_mov_b32 v1, s41 :: v_dual_mov_b32 v2, s27
	s_mul_i32 s41, s26, s36
	s_add_co_i32 s42, s26, 1
	v_mov_b32_e32 v3, s41
	s_add_co_i32 s41, s39, 1
	s_add_co_i32 s27, s25, 1
	s_mov_b32 s43, 0
	ds_store_2addr_stride64_b32 v1, v3, v2 offset0:198 offset1:200
.LBB75_29:                              ;   in Loop: Header=BB75_26 Depth=2
	s_and_not1_b32 vcc_lo, exec_lo, s43
	s_cbranch_vccnz .LBB75_31
; %bb.30:                               ;   in Loop: Header=BB75_26 Depth=2
	s_add_co_i32 s41, s39, 1
	s_mov_b32 s27, s25
	s_mov_b32 s42, s26
.LBB75_31:                              ;   in Loop: Header=BB75_26 Depth=2
	s_mov_b32 s43, 0
.LBB75_32:                              ;   in Loop: Header=BB75_26 Depth=2
	s_delay_alu instid0(SALU_CYCLE_1)
	s_and_not1_b32 vcc_lo, exec_lo, s43
	s_cbranch_vccnz .LBB75_34
; %bb.33:                               ;   in Loop: Header=BB75_26 Depth=2
	s_add_co_i32 s42, s26, 1
	s_mov_b32 s41, s39
	s_mov_b32 s27, s25
.LBB75_34:                              ;   in Loop: Header=BB75_26 Depth=2
	s_cmp_le_i32 s42, s3
	s_cselect_b32 s25, -1, 0
	s_cmp_le_i32 s40, s24
	s_cselect_b32 s26, -1, 0
	s_delay_alu instid0(SALU_CYCLE_1) | instskip(NEXT) | instid1(SALU_CYCLE_1)
	s_and_b32 s25, s25, s26
	s_and_b32 vcc_lo, exec_lo, s25
	s_cbranch_vccz .LBB75_36
; %bb.35:                               ;   in Loop: Header=BB75_26 Depth=2
	s_mov_b32 s25, s27
	s_mov_b32 s26, s42
	;; [unrolled: 1-line block ×3, first 2 shown]
	s_branch .LBB75_26
.LBB75_36:                              ;   in Loop: Header=BB75_10 Depth=1
	s_add_nc_u64 s[22:23], s[6:7], s[22:23]
	s_wait_dscnt 0x0
.LBB75_37:                              ;   Parent Loop BB75_10 Depth=1
                                        ; =>  This Inner Loop Header: Depth=2
	global_load_b32 v1, v0, s[22:23] scope:SCOPE_DEV
	s_wait_loadcnt 0x0
	v_cmp_eq_u32_e32 vcc_lo, 0, v1
	s_cbranch_vccnz .LBB75_37
; %bb.38:                               ;   in Loop: Header=BB75_10 Depth=1
	s_cmp_lt_i32 s27, 2
	global_inv scope:SCOPE_DEV
	s_cbranch_scc1 .LBB75_54
; %bb.39:                               ;   in Loop: Header=BB75_10 Depth=1
	s_wait_xcnt 0x0
	s_add_co_i32 s22, s27, -2
	s_mov_b32 s23, 0
	s_branch .LBB75_41
.LBB75_40:                              ;   in Loop: Header=BB75_41 Depth=2
	s_or_b32 exec_lo, exec_lo, s24
	s_add_co_i32 s24, s23, 1
	s_cmp_eq_u32 s23, s22
	s_mov_b32 s23, s24
	s_cbranch_scc1 .LBB75_54
.LBB75_41:                              ;   Parent Loop BB75_10 Depth=1
                                        ; =>  This Loop Header: Depth=2
                                        ;       Child Loop BB75_43 Depth 3
                                        ;         Child Loop BB75_48 Depth 4
	s_and_saveexec_b32 s24, s0
	s_cbranch_execz .LBB75_40
; %bb.42:                               ;   in Loop: Header=BB75_41 Depth=2
	s_lshl_b32 s25, s23, 2
	s_delay_alu instid0(SALU_CYCLE_1)
	v_dual_mov_b32 v31, v16 :: v_dual_mov_b32 v1, s25
	s_mov_b32 s25, 0
	ds_load_2addr_stride64_b32 v[2:3], v1 offset0:198 offset1:200
	s_wait_dscnt 0x0
	v_dual_add_nc_u32 v1, v3, v21 :: v_dual_add_nc_u32 v29, v16, v2
	v_dual_add_nc_u32 v28, v17, v3 :: v_dual_add_nc_u32 v30, v23, v2
.LBB75_43:                              ;   Parent Loop BB75_10 Depth=1
                                        ;     Parent Loop BB75_41 Depth=2
                                        ; =>    This Loop Header: Depth=3
                                        ;         Child Loop BB75_48 Depth 4
	v_mov_b64_e32 v[10:11], 0
	v_mov_b64_e32 v[12:13], 0
	s_delay_alu instid0(VALU_DEP_3)
	v_dual_mov_b32 v32, v29 :: v_dual_mov_b32 v33, v28
	s_mov_b32 s26, 0
	s_and_b32 vcc_lo, exec_lo, s34
	s_mov_b32 s27, -1
                                        ; implicit-def: $vgpr2_vgpr3
                                        ; implicit-def: $vgpr14_vgpr15
	s_cbranch_vccz .LBB75_48
	s_branch .LBB75_45
.LBB75_44:                              ;   in Loop: Header=BB75_48 Depth=4
	s_delay_alu instid0(VALU_DEP_2) | instskip(NEXT) | instid1(VALU_DEP_3)
	v_mov_b64_e32 v[10:11], v[2:3]
	v_mov_b64_e32 v[12:13], v[14:15]
	s_and_b32 vcc_lo, exec_lo, s34
	s_mov_b32 s27, -1
                                        ; implicit-def: $vgpr2_vgpr3
                                        ; implicit-def: $vgpr14_vgpr15
	s_cbranch_vccz .LBB75_48
.LBB75_45:                              ;   in Loop: Header=BB75_43 Depth=3
	global_load_b128 v[2:5], v32, s[18:19] scale_offset
	v_mov_b64_e32 v[6:7], 0
	v_mov_b64_e32 v[8:9], 0
	s_wait_xcnt 0x0
	s_and_saveexec_b32 s27, s1
	s_cbranch_execz .LBB75_47
; %bb.46:                               ;   in Loop: Header=BB75_43 Depth=3
	global_load_b128 v[6:9], v33, s[18:19] scale_offset
.LBB75_47:                              ;   in Loop: Header=BB75_43 Depth=3
	s_wait_xcnt 0x0
	s_or_b32 exec_lo, exec_lo, s27
	s_wait_loadcnt 0x0
	v_fma_f64 v[14:15], v[2:3], v[6:7], v[12:13]
	v_fma_f64 v[6:7], v[4:5], v[6:7], v[10:11]
	s_mov_b32 s27, 0
	s_delay_alu instid0(VALU_DEP_2) | instskip(NEXT) | instid1(VALU_DEP_2)
	v_fmac_f64_e32 v[14:15], v[4:5], v[8:9]
	v_fma_f64 v[2:3], v[2:3], -v[8:9], v[6:7]
.LBB75_48:                              ;   Parent Loop BB75_10 Depth=1
                                        ;     Parent Loop BB75_41 Depth=2
                                        ;       Parent Loop BB75_43 Depth=3
                                        ; =>      This Inner Loop Header: Depth=4
	s_and_b32 vcc_lo, exec_lo, s27
	s_cbranch_vccz .LBB75_52
; %bb.49:                               ;   in Loop: Header=BB75_48 Depth=4
	v_add_nc_u32_e32 v2, s26, v30
	v_mov_b64_e32 v[6:7], 0
	v_mov_b64_e32 v[8:9], 0
	global_load_b128 v[2:5], v2, s[18:19] scale_offset
	s_wait_xcnt 0x0
	s_and_saveexec_b32 s27, s1
	s_cbranch_execz .LBB75_51
; %bb.50:                               ;   in Loop: Header=BB75_48 Depth=4
	v_add_nc_u32_e32 v6, s26, v1
	global_load_b128 v[6:9], v6, s[18:19] scale_offset
.LBB75_51:                              ;   in Loop: Header=BB75_48 Depth=4
	s_wait_xcnt 0x0
	s_or_b32 exec_lo, exec_lo, s27
	s_wait_loadcnt 0x0
	v_fmac_f64_e32 v[12:13], v[2:3], v[6:7]
	v_fmac_f64_e32 v[10:11], v[4:5], v[6:7]
	s_delay_alu instid0(VALU_DEP_2) | instskip(NEXT) | instid1(VALU_DEP_2)
	v_fmac_f64_e32 v[12:13], v[4:5], v[8:9]
	v_fma_f64 v[2:3], v[2:3], -v[8:9], v[10:11]
	s_delay_alu instid0(VALU_DEP_2)
	v_mov_b64_e32 v[14:15], v[12:13]
.LBB75_52:                              ;   in Loop: Header=BB75_48 Depth=4
	v_dual_add_nc_u32 v33, s29, v33 :: v_dual_add_nc_u32 v32, s29, v32
	s_add_co_i32 s26, s26, 1
	s_delay_alu instid0(SALU_CYCLE_1)
	s_cmp_eq_u32 s29, s26
	s_cbranch_scc0 .LBB75_44
; %bb.53:                               ;   in Loop: Header=BB75_43 Depth=3
	v_lshl_add_u32 v8, v31, 4, v18
	v_dual_add_nc_u32 v30, s37, v30 :: v_dual_add_nc_u32 v31, 2, v31
	v_add_nc_u32_e32 v29, 2, v29
	ds_load_b128 v[4:7], v8
	v_cmp_le_i32_e32 vcc_lo, s29, v31
	s_or_b32 s25, vcc_lo, s25
	s_wait_dscnt 0x0
	v_add_f64_e32 v[4:5], v[14:15], v[4:5]
	v_add_f64_e32 v[6:7], v[2:3], v[6:7]
	ds_store_b128 v8, v[4:7]
	s_and_not1_b32 exec_lo, exec_lo, s25
	s_cbranch_execnz .LBB75_43
	s_branch .LBB75_40
.LBB75_54:                              ;   in Loop: Header=BB75_10 Depth=1
	s_and_not1_b32 vcc_lo, exec_lo, s35
	s_wait_loadcnt_dscnt 0x0
	s_cbranch_vccnz .LBB75_69
; %bb.55:                               ;   in Loop: Header=BB75_10 Depth=1
	v_mov_b32_e32 v1, v25
	s_wait_xcnt 0x0
	s_mul_i32 s22, s36, s3
	s_mov_b32 s23, 0
	s_mov_b32 s24, s22
	s_branch .LBB75_57
.LBB75_56:                              ;   in Loop: Header=BB75_57 Depth=2
	s_or_b32 exec_lo, exec_lo, s3
	v_add_nc_u32_e32 v1, 16, v1
	s_add_co_i32 s23, s23, 1
	s_add_co_i32 s24, s24, 1
	s_cmp_eq_u32 s23, s29
	s_wait_dscnt 0x0
	s_cbranch_scc1 .LBB75_69
.LBB75_57:                              ;   Parent Loop BB75_10 Depth=1
                                        ; =>  This Loop Header: Depth=2
                                        ;       Child Loop BB75_64 Depth 3
                                        ;       Child Loop BB75_68 Depth 3
	s_mul_i32 s25, s23, s29
	v_lshl_add_u32 v14, s23, 4, v20
	s_add_co_i32 s25, s25, s22
	s_delay_alu instid0(SALU_CYCLE_1) | instskip(NEXT) | instid1(SALU_CYCLE_1)
	s_add_co_i32 s3, s25, s23
	v_mov_b32_e32 v2, s3
	global_load_b128 v[6:9], v2, s[18:19] scale_offset
	s_wait_xcnt 0x0
	ds_load_b128 v[2:5], v14
	s_wait_loadcnt 0x0
	v_cmp_neq_f64_e32 vcc_lo, 0, v[6:7]
	v_cmp_neq_f64_e64 s3, 0, v[8:9]
	s_or_b32 vcc_lo, vcc_lo, s3
	v_cndmask_b32_e32 v11, 0x3ff00000, v7, vcc_lo
	v_dual_cndmask_b32 v10, 0, v6 :: v_dual_cndmask_b32 v13, 0, v9
	v_cndmask_b32_e32 v12, 0, v8, vcc_lo
	s_nor_b32 s26, vcc_lo, s2
	s_delay_alu instid0(SALU_CYCLE_1)
	s_and_saveexec_b32 s3, s26
	s_cbranch_execz .LBB75_61
; %bb.58:                               ;   in Loop: Header=BB75_57 Depth=2
	v_mbcnt_lo_u32_b32 v6, exec_lo, 0
	s_mov_b32 s26, exec_lo
	s_delay_alu instid0(VALU_DEP_1)
	v_cmpx_eq_u32_e32 0, v6
	s_cbranch_execz .LBB75_60
; %bb.59:                               ;   in Loop: Header=BB75_57 Depth=2
	v_mov_b32_e32 v6, s38
	global_atomic_min_i32 v0, v6, s[10:11] scope:SCOPE_DEV
.LBB75_60:                              ;   in Loop: Header=BB75_57 Depth=2
	s_wait_xcnt 0x0
	s_or_b32 exec_lo, exec_lo, s26
	v_mov_b64_e32 v[12:13], 0
	v_mov_b64_e32 v[10:11], 1.0
.LBB75_61:                              ;   in Loop: Header=BB75_57 Depth=2
	s_or_b32 exec_lo, exec_lo, s3
	v_lshl_add_u32 v6, s23, 4, v18
	s_cmp_eq_u32 s23, 0
	ds_load_b128 v[6:9], v6
	s_cbranch_scc1 .LBB75_66
; %bb.62:                               ;   in Loop: Header=BB75_57 Depth=2
	v_mov_b32_e32 v15, v20
	s_mov_b32 s3, 0
	s_mov_b32 s26, s23
	;; [unrolled: 1-line block ×3, first 2 shown]
	s_branch .LBB75_64
.LBB75_63:                              ;   in Loop: Header=BB75_64 Depth=3
	s_wait_xcnt 0x0
	v_mov_b32_e32 v28, s39
	ds_load_b128 v[32:35], v15
	v_add_nc_u32_e32 v15, 16, v15
	s_add_co_i32 s26, s26, -1
	s_add_co_i32 s3, s3, 1
	global_load_b128 v[28:31], v28, s[18:19] scale_offset
	s_add_co_i32 s27, s27, s29
	s_cmp_eq_u32 s26, 0
	s_wait_loadcnt_dscnt 0x0
	v_fmac_f64_e32 v[6:7], v[28:29], v[32:33]
	v_fmac_f64_e32 v[8:9], v[30:31], v[32:33]
	s_delay_alu instid0(VALU_DEP_2) | instskip(NEXT) | instid1(VALU_DEP_2)
	v_fmac_f64_e32 v[6:7], v[30:31], v[34:35]
	v_fma_f64 v[8:9], v[28:29], -v[34:35], v[8:9]
	s_cbranch_scc1 .LBB75_66
.LBB75_64:                              ;   Parent Loop BB75_10 Depth=1
                                        ;     Parent Loop BB75_57 Depth=2
                                        ; =>    This Inner Loop Header: Depth=3
	s_and_not1_b32 vcc_lo, exec_lo, s33
	s_mov_b32 s39, s27
	s_cbranch_vccnz .LBB75_63
; %bb.65:                               ;   in Loop: Header=BB75_64 Depth=3
	s_add_co_i32 s39, s3, s25
	s_branch .LBB75_63
.LBB75_66:                              ;   in Loop: Header=BB75_57 Depth=2
	s_wait_xcnt 0x0
	v_mul_f64_e32 v[28:29], v[12:13], v[12:13]
	s_wait_dscnt 0x0
	s_delay_alu instid0(VALU_DEP_2) | instskip(NEXT) | instid1(VALU_DEP_4)
	v_add_f64_e64 v[4:5], v[4:5], -v[8:9]
	v_add_f64_e64 v[2:3], v[2:3], -v[6:7]
	s_delay_alu instid0(VALU_DEP_3) | instskip(NEXT) | instid1(VALU_DEP_3)
	v_fmac_f64_e32 v[28:29], v[10:11], v[10:11]
	v_mul_f64_e32 v[6:7], v[12:13], v[4:5]
	s_delay_alu instid0(VALU_DEP_3) | instskip(NEXT) | instid1(VALU_DEP_3)
	v_mul_f64_e64 v[12:13], v[12:13], -v[2:3]
	v_div_scale_f64 v[30:31], null, v[28:29], v[28:29], 1.0
	v_div_scale_f64 v[36:37], vcc_lo, 1.0, v[28:29], 1.0
	s_delay_alu instid0(VALU_DEP_4) | instskip(NEXT) | instid1(VALU_DEP_4)
	v_fmac_f64_e32 v[6:7], v[2:3], v[10:11]
	v_fmac_f64_e32 v[12:13], v[4:5], v[10:11]
	s_delay_alu instid0(VALU_DEP_4) | instskip(SKIP_1) | instid1(TRANS32_DEP_1)
	v_rcp_f64_e32 v[32:33], v[30:31]
	v_nop
	v_fma_f64 v[34:35], -v[30:31], v[32:33], 1.0
	s_delay_alu instid0(VALU_DEP_1) | instskip(NEXT) | instid1(VALU_DEP_1)
	v_fmac_f64_e32 v[32:33], v[32:33], v[34:35]
	v_fma_f64 v[34:35], -v[30:31], v[32:33], 1.0
	s_delay_alu instid0(VALU_DEP_1) | instskip(NEXT) | instid1(VALU_DEP_1)
	v_fmac_f64_e32 v[32:33], v[32:33], v[34:35]
	v_mul_f64_e32 v[34:35], v[36:37], v[32:33]
	s_delay_alu instid0(VALU_DEP_1) | instskip(NEXT) | instid1(VALU_DEP_1)
	v_fma_f64 v[8:9], -v[30:31], v[34:35], v[36:37]
	v_div_fmas_f64 v[8:9], v[8:9], v[32:33], v[34:35]
	s_delay_alu instid0(VALU_DEP_1) | instskip(NEXT) | instid1(VALU_DEP_1)
	v_div_fixup_f64 v[8:9], v[8:9], v[28:29], 1.0
	v_mul_f64_e32 v[2:3], v[8:9], v[6:7]
	v_mul_f64_e32 v[4:5], v[8:9], v[12:13]
	ds_store_b128 v14, v[2:5]
	s_wait_storecnt_dscnt 0x0
	s_and_saveexec_b32 s3, s0
	s_cbranch_execz .LBB75_56
; %bb.67:                               ;   in Loop: Header=BB75_57 Depth=2
	v_dual_mov_b32 v6, v1 :: v_dual_mov_b32 v7, v24
	v_mov_b32_e32 v8, v16
	s_mov_b32 s25, 0
.LBB75_68:                              ;   Parent Loop BB75_10 Depth=1
                                        ;     Parent Loop BB75_57 Depth=2
                                        ; =>    This Inner Loop Header: Depth=3
	ds_load_b128 v[10:13], v6
	ds_load_b128 v[28:31], v7
	v_add_nc_u32_e32 v8, 2, v8
	v_add_nc_u32_e32 v6, 0x420, v6
	s_delay_alu instid0(VALU_DEP_2) | instskip(SKIP_4) | instid1(VALU_DEP_2)
	v_cmp_le_i32_e32 vcc_lo, s29, v8
	s_or_b32 s25, vcc_lo, s25
	s_wait_dscnt 0x0
	v_fmac_f64_e32 v[28:29], v[2:3], v[10:11]
	v_fmac_f64_e32 v[30:31], v[4:5], v[10:11]
	;; [unrolled: 1-line block ×3, first 2 shown]
	s_delay_alu instid0(VALU_DEP_2)
	v_fma_f64 v[30:31], v[2:3], -v[12:13], v[30:31]
	ds_store_b128 v7, v[28:31]
	v_add_nc_u32_e32 v7, 32, v7
	s_and_not1_b32 exec_lo, exec_lo, s25
	s_cbranch_execnz .LBB75_68
	s_branch .LBB75_56
.LBB75_69:                              ;   in Loop: Header=BB75_10 Depth=1
	s_wait_xcnt 0x0
	s_and_saveexec_b32 s3, s0
	s_cbranch_execz .LBB75_9
; %bb.70:                               ;   in Loop: Header=BB75_10 Depth=1
	v_dual_mov_b32 v1, v27 :: v_dual_mov_b32 v2, v16
	s_mov_b32 s22, 0
	s_branch .LBB75_73
.LBB75_71:                              ;   in Loop: Header=BB75_73 Depth=2
	ds_load_2addr_b64 v[4:7], v1 offset1:1
	s_wait_dscnt 0x0
	global_store_b128 v3, v[4:7], s[18:19] scale_offset
.LBB75_72:                              ;   in Loop: Header=BB75_73 Depth=2
	s_wait_xcnt 0x0
	s_or_b32 exec_lo, exec_lo, s23
	v_dual_add_nc_u32 v2, 2, v2 :: v_dual_add_nc_u32 v1, 32, v1
	s_delay_alu instid0(VALU_DEP_1) | instskip(SKIP_1) | instid1(SALU_CYCLE_1)
	v_cmp_le_i32_e32 vcc_lo, s29, v2
	s_or_b32 s22, vcc_lo, s22
	s_and_not1_b32 exec_lo, exec_lo, s22
	s_cbranch_execz .LBB75_9
.LBB75_73:                              ;   Parent Loop BB75_10 Depth=1
                                        ; =>  This Inner Loop Header: Depth=2
	s_and_saveexec_b32 s23, s1
	s_cbranch_execz .LBB75_72
; %bb.74:                               ;   in Loop: Header=BB75_73 Depth=2
	s_and_b32 vcc_lo, exec_lo, s34
	s_mov_b32 s24, -1
                                        ; implicit-def: $vgpr3
	s_cbranch_vccz .LBB75_76
; %bb.75:                               ;   in Loop: Header=BB75_73 Depth=2
	v_add_nc_u32_e32 v3, s21, v2
	s_mov_b32 s24, 0
	s_delay_alu instid0(VALU_DEP_1)
	v_mad_u32 v3, v3, s29, v17
.LBB75_76:                              ;   in Loop: Header=BB75_73 Depth=2
	s_and_not1_b32 vcc_lo, exec_lo, s24
	s_cbranch_vccnz .LBB75_71
; %bb.77:                               ;   in Loop: Header=BB75_73 Depth=2
	v_add_nc_u32_e32 v3, v26, v2
	s_branch .LBB75_71
.LBB75_78:                              ;   in Loop: Header=BB75_10 Depth=1
                                        ; implicit-def: $sgpr20
                                        ; implicit-def: $vgpr26
	s_cbranch_execz .LBB75_10
.LBB75_79:
	v_cmp_gt_i32_e64 s0, s29, v16
	s_and_saveexec_b32 s2, s0
	s_cbranch_execz .LBB75_92
; %bb.80:
	s_mul_i32 s3, s28, s29
	v_cmp_gt_i32_e64 s1, s29, v17
	v_dual_add_nc_u32 v0, s3, v17 :: v_dual_mov_b32 v6, v16
	v_add3_u32 v5, v18, v19, 0x4200
	s_cmp_lg_u32 s30, 0
	s_mov_b32 s4, 0
	s_delay_alu instid0(VALU_DEP_2)
	v_mul_lo_u32 v4, v0, s29
	s_cselect_b32 s5, -1, 0
	s_branch .LBB75_82
.LBB75_81:                              ;   in Loop: Header=BB75_82 Depth=1
	s_wait_xcnt 0x0
	s_or_b32 exec_lo, exec_lo, s13
	v_add_nc_u32_e32 v6, 2, v6
	s_wait_loadcnt 0x0
	ds_store_b128 v5, v[0:3]
	v_add_nc_u32_e32 v5, 32, v5
	v_cmp_le_i32_e32 vcc_lo, s29, v6
	s_or_b32 s4, vcc_lo, s4
	s_delay_alu instid0(SALU_CYCLE_1)
	s_and_not1_b32 exec_lo, exec_lo, s4
	s_cbranch_execz .LBB75_92
.LBB75_82:                              ; =>This Inner Loop Header: Depth=1
	s_and_b32 vcc_lo, exec_lo, s5
	s_cbranch_vccz .LBB75_89
; %bb.83:                               ;   in Loop: Header=BB75_82 Depth=1
	s_mov_b32 s13, 0
	s_mov_b32 s12, 0
                                        ; implicit-def: $vgpr7
	s_and_saveexec_b32 s14, s1
	s_delay_alu instid0(SALU_CYCLE_1)
	s_xor_b32 s14, exec_lo, s14
; %bb.84:                               ;   in Loop: Header=BB75_82 Depth=1
	v_add_nc_u32_e32 v0, s3, v6
	s_mov_b32 s12, exec_lo
	s_delay_alu instid0(VALU_DEP_1)
	v_mad_u32 v7, v0, s29, v17
; %bb.85:                               ;   in Loop: Header=BB75_82 Depth=1
	s_or_b32 exec_lo, exec_lo, s14
	s_delay_alu instid0(SALU_CYCLE_1)
	s_and_b32 vcc_lo, exec_lo, s13
	s_cbranch_vccz .LBB75_90
.LBB75_86:                              ;   in Loop: Header=BB75_82 Depth=1
                                        ; implicit-def: $vgpr7
	s_and_saveexec_b32 s13, s1
; %bb.87:                               ;   in Loop: Header=BB75_82 Depth=1
	s_delay_alu instid0(VALU_DEP_1)
	v_add_nc_u32_e32 v7, v4, v6
	s_or_b32 s12, s12, exec_lo
; %bb.88:                               ;   in Loop: Header=BB75_82 Depth=1
	s_or_b32 exec_lo, exec_lo, s13
	v_mov_b64_e32 v[0:1], 0
	v_mov_b64_e32 v[2:3], 0
	s_and_saveexec_b32 s13, s12
	s_cbranch_execz .LBB75_81
	s_branch .LBB75_91
.LBB75_89:                              ;   in Loop: Header=BB75_82 Depth=1
	s_mov_b32 s12, 0
                                        ; implicit-def: $vgpr7
	s_cbranch_execnz .LBB75_86
.LBB75_90:                              ;   in Loop: Header=BB75_82 Depth=1
	v_mov_b64_e32 v[0:1], 0
	v_mov_b64_e32 v[2:3], 0
	s_and_saveexec_b32 s13, s12
	s_cbranch_execz .LBB75_81
.LBB75_91:                              ;   in Loop: Header=BB75_82 Depth=1
	global_load_b128 v[0:3], v7, s[18:19] scale_offset
	s_branch .LBB75_81
.LBB75_92:
	s_or_b32 exec_lo, exec_lo, s2
	s_cmp_lt_i32 s29, 1
	s_wait_loadcnt_dscnt 0x0
	s_cbranch_scc1 .LBB75_111
; %bb.93:
	s_movk_i32 s2, 0x210
	s_mov_b32 s1, 0x8400
	v_dual_lshlrev_b32 v1, 4, v17 :: v_dual_bitop2_b32 v0, v16, v17 bitop3:0x54
	v_mad_u32_u24 v10, v17, s2, 0x4200
	v_mad_u32_u24 v11, 0x210, v17, s1
	v_add3_u32 v14, v18, v19, 0x8400
	s_delay_alu instid0(VALU_DEP_4) | instskip(SKIP_1) | instid1(VALU_DEP_4)
	v_cmp_ne_u32_e64 s1, 0, v0
	v_mad_u32_u24 v15, v16, s2, 0x4200
	v_dual_add_nc_u32 v12, v10, v1 :: v_dual_add_nc_u32 v13, v11, v1
	v_mov_b32_e32 v2, 0
	s_mov_b32 s3, 0
	s_add_co_i32 s4, s16, s17
	s_branch .LBB75_95
.LBB75_94:                              ;   in Loop: Header=BB75_95 Depth=1
	s_or_b32 exec_lo, exec_lo, s2
	v_add_nc_u32_e32 v15, 16, v15
	s_add_co_i32 s3, s3, 1
	s_wait_storecnt_dscnt 0x0
	s_cmp_eq_u32 s3, s29
	s_cbranch_scc1 .LBB75_111
.LBB75_95:                              ; =>This Loop Header: Depth=1
                                        ;     Child Loop BB75_110 Depth 2
	s_mov_b32 s2, exec_lo
	v_cmpx_eq_u32_e64 s3, v17
	s_cbranch_execz .LBB75_103
; %bb.96:                               ;   in Loop: Header=BB75_95 Depth=1
	ds_load_b128 v[4:7], v13
	ds_load_b128 v[20:23], v12
	s_mov_b32 s5, exec_lo
	s_wait_dscnt 0x0
	v_add_f64_e64 v[0:1], v[20:21], -v[4:5]
	v_add_f64_e64 v[8:9], v[22:23], -v[6:7]
                                        ; implicit-def: $vgpr6_vgpr7
	s_delay_alu instid0(VALU_DEP_2) | instskip(SKIP_1) | instid1(VALU_DEP_3)
	v_cmp_gt_f64_e32 vcc_lo, 0, v[0:1]
	v_xor_b32_e32 v3, 0x80000000, v1
	v_xor_b32_e32 v4, 0x80000000, v9
	s_delay_alu instid0(VALU_DEP_2) | instskip(SKIP_1) | instid1(VALU_DEP_3)
	v_cndmask_b32_e32 v1, v1, v3, vcc_lo
	v_cmp_gt_f64_e32 vcc_lo, 0, v[8:9]
	v_dual_cndmask_b32 v5, v9, v4 :: v_dual_mov_b32 v4, v8
	s_delay_alu instid0(VALU_DEP_1)
	v_cmpx_ngt_f64_e32 v[0:1], v[4:5]
	s_xor_b32 s5, exec_lo, s5
	s_cbranch_execz .LBB75_100
; %bb.97:                               ;   in Loop: Header=BB75_95 Depth=1
	v_mov_b64_e32 v[6:7], 0
	s_mov_b32 s12, exec_lo
	v_cmpx_neq_f64_e32 0, v[8:9]
	s_cbranch_execz .LBB75_99
; %bb.98:                               ;   in Loop: Header=BB75_95 Depth=1
	v_div_scale_f64 v[6:7], null, v[4:5], v[4:5], v[0:1]
	v_div_scale_f64 v[22:23], vcc_lo, v[0:1], v[4:5], v[0:1]
	s_delay_alu instid0(VALU_DEP_2) | instskip(SKIP_1) | instid1(TRANS32_DEP_1)
	v_rcp_f64_e32 v[8:9], v[6:7]
	v_nop
	v_fma_f64 v[20:21], -v[6:7], v[8:9], 1.0
	s_delay_alu instid0(VALU_DEP_1) | instskip(NEXT) | instid1(VALU_DEP_1)
	v_fmac_f64_e32 v[8:9], v[8:9], v[20:21]
	v_fma_f64 v[20:21], -v[6:7], v[8:9], 1.0
	s_delay_alu instid0(VALU_DEP_1) | instskip(NEXT) | instid1(VALU_DEP_1)
	v_fmac_f64_e32 v[8:9], v[8:9], v[20:21]
	v_mul_f64_e32 v[20:21], v[22:23], v[8:9]
	s_delay_alu instid0(VALU_DEP_1) | instskip(NEXT) | instid1(VALU_DEP_1)
	v_fma_f64 v[6:7], -v[6:7], v[20:21], v[22:23]
	v_div_fmas_f64 v[6:7], v[6:7], v[8:9], v[20:21]
	s_delay_alu instid0(VALU_DEP_1) | instskip(NEXT) | instid1(VALU_DEP_1)
	v_div_fixup_f64 v[0:1], v[6:7], v[4:5], v[0:1]
	v_fma_f64 v[0:1], v[0:1], v[0:1], 1.0
	s_delay_alu instid0(VALU_DEP_1) | instskip(SKIP_1) | instid1(VALU_DEP_1)
	v_cmp_gt_f64_e32 vcc_lo, 0x10000000, v[0:1]
	v_cndmask_b32_e64 v3, 0, 0x100, vcc_lo
	v_ldexp_f64 v[0:1], v[0:1], v3
	v_cndmask_b32_e64 v3, 0, 0xffffff80, vcc_lo
	s_delay_alu instid0(VALU_DEP_2) | instskip(SKIP_1) | instid1(TRANS32_DEP_1)
	v_rsq_f64_e32 v[6:7], v[0:1]
	v_cmp_class_f64_e64 vcc_lo, v[0:1], 0x260
	v_mul_f64_e32 v[8:9], v[0:1], v[6:7]
	v_mul_f64_e32 v[6:7], 0.5, v[6:7]
	s_delay_alu instid0(VALU_DEP_1) | instskip(NEXT) | instid1(VALU_DEP_1)
	v_fma_f64 v[20:21], -v[6:7], v[8:9], 0.5
	v_fmac_f64_e32 v[8:9], v[8:9], v[20:21]
	v_fmac_f64_e32 v[6:7], v[6:7], v[20:21]
	s_delay_alu instid0(VALU_DEP_2) | instskip(NEXT) | instid1(VALU_DEP_1)
	v_fma_f64 v[20:21], -v[8:9], v[8:9], v[0:1]
	v_fmac_f64_e32 v[8:9], v[20:21], v[6:7]
	s_delay_alu instid0(VALU_DEP_1) | instskip(NEXT) | instid1(VALU_DEP_1)
	v_fma_f64 v[20:21], -v[8:9], v[8:9], v[0:1]
	v_fmac_f64_e32 v[8:9], v[20:21], v[6:7]
	s_delay_alu instid0(VALU_DEP_1) | instskip(NEXT) | instid1(VALU_DEP_1)
	v_ldexp_f64 v[6:7], v[8:9], v3
	v_dual_cndmask_b32 v1, v7, v1 :: v_dual_cndmask_b32 v0, v6, v0
	s_delay_alu instid0(VALU_DEP_1)
	v_mul_f64_e32 v[6:7], v[4:5], v[0:1]
.LBB75_99:                              ;   in Loop: Header=BB75_95 Depth=1
	s_or_b32 exec_lo, exec_lo, s12
                                        ; implicit-def: $vgpr0_vgpr1
                                        ; implicit-def: $vgpr4_vgpr5
.LBB75_100:                             ;   in Loop: Header=BB75_95 Depth=1
	s_and_not1_saveexec_b32 s5, s5
	s_cbranch_execz .LBB75_102
; %bb.101:                              ;   in Loop: Header=BB75_95 Depth=1
	v_div_scale_f64 v[6:7], null, v[0:1], v[0:1], v[4:5]
	v_div_scale_f64 v[22:23], vcc_lo, v[4:5], v[0:1], v[4:5]
	s_delay_alu instid0(VALU_DEP_2) | instskip(SKIP_1) | instid1(TRANS32_DEP_1)
	v_rcp_f64_e32 v[8:9], v[6:7]
	v_nop
	v_fma_f64 v[20:21], -v[6:7], v[8:9], 1.0
	s_delay_alu instid0(VALU_DEP_1) | instskip(NEXT) | instid1(VALU_DEP_1)
	v_fmac_f64_e32 v[8:9], v[8:9], v[20:21]
	v_fma_f64 v[20:21], -v[6:7], v[8:9], 1.0
	s_delay_alu instid0(VALU_DEP_1) | instskip(NEXT) | instid1(VALU_DEP_1)
	v_fmac_f64_e32 v[8:9], v[8:9], v[20:21]
	v_mul_f64_e32 v[20:21], v[22:23], v[8:9]
	s_delay_alu instid0(VALU_DEP_1) | instskip(NEXT) | instid1(VALU_DEP_1)
	v_fma_f64 v[6:7], -v[6:7], v[20:21], v[22:23]
	v_div_fmas_f64 v[6:7], v[6:7], v[8:9], v[20:21]
	s_delay_alu instid0(VALU_DEP_1) | instskip(NEXT) | instid1(VALU_DEP_1)
	v_div_fixup_f64 v[4:5], v[6:7], v[0:1], v[4:5]
	v_fma_f64 v[4:5], v[4:5], v[4:5], 1.0
	s_delay_alu instid0(VALU_DEP_1) | instskip(SKIP_1) | instid1(VALU_DEP_1)
	v_cmp_gt_f64_e32 vcc_lo, 0x10000000, v[4:5]
	v_cndmask_b32_e64 v3, 0, 0x100, vcc_lo
	v_ldexp_f64 v[4:5], v[4:5], v3
	v_cndmask_b32_e64 v3, 0, 0xffffff80, vcc_lo
	s_delay_alu instid0(VALU_DEP_2) | instskip(SKIP_1) | instid1(TRANS32_DEP_1)
	v_rsq_f64_e32 v[6:7], v[4:5]
	v_cmp_class_f64_e64 vcc_lo, v[4:5], 0x260
	v_mul_f64_e32 v[8:9], v[4:5], v[6:7]
	v_mul_f64_e32 v[6:7], 0.5, v[6:7]
	s_delay_alu instid0(VALU_DEP_1) | instskip(NEXT) | instid1(VALU_DEP_1)
	v_fma_f64 v[20:21], -v[6:7], v[8:9], 0.5
	v_fmac_f64_e32 v[8:9], v[8:9], v[20:21]
	v_fmac_f64_e32 v[6:7], v[6:7], v[20:21]
	s_delay_alu instid0(VALU_DEP_2) | instskip(NEXT) | instid1(VALU_DEP_1)
	v_fma_f64 v[20:21], -v[8:9], v[8:9], v[4:5]
	v_fmac_f64_e32 v[8:9], v[20:21], v[6:7]
	s_delay_alu instid0(VALU_DEP_1) | instskip(NEXT) | instid1(VALU_DEP_1)
	v_fma_f64 v[20:21], -v[8:9], v[8:9], v[4:5]
	v_fmac_f64_e32 v[8:9], v[20:21], v[6:7]
	s_delay_alu instid0(VALU_DEP_1) | instskip(NEXT) | instid1(VALU_DEP_1)
	v_ldexp_f64 v[6:7], v[8:9], v3
	v_dual_cndmask_b32 v5, v7, v5 :: v_dual_cndmask_b32 v4, v6, v4
	s_delay_alu instid0(VALU_DEP_1)
	v_mul_f64_e32 v[6:7], v[0:1], v[4:5]
.LBB75_102:                             ;   in Loop: Header=BB75_95 Depth=1
	s_or_b32 exec_lo, exec_lo, s5
	s_delay_alu instid0(VALU_DEP_1) | instskip(SKIP_2) | instid1(VALU_DEP_2)
	v_cmp_gt_f64_e32 vcc_lo, 0x10000000, v[6:7]
	v_cndmask_b32_e64 v0, 0, 0x100, vcc_lo
	v_cndmask_b32_e64 v3, 0, 0xffffff80, vcc_lo
	v_ldexp_f64 v[0:1], v[6:7], v0
	s_delay_alu instid0(VALU_DEP_1) | instskip(SKIP_1) | instid1(TRANS32_DEP_1)
	v_rsq_f64_e32 v[4:5], v[0:1]
	v_cmp_class_f64_e64 vcc_lo, v[0:1], 0x260
	v_mul_f64_e32 v[6:7], v[0:1], v[4:5]
	v_mul_f64_e32 v[4:5], 0.5, v[4:5]
	s_delay_alu instid0(VALU_DEP_1) | instskip(NEXT) | instid1(VALU_DEP_1)
	v_fma_f64 v[8:9], -v[4:5], v[6:7], 0.5
	v_fmac_f64_e32 v[6:7], v[6:7], v[8:9]
	v_fmac_f64_e32 v[4:5], v[4:5], v[8:9]
	s_delay_alu instid0(VALU_DEP_2) | instskip(NEXT) | instid1(VALU_DEP_1)
	v_fma_f64 v[8:9], -v[6:7], v[6:7], v[0:1]
	v_fmac_f64_e32 v[6:7], v[8:9], v[4:5]
	s_delay_alu instid0(VALU_DEP_1) | instskip(NEXT) | instid1(VALU_DEP_1)
	v_fma_f64 v[8:9], -v[6:7], v[6:7], v[0:1]
	v_fmac_f64_e32 v[6:7], v[8:9], v[4:5]
	s_delay_alu instid0(VALU_DEP_1) | instskip(NEXT) | instid1(VALU_DEP_1)
	v_ldexp_f64 v[4:5], v[6:7], v3
	v_dual_mov_b32 v3, v2 :: v_dual_cndmask_b32 v1, v5, v1, vcc_lo
	s_delay_alu instid0(VALU_DEP_2)
	v_cndmask_b32_e32 v0, v4, v0, vcc_lo
	ds_store_b128 v12, v[0:3]
.LBB75_103:                             ;   in Loop: Header=BB75_95 Depth=1
	s_or_b32 exec_lo, exec_lo, s2
	s_lshl_b32 s5, s3, 4
	s_mul_i32 s2, s3, 0x210
	s_wait_dscnt 0x0
	s_add_co_i32 s2, s2, s5
	s_delay_alu instid0(SALU_CYCLE_1)
	v_dual_mov_b32 v0, s2 :: v_dual_add_nc_u32 v3, s5, v10
	ds_load_b128 v[4:7], v3
	ds_load_b128 v[20:23], v0 offset:16896
	s_wait_dscnt 0x0
	v_cmp_neq_f64_e32 vcc_lo, 0, v[20:21]
	v_cmp_neq_f64_e64 s2, 0, v[22:23]
	s_or_b32 vcc_lo, vcc_lo, s2
	v_dual_cndmask_b32 v9, 0, v23 :: v_dual_cndmask_b32 v8, 0, v22
	v_cndmask_b32_e32 v1, 0x3ff00000, v21, vcc_lo
	v_cndmask_b32_e32 v0, 0, v20, vcc_lo
	s_nor_b32 s5, vcc_lo, s1
	s_delay_alu instid0(SALU_CYCLE_1)
	s_and_saveexec_b32 s2, s5
	s_cbranch_execz .LBB75_107
; %bb.104:                              ;   in Loop: Header=BB75_95 Depth=1
	v_mbcnt_lo_u32_b32 v0, exec_lo, 0
	s_mov_b32 s5, exec_lo
	s_delay_alu instid0(VALU_DEP_1)
	v_cmpx_eq_u32_e32 0, v0
	s_cbranch_execz .LBB75_106
; %bb.105:                              ;   in Loop: Header=BB75_95 Depth=1
	v_mov_b32_e32 v0, s4
	global_atomic_min_i32 v2, v0, s[10:11] scope:SCOPE_DEV
.LBB75_106:                             ;   in Loop: Header=BB75_95 Depth=1
	s_wait_xcnt 0x0
	s_or_b32 exec_lo, exec_lo, s5
	v_mov_b64_e32 v[0:1], 1.0
	v_mov_b64_e32 v[8:9], 0
.LBB75_107:                             ;   in Loop: Header=BB75_95 Depth=1
	s_or_b32 exec_lo, exec_lo, s2
	s_delay_alu instid0(SALU_CYCLE_1)
	s_mov_b32 s2, exec_lo
	v_cmpx_lt_u32_e64 s3, v17
	s_cbranch_execz .LBB75_94
; %bb.108:                              ;   in Loop: Header=BB75_95 Depth=1
	s_delay_alu instid0(VALU_DEP_2) | instskip(NEXT) | instid1(VALU_DEP_1)
	v_mul_f64_e32 v[24:25], v[8:9], v[8:9]
	v_fmac_f64_e32 v[24:25], v[0:1], v[0:1]
	s_delay_alu instid0(VALU_DEP_1) | instskip(SKIP_1) | instid1(VALU_DEP_2)
	v_div_scale_f64 v[26:27], null, v[24:25], v[24:25], 1.0
	v_div_scale_f64 v[30:31], vcc_lo, 1.0, v[24:25], 1.0
	v_rcp_f64_e32 v[28:29], v[26:27]
	v_nop
	s_delay_alu instid0(TRANS32_DEP_1) | instskip(NEXT) | instid1(VALU_DEP_1)
	v_fma_f64 v[20:21], -v[26:27], v[28:29], 1.0
	v_fmac_f64_e32 v[28:29], v[28:29], v[20:21]
	s_delay_alu instid0(VALU_DEP_1) | instskip(NEXT) | instid1(VALU_DEP_1)
	v_fma_f64 v[20:21], -v[26:27], v[28:29], 1.0
	v_fmac_f64_e32 v[28:29], v[28:29], v[20:21]
	v_lshl_add_u32 v20, s3, 4, v11
	ds_load_b128 v[20:23], v20
	s_wait_dscnt 0x0
	v_add_f64_e64 v[6:7], v[6:7], -v[22:23]
	v_add_f64_e64 v[4:5], v[4:5], -v[20:21]
	v_mul_f64_e32 v[32:33], v[30:31], v[28:29]
	s_delay_alu instid0(VALU_DEP_3) | instskip(NEXT) | instid1(VALU_DEP_3)
	v_mul_f64_e32 v[20:21], v[8:9], v[6:7]
	v_mul_f64_e64 v[8:9], v[8:9], -v[4:5]
	s_delay_alu instid0(VALU_DEP_3) | instskip(NEXT) | instid1(VALU_DEP_3)
	v_fma_f64 v[22:23], -v[26:27], v[32:33], v[30:31]
	v_fmac_f64_e32 v[20:21], v[4:5], v[0:1]
	s_delay_alu instid0(VALU_DEP_3) | instskip(NEXT) | instid1(VALU_DEP_3)
	v_fmac_f64_e32 v[8:9], v[6:7], v[0:1]
	v_div_fmas_f64 v[22:23], v[22:23], v[28:29], v[32:33]
	s_delay_alu instid0(VALU_DEP_1) | instskip(NEXT) | instid1(VALU_DEP_1)
	v_div_fixup_f64 v[22:23], v[22:23], v[24:25], 1.0
	v_mul_f64_e32 v[4:5], v[22:23], v[20:21]
	s_delay_alu instid0(VALU_DEP_4)
	v_mul_f64_e32 v[6:7], v[22:23], v[8:9]
	ds_store_b128 v3, v[4:7]
	s_wait_storecnt_dscnt 0x0
	s_and_b32 exec_lo, exec_lo, s0
	s_cbranch_execz .LBB75_94
; %bb.109:                              ;   in Loop: Header=BB75_95 Depth=1
	v_dual_mov_b32 v0, v15 :: v_dual_mov_b32 v1, v14
	v_mov_b32_e32 v3, v16
	s_mov_b32 s5, 0
.LBB75_110:                             ;   Parent Loop BB75_95 Depth=1
                                        ; =>  This Inner Loop Header: Depth=2
	ds_load_b128 v[20:23], v0
	ds_load_b128 v[24:27], v1
	v_add_nc_u32_e32 v3, 2, v3
	v_add_nc_u32_e32 v0, 0x420, v0
	s_delay_alu instid0(VALU_DEP_2) | instskip(SKIP_4) | instid1(VALU_DEP_2)
	v_cmp_le_i32_e32 vcc_lo, s29, v3
	s_or_b32 s5, vcc_lo, s5
	s_wait_dscnt 0x0
	v_fmac_f64_e32 v[24:25], v[4:5], v[20:21]
	v_fmac_f64_e32 v[26:27], v[6:7], v[20:21]
	;; [unrolled: 1-line block ×3, first 2 shown]
	s_delay_alu instid0(VALU_DEP_2)
	v_fma_f64 v[26:27], v[4:5], -v[22:23], v[26:27]
	ds_store_b128 v1, v[24:27]
	v_add_nc_u32_e32 v1, 32, v1
	s_and_not1_b32 exec_lo, exec_lo, s5
	s_cbranch_execnz .LBB75_110
	s_branch .LBB75_94
.LBB75_111:
	s_and_saveexec_b32 s1, s0
	s_cbranch_execz .LBB75_120
; %bb.112:
	s_mul_i32 s28, s28, s29
	v_cmp_gt_i32_e64 s0, s29, v17
	v_dual_add_nc_u32 v0, s28, v17 :: v_dual_mov_b32 v2, v16
	v_add3_u32 v1, v18, v19, 0x4200
	s_cmp_lg_u32 s30, 0
	s_mov_b32 s2, 0
	s_delay_alu instid0(VALU_DEP_2)
	v_mul_lo_u32 v0, v0, s29
	s_cselect_b32 s3, -1, 0
	s_branch .LBB75_116
.LBB75_113:                             ;   in Loop: Header=BB75_116 Depth=1
	s_delay_alu instid0(VALU_DEP_1)
	v_add_nc_u32_e32 v3, v0, v2
.LBB75_114:                             ;   in Loop: Header=BB75_116 Depth=1
	ds_load_2addr_b64 v[4:7], v1 offset1:1
	s_wait_dscnt 0x0
	global_store_b128 v3, v[4:7], s[18:19] scale_offset
.LBB75_115:                             ;   in Loop: Header=BB75_116 Depth=1
	s_wait_xcnt 0x0
	s_or_b32 exec_lo, exec_lo, s4
	v_dual_add_nc_u32 v2, 2, v2 :: v_dual_add_nc_u32 v1, 32, v1
	s_delay_alu instid0(VALU_DEP_1) | instskip(SKIP_1) | instid1(SALU_CYCLE_1)
	v_cmp_le_i32_e32 vcc_lo, s29, v2
	s_or_b32 s2, vcc_lo, s2
	s_and_not1_b32 exec_lo, exec_lo, s2
	s_cbranch_execz .LBB75_120
.LBB75_116:                             ; =>This Inner Loop Header: Depth=1
	s_and_saveexec_b32 s4, s0
	s_cbranch_execz .LBB75_115
; %bb.117:                              ;   in Loop: Header=BB75_116 Depth=1
	s_and_b32 vcc_lo, exec_lo, s3
	s_cbranch_vccz .LBB75_119
; %bb.118:                              ;   in Loop: Header=BB75_116 Depth=1
	v_add_nc_u32_e32 v3, s28, v2
	s_delay_alu instid0(VALU_DEP_1)
	v_mad_u32 v3, v3, s29, v17
	s_cbranch_execnz .LBB75_114
	s_branch .LBB75_113
.LBB75_119:                             ;   in Loop: Header=BB75_116 Depth=1
                                        ; implicit-def: $vgpr3
	s_branch .LBB75_113
.LBB75_120:
	s_or_b32 exec_lo, exec_lo, s1
	v_or_b32_e32 v0, v16, v17
	s_mov_b32 s0, 0
	s_mov_b32 s1, exec_lo
	s_delay_alu instid0(VALU_DEP_1)
	v_cmpx_eq_u32_e32 0, v0
	s_cbranch_execz .LBB75_122
; %bb.121:
	v_dual_mov_b32 v0, 0 :: v_dual_mov_b32 v1, 1
	s_add_nc_u64 s[2:3], s[6:7], s[8:9]
	global_wb scope:SCOPE_DEV
	s_wait_storecnt 0x0
	global_store_b32 v0, v1, s[2:3] scope:SCOPE_DEV
.LBB75_122:
	s_wait_xcnt 0x0
	s_or_b32 exec_lo, exec_lo, s1
	s_delay_alu instid0(SALU_CYCLE_1)
	s_and_b32 vcc_lo, exec_lo, s0
	s_cbranch_vccnz .LBB75_125
.LBB75_123:
	s_endpgm
.LBB75_124:
	s_cbranch_execz .LBB75_123
.LBB75_125:
	v_or_b32_e32 v0, v16, v17
	s_mov_b32 s0, exec_lo
	s_delay_alu instid0(VALU_DEP_1)
	v_cmpx_eq_u32_e32 0, v0
	s_cbranch_execz .LBB75_123
; %bb.126:
	v_mbcnt_lo_u32_b32 v0, exec_lo, 0
	s_mov_b32 s0, exec_lo
	s_delay_alu instid0(VALU_DEP_1)
	v_cmpx_eq_u32_e32 0, v0
	s_cbranch_execz .LBB75_128
; %bb.127:
	s_add_co_i32 s1, s16, s17
	s_delay_alu instid0(SALU_CYCLE_1)
	v_dual_mov_b32 v0, 0 :: v_dual_mov_b32 v1, s1
	global_atomic_min_i32 v0, v1, s[10:11] scope:SCOPE_DEV
.LBB75_128:
	s_wait_xcnt 0x0
	s_or_b32 exec_lo, exec_lo, s0
	v_dual_mov_b32 v0, 0 :: v_dual_mov_b32 v1, 1
	s_add_nc_u64 s[0:1], s[6:7], s[8:9]
	global_wb scope:SCOPE_DEV
	s_wait_storecnt 0x0
	global_store_b32 v0, v1, s[0:1] scope:SCOPE_DEV
	s_endpgm
	.section	.rodata,"a",@progbits
	.p2align	6, 0x0
	.amdhsa_kernel _ZN9rocsparseL19bsric0_17_32_kernelILi64ELi128ELi32E21rocsparse_complex_numIdEEEv20rocsparse_direction_iiPKiS5_PT2_S5_PiS5_S8_21rocsparse_index_base_
		.amdhsa_group_segment_fixed_size 52224
		.amdhsa_private_segment_fixed_size 0
		.amdhsa_kernarg_size 76
		.amdhsa_user_sgpr_count 2
		.amdhsa_user_sgpr_dispatch_ptr 0
		.amdhsa_user_sgpr_queue_ptr 0
		.amdhsa_user_sgpr_kernarg_segment_ptr 1
		.amdhsa_user_sgpr_dispatch_id 0
		.amdhsa_user_sgpr_kernarg_preload_length 0
		.amdhsa_user_sgpr_kernarg_preload_offset 0
		.amdhsa_user_sgpr_private_segment_size 0
		.amdhsa_wavefront_size32 1
		.amdhsa_uses_dynamic_stack 0
		.amdhsa_enable_private_segment 0
		.amdhsa_system_sgpr_workgroup_id_x 1
		.amdhsa_system_sgpr_workgroup_id_y 0
		.amdhsa_system_sgpr_workgroup_id_z 0
		.amdhsa_system_sgpr_workgroup_info 0
		.amdhsa_system_vgpr_workitem_id 1
		.amdhsa_next_free_vgpr 257
		.amdhsa_next_free_sgpr 45
		.amdhsa_named_barrier_count 0
		.amdhsa_reserve_vcc 1
		.amdhsa_float_round_mode_32 0
		.amdhsa_float_round_mode_16_64 0
		.amdhsa_float_denorm_mode_32 3
		.amdhsa_float_denorm_mode_16_64 3
		.amdhsa_fp16_overflow 0
		.amdhsa_memory_ordered 1
		.amdhsa_forward_progress 1
		.amdhsa_inst_pref_size 38
		.amdhsa_round_robin_scheduling 0
		.amdhsa_exception_fp_ieee_invalid_op 0
		.amdhsa_exception_fp_denorm_src 0
		.amdhsa_exception_fp_ieee_div_zero 0
		.amdhsa_exception_fp_ieee_overflow 0
		.amdhsa_exception_fp_ieee_underflow 0
		.amdhsa_exception_fp_ieee_inexact 0
		.amdhsa_exception_int_div_zero 0
	.end_amdhsa_kernel
	.section	.text._ZN9rocsparseL19bsric0_17_32_kernelILi64ELi128ELi32E21rocsparse_complex_numIdEEEv20rocsparse_direction_iiPKiS5_PT2_S5_PiS5_S8_21rocsparse_index_base_,"axG",@progbits,_ZN9rocsparseL19bsric0_17_32_kernelILi64ELi128ELi32E21rocsparse_complex_numIdEEEv20rocsparse_direction_iiPKiS5_PT2_S5_PiS5_S8_21rocsparse_index_base_,comdat
.Lfunc_end75:
	.size	_ZN9rocsparseL19bsric0_17_32_kernelILi64ELi128ELi32E21rocsparse_complex_numIdEEEv20rocsparse_direction_iiPKiS5_PT2_S5_PiS5_S8_21rocsparse_index_base_, .Lfunc_end75-_ZN9rocsparseL19bsric0_17_32_kernelILi64ELi128ELi32E21rocsparse_complex_numIdEEEv20rocsparse_direction_iiPKiS5_PT2_S5_PiS5_S8_21rocsparse_index_base_
                                        ; -- End function
	.set _ZN9rocsparseL19bsric0_17_32_kernelILi64ELi128ELi32E21rocsparse_complex_numIdEEEv20rocsparse_direction_iiPKiS5_PT2_S5_PiS5_S8_21rocsparse_index_base_.num_vgpr, 38
	.set _ZN9rocsparseL19bsric0_17_32_kernelILi64ELi128ELi32E21rocsparse_complex_numIdEEEv20rocsparse_direction_iiPKiS5_PT2_S5_PiS5_S8_21rocsparse_index_base_.num_agpr, 0
	.set _ZN9rocsparseL19bsric0_17_32_kernelILi64ELi128ELi32E21rocsparse_complex_numIdEEEv20rocsparse_direction_iiPKiS5_PT2_S5_PiS5_S8_21rocsparse_index_base_.numbered_sgpr, 45
	.set _ZN9rocsparseL19bsric0_17_32_kernelILi64ELi128ELi32E21rocsparse_complex_numIdEEEv20rocsparse_direction_iiPKiS5_PT2_S5_PiS5_S8_21rocsparse_index_base_.num_named_barrier, 0
	.set _ZN9rocsparseL19bsric0_17_32_kernelILi64ELi128ELi32E21rocsparse_complex_numIdEEEv20rocsparse_direction_iiPKiS5_PT2_S5_PiS5_S8_21rocsparse_index_base_.private_seg_size, 0
	.set _ZN9rocsparseL19bsric0_17_32_kernelILi64ELi128ELi32E21rocsparse_complex_numIdEEEv20rocsparse_direction_iiPKiS5_PT2_S5_PiS5_S8_21rocsparse_index_base_.uses_vcc, 1
	.set _ZN9rocsparseL19bsric0_17_32_kernelILi64ELi128ELi32E21rocsparse_complex_numIdEEEv20rocsparse_direction_iiPKiS5_PT2_S5_PiS5_S8_21rocsparse_index_base_.uses_flat_scratch, 0
	.set _ZN9rocsparseL19bsric0_17_32_kernelILi64ELi128ELi32E21rocsparse_complex_numIdEEEv20rocsparse_direction_iiPKiS5_PT2_S5_PiS5_S8_21rocsparse_index_base_.has_dyn_sized_stack, 0
	.set _ZN9rocsparseL19bsric0_17_32_kernelILi64ELi128ELi32E21rocsparse_complex_numIdEEEv20rocsparse_direction_iiPKiS5_PT2_S5_PiS5_S8_21rocsparse_index_base_.has_recursion, 0
	.set _ZN9rocsparseL19bsric0_17_32_kernelILi64ELi128ELi32E21rocsparse_complex_numIdEEEv20rocsparse_direction_iiPKiS5_PT2_S5_PiS5_S8_21rocsparse_index_base_.has_indirect_call, 0
	.section	.AMDGPU.csdata,"",@progbits
; Kernel info:
; codeLenInByte = 4788
; TotalNumSgprs: 47
; NumVgprs: 38
; ScratchSize: 0
; MemoryBound: 1
; FloatMode: 240
; IeeeMode: 1
; LDSByteSize: 52224 bytes/workgroup (compile time only)
; SGPRBlocks: 0
; VGPRBlocks: 16
; NumSGPRsForWavesPerEU: 47
; NumVGPRsForWavesPerEU: 257
; NamedBarCnt: 0
; Occupancy: 3
; WaveLimiterHint : 1
; COMPUTE_PGM_RSRC2:SCRATCH_EN: 0
; COMPUTE_PGM_RSRC2:USER_SGPR: 2
; COMPUTE_PGM_RSRC2:TRAP_HANDLER: 0
; COMPUTE_PGM_RSRC2:TGID_X_EN: 1
; COMPUTE_PGM_RSRC2:TGID_Y_EN: 0
; COMPUTE_PGM_RSRC2:TGID_Z_EN: 0
; COMPUTE_PGM_RSRC2:TIDIG_COMP_CNT: 1
	.section	.AMDGPU.gpr_maximums,"",@progbits
	.set amdgpu.max_num_vgpr, 0
	.set amdgpu.max_num_agpr, 0
	.set amdgpu.max_num_sgpr, 0
	.section	.AMDGPU.csdata,"",@progbits
	.type	__hip_cuid_88d21886e8025d54,@object ; @__hip_cuid_88d21886e8025d54
	.section	.bss,"aw",@nobits
	.globl	__hip_cuid_88d21886e8025d54
__hip_cuid_88d21886e8025d54:
	.byte	0                               ; 0x0
	.size	__hip_cuid_88d21886e8025d54, 1

	.ident	"AMD clang version 22.0.0git (https://github.com/RadeonOpenCompute/llvm-project roc-7.2.4 26084 f58b06dce1f9c15707c5f808fd002e18c2accf7e)"
	.section	".note.GNU-stack","",@progbits
	.addrsig
	.addrsig_sym __hip_cuid_88d21886e8025d54
	.amdgpu_metadata
---
amdhsa.kernels:
  - .args:
      - .offset:         0
        .size:           4
        .value_kind:     by_value
      - .offset:         4
        .size:           4
        .value_kind:     by_value
      - .offset:         8
        .size:           4
        .value_kind:     by_value
      - .actual_access:  read_only
        .address_space:  global
        .offset:         16
        .size:           8
        .value_kind:     global_buffer
      - .actual_access:  read_only
        .address_space:  global
        .offset:         24
        .size:           8
        .value_kind:     global_buffer
      - .address_space:  global
        .offset:         32
        .size:           8
        .value_kind:     global_buffer
      - .actual_access:  read_only
        .address_space:  global
        .offset:         40
        .size:           8
        .value_kind:     global_buffer
      - .address_space:  global
        .offset:         48
        .size:           8
        .value_kind:     global_buffer
      - .actual_access:  read_only
        .address_space:  global
        .offset:         56
        .size:           8
        .value_kind:     global_buffer
      - .address_space:  global
        .offset:         64
        .size:           8
        .value_kind:     global_buffer
      - .offset:         72
        .size:           4
        .value_kind:     by_value
    .group_segment_fixed_size: 0
    .kernarg_segment_align: 8
    .kernarg_segment_size: 76
    .language:       OpenCL C
    .language_version:
      - 2
      - 0
    .max_flat_workgroup_size: 32
    .name:           _ZN9rocsparseL23bsric0_binsearch_kernelILj32ELj32ELb0EfEEv20rocsparse_direction_iiPKiS3_PT2_S3_PiS3_S6_21rocsparse_index_base_
    .private_segment_fixed_size: 0
    .sgpr_count:     39
    .sgpr_spill_count: 0
    .symbol:         _ZN9rocsparseL23bsric0_binsearch_kernelILj32ELj32ELb0EfEEv20rocsparse_direction_iiPKiS3_PT2_S3_PiS3_S6_21rocsparse_index_base_.kd
    .uniform_work_group_size: 1
    .uses_dynamic_stack: false
    .vgpr_count:     43
    .vgpr_spill_count: 0
    .wavefront_size: 32
  - .args:
      - .offset:         0
        .size:           4
        .value_kind:     by_value
      - .offset:         4
        .size:           4
        .value_kind:     by_value
      - .offset:         8
        .size:           4
        .value_kind:     by_value
      - .actual_access:  read_only
        .address_space:  global
        .offset:         16
        .size:           8
        .value_kind:     global_buffer
      - .actual_access:  read_only
        .address_space:  global
        .offset:         24
        .size:           8
        .value_kind:     global_buffer
      - .address_space:  global
        .offset:         32
        .size:           8
        .value_kind:     global_buffer
      - .actual_access:  read_only
        .address_space:  global
        .offset:         40
        .size:           8
        .value_kind:     global_buffer
      - .address_space:  global
        .offset:         48
        .size:           8
        .value_kind:     global_buffer
      - .actual_access:  read_only
        .address_space:  global
        .offset:         56
        .size:           8
        .value_kind:     global_buffer
      - .address_space:  global
        .offset:         64
        .size:           8
        .value_kind:     global_buffer
      - .offset:         72
        .size:           4
        .value_kind:     by_value
    .group_segment_fixed_size: 0
    .kernarg_segment_align: 8
    .kernarg_segment_size: 76
    .language:       OpenCL C
    .language_version:
      - 2
      - 0
    .max_flat_workgroup_size: 64
    .name:           _ZN9rocsparseL23bsric0_binsearch_kernelILj64ELj64ELb1EfEEv20rocsparse_direction_iiPKiS3_PT2_S3_PiS3_S6_21rocsparse_index_base_
    .private_segment_fixed_size: 0
    .sgpr_count:     39
    .sgpr_spill_count: 0
    .symbol:         _ZN9rocsparseL23bsric0_binsearch_kernelILj64ELj64ELb1EfEEv20rocsparse_direction_iiPKiS3_PT2_S3_PiS3_S6_21rocsparse_index_base_.kd
    .uniform_work_group_size: 1
    .uses_dynamic_stack: false
    .vgpr_count:     43
    .vgpr_spill_count: 0
    .wavefront_size: 32
  - .args:
      - .offset:         0
        .size:           4
        .value_kind:     by_value
      - .offset:         4
        .size:           4
        .value_kind:     by_value
      - .offset:         8
        .size:           4
        .value_kind:     by_value
      - .actual_access:  read_only
        .address_space:  global
        .offset:         16
        .size:           8
        .value_kind:     global_buffer
      - .actual_access:  read_only
        .address_space:  global
        .offset:         24
        .size:           8
        .value_kind:     global_buffer
      - .address_space:  global
        .offset:         32
        .size:           8
        .value_kind:     global_buffer
      - .actual_access:  read_only
        .address_space:  global
        .offset:         40
        .size:           8
        .value_kind:     global_buffer
      - .address_space:  global
        .offset:         48
        .size:           8
        .value_kind:     global_buffer
      - .actual_access:  read_only
        .address_space:  global
        .offset:         56
        .size:           8
        .value_kind:     global_buffer
      - .address_space:  global
        .offset:         64
        .size:           8
        .value_kind:     global_buffer
      - .offset:         72
        .size:           4
        .value_kind:     by_value
    .group_segment_fixed_size: 416
    .kernarg_segment_align: 8
    .kernarg_segment_size: 76
    .language:       OpenCL C
    .language_version:
      - 2
      - 0
    .max_flat_workgroup_size: 1
    .name:           _ZN9rocsparseL26bsric0_2_8_unrolled_kernelILi1ELi32ELi1EfEEv20rocsparse_direction_iiPKiS3_PT2_S3_PiS3_S6_21rocsparse_index_base_
    .private_segment_fixed_size: 0
    .sgpr_count:     56
    .sgpr_spill_count: 0
    .symbol:         _ZN9rocsparseL26bsric0_2_8_unrolled_kernelILi1ELi32ELi1EfEEv20rocsparse_direction_iiPKiS3_PT2_S3_PiS3_S6_21rocsparse_index_base_.kd
    .uniform_work_group_size: 1
    .uses_dynamic_stack: false
    .vgpr_count:     37
    .vgpr_spill_count: 0
    .wavefront_size: 32
  - .args:
      - .offset:         0
        .size:           4
        .value_kind:     by_value
      - .offset:         4
        .size:           4
        .value_kind:     by_value
      - .offset:         8
        .size:           4
        .value_kind:     by_value
      - .actual_access:  read_only
        .address_space:  global
        .offset:         16
        .size:           8
        .value_kind:     global_buffer
      - .actual_access:  read_only
        .address_space:  global
        .offset:         24
        .size:           8
        .value_kind:     global_buffer
      - .address_space:  global
        .offset:         32
        .size:           8
        .value_kind:     global_buffer
      - .actual_access:  read_only
        .address_space:  global
        .offset:         40
        .size:           8
        .value_kind:     global_buffer
      - .address_space:  global
        .offset:         48
        .size:           8
        .value_kind:     global_buffer
      - .actual_access:  read_only
        .address_space:  global
        .offset:         56
        .size:           8
        .value_kind:     global_buffer
      - .address_space:  global
        .offset:         64
        .size:           8
        .value_kind:     global_buffer
      - .offset:         72
        .size:           4
        .value_kind:     by_value
    .group_segment_fixed_size: 504
    .kernarg_segment_align: 8
    .kernarg_segment_size: 76
    .language:       OpenCL C
    .language_version:
      - 2
      - 0
    .max_flat_workgroup_size: 4
    .name:           _ZN9rocsparseL26bsric0_2_8_unrolled_kernelILi4ELi32ELi2EfEEv20rocsparse_direction_iiPKiS3_PT2_S3_PiS3_S6_21rocsparse_index_base_
    .private_segment_fixed_size: 0
    .sgpr_count:     39
    .sgpr_spill_count: 0
    .symbol:         _ZN9rocsparseL26bsric0_2_8_unrolled_kernelILi4ELi32ELi2EfEEv20rocsparse_direction_iiPKiS3_PT2_S3_PiS3_S6_21rocsparse_index_base_.kd
    .uniform_work_group_size: 1
    .uses_dynamic_stack: false
    .vgpr_count:     42
    .vgpr_spill_count: 0
    .wavefront_size: 32
  - .args:
      - .offset:         0
        .size:           4
        .value_kind:     by_value
      - .offset:         4
        .size:           4
        .value_kind:     by_value
      - .offset:         8
        .size:           4
        .value_kind:     by_value
      - .actual_access:  read_only
        .address_space:  global
        .offset:         16
        .size:           8
        .value_kind:     global_buffer
      - .actual_access:  read_only
        .address_space:  global
        .offset:         24
        .size:           8
        .value_kind:     global_buffer
      - .address_space:  global
        .offset:         32
        .size:           8
        .value_kind:     global_buffer
      - .actual_access:  read_only
        .address_space:  global
        .offset:         40
        .size:           8
        .value_kind:     global_buffer
      - .address_space:  global
        .offset:         48
        .size:           8
        .value_kind:     global_buffer
      - .actual_access:  read_only
        .address_space:  global
        .offset:         56
        .size:           8
        .value_kind:     global_buffer
      - .address_space:  global
        .offset:         64
        .size:           8
        .value_kind:     global_buffer
      - .offset:         72
        .size:           4
        .value_kind:     by_value
    .group_segment_fixed_size: 576
    .kernarg_segment_align: 8
    .kernarg_segment_size: 76
    .language:       OpenCL C
    .language_version:
      - 2
      - 0
    .max_flat_workgroup_size: 9
    .name:           _ZN9rocsparseL26bsric0_2_8_unrolled_kernelILi9ELi32ELi3EfEEv20rocsparse_direction_iiPKiS3_PT2_S3_PiS3_S6_21rocsparse_index_base_
    .private_segment_fixed_size: 0
    .sgpr_count:     39
    .sgpr_spill_count: 0
    .symbol:         _ZN9rocsparseL26bsric0_2_8_unrolled_kernelILi9ELi32ELi3EfEEv20rocsparse_direction_iiPKiS3_PT2_S3_PiS3_S6_21rocsparse_index_base_.kd
    .uniform_work_group_size: 1
    .uses_dynamic_stack: false
    .vgpr_count:     42
    .vgpr_spill_count: 0
    .wavefront_size: 32
  - .args:
      - .offset:         0
        .size:           4
        .value_kind:     by_value
      - .offset:         4
        .size:           4
        .value_kind:     by_value
      - .offset:         8
        .size:           4
        .value_kind:     by_value
      - .actual_access:  read_only
        .address_space:  global
        .offset:         16
        .size:           8
        .value_kind:     global_buffer
      - .actual_access:  read_only
        .address_space:  global
        .offset:         24
        .size:           8
        .value_kind:     global_buffer
      - .address_space:  global
        .offset:         32
        .size:           8
        .value_kind:     global_buffer
      - .actual_access:  read_only
        .address_space:  global
        .offset:         40
        .size:           8
        .value_kind:     global_buffer
      - .address_space:  global
        .offset:         48
        .size:           8
        .value_kind:     global_buffer
      - .actual_access:  read_only
        .address_space:  global
        .offset:         56
        .size:           8
        .value_kind:     global_buffer
      - .address_space:  global
        .offset:         64
        .size:           8
        .value_kind:     global_buffer
      - .offset:         72
        .size:           4
        .value_kind:     by_value
    .group_segment_fixed_size: 704
    .kernarg_segment_align: 8
    .kernarg_segment_size: 76
    .language:       OpenCL C
    .language_version:
      - 2
      - 0
    .max_flat_workgroup_size: 16
    .name:           _ZN9rocsparseL26bsric0_2_8_unrolled_kernelILi16ELi32ELi4EfEEv20rocsparse_direction_iiPKiS3_PT2_S3_PiS3_S6_21rocsparse_index_base_
    .private_segment_fixed_size: 0
    .sgpr_count:     39
    .sgpr_spill_count: 0
    .symbol:         _ZN9rocsparseL26bsric0_2_8_unrolled_kernelILi16ELi32ELi4EfEEv20rocsparse_direction_iiPKiS3_PT2_S3_PiS3_S6_21rocsparse_index_base_.kd
    .uniform_work_group_size: 1
    .uses_dynamic_stack: false
    .vgpr_count:     42
    .vgpr_spill_count: 0
    .wavefront_size: 32
  - .args:
      - .offset:         0
        .size:           4
        .value_kind:     by_value
      - .offset:         4
        .size:           4
        .value_kind:     by_value
      - .offset:         8
        .size:           4
        .value_kind:     by_value
      - .actual_access:  read_only
        .address_space:  global
        .offset:         16
        .size:           8
        .value_kind:     global_buffer
      - .actual_access:  read_only
        .address_space:  global
        .offset:         24
        .size:           8
        .value_kind:     global_buffer
      - .address_space:  global
        .offset:         32
        .size:           8
        .value_kind:     global_buffer
      - .actual_access:  read_only
        .address_space:  global
        .offset:         40
        .size:           8
        .value_kind:     global_buffer
      - .address_space:  global
        .offset:         48
        .size:           8
        .value_kind:     global_buffer
      - .actual_access:  read_only
        .address_space:  global
        .offset:         56
        .size:           8
        .value_kind:     global_buffer
      - .address_space:  global
        .offset:         64
        .size:           8
        .value_kind:     global_buffer
      - .offset:         72
        .size:           4
        .value_kind:     by_value
    .group_segment_fixed_size: 888
    .kernarg_segment_align: 8
    .kernarg_segment_size: 76
    .language:       OpenCL C
    .language_version:
      - 2
      - 0
    .max_flat_workgroup_size: 25
    .name:           _ZN9rocsparseL26bsric0_2_8_unrolled_kernelILi25ELi32ELi5EfEEv20rocsparse_direction_iiPKiS3_PT2_S3_PiS3_S6_21rocsparse_index_base_
    .private_segment_fixed_size: 0
    .sgpr_count:     39
    .sgpr_spill_count: 0
    .symbol:         _ZN9rocsparseL26bsric0_2_8_unrolled_kernelILi25ELi32ELi5EfEEv20rocsparse_direction_iiPKiS3_PT2_S3_PiS3_S6_21rocsparse_index_base_.kd
    .uniform_work_group_size: 1
    .uses_dynamic_stack: false
    .vgpr_count:     42
    .vgpr_spill_count: 0
    .wavefront_size: 32
  - .args:
      - .offset:         0
        .size:           4
        .value_kind:     by_value
      - .offset:         4
        .size:           4
        .value_kind:     by_value
      - .offset:         8
        .size:           4
        .value_kind:     by_value
      - .actual_access:  read_only
        .address_space:  global
        .offset:         16
        .size:           8
        .value_kind:     global_buffer
      - .actual_access:  read_only
        .address_space:  global
        .offset:         24
        .size:           8
        .value_kind:     global_buffer
      - .address_space:  global
        .offset:         32
        .size:           8
        .value_kind:     global_buffer
      - .actual_access:  read_only
        .address_space:  global
        .offset:         40
        .size:           8
        .value_kind:     global_buffer
      - .address_space:  global
        .offset:         48
        .size:           8
        .value_kind:     global_buffer
      - .actual_access:  read_only
        .address_space:  global
        .offset:         56
        .size:           8
        .value_kind:     global_buffer
      - .address_space:  global
        .offset:         64
        .size:           8
        .value_kind:     global_buffer
      - .offset:         72
        .size:           4
        .value_kind:     by_value
    .group_segment_fixed_size: 1088
    .kernarg_segment_align: 8
    .kernarg_segment_size: 76
    .language:       OpenCL C
    .language_version:
      - 2
      - 0
    .max_flat_workgroup_size: 36
    .name:           _ZN9rocsparseL26bsric0_2_8_unrolled_kernelILi36ELi32ELi6EfEEv20rocsparse_direction_iiPKiS3_PT2_S3_PiS3_S6_21rocsparse_index_base_
    .private_segment_fixed_size: 0
    .sgpr_count:     39
    .sgpr_spill_count: 0
    .symbol:         _ZN9rocsparseL26bsric0_2_8_unrolled_kernelILi36ELi32ELi6EfEEv20rocsparse_direction_iiPKiS3_PT2_S3_PiS3_S6_21rocsparse_index_base_.kd
    .uniform_work_group_size: 1
    .uses_dynamic_stack: false
    .vgpr_count:     42
    .vgpr_spill_count: 0
    .wavefront_size: 32
  - .args:
      - .offset:         0
        .size:           4
        .value_kind:     by_value
      - .offset:         4
        .size:           4
        .value_kind:     by_value
      - .offset:         8
        .size:           4
        .value_kind:     by_value
      - .actual_access:  read_only
        .address_space:  global
        .offset:         16
        .size:           8
        .value_kind:     global_buffer
      - .actual_access:  read_only
        .address_space:  global
        .offset:         24
        .size:           8
        .value_kind:     global_buffer
      - .address_space:  global
        .offset:         32
        .size:           8
        .value_kind:     global_buffer
      - .actual_access:  read_only
        .address_space:  global
        .offset:         40
        .size:           8
        .value_kind:     global_buffer
      - .address_space:  global
        .offset:         48
        .size:           8
        .value_kind:     global_buffer
      - .actual_access:  read_only
        .address_space:  global
        .offset:         56
        .size:           8
        .value_kind:     global_buffer
      - .address_space:  global
        .offset:         64
        .size:           8
        .value_kind:     global_buffer
      - .offset:         72
        .size:           4
        .value_kind:     by_value
    .group_segment_fixed_size: 1280
    .kernarg_segment_align: 8
    .kernarg_segment_size: 76
    .language:       OpenCL C
    .language_version:
      - 2
      - 0
    .max_flat_workgroup_size: 49
    .name:           _ZN9rocsparseL26bsric0_2_8_unrolled_kernelILi49ELi32ELi7EfEEv20rocsparse_direction_iiPKiS3_PT2_S3_PiS3_S6_21rocsparse_index_base_
    .private_segment_fixed_size: 0
    .sgpr_count:     39
    .sgpr_spill_count: 0
    .symbol:         _ZN9rocsparseL26bsric0_2_8_unrolled_kernelILi49ELi32ELi7EfEEv20rocsparse_direction_iiPKiS3_PT2_S3_PiS3_S6_21rocsparse_index_base_.kd
    .uniform_work_group_size: 1
    .uses_dynamic_stack: false
    .vgpr_count:     42
    .vgpr_spill_count: 0
    .wavefront_size: 32
  - .args:
      - .offset:         0
        .size:           4
        .value_kind:     by_value
      - .offset:         4
        .size:           4
        .value_kind:     by_value
      - .offset:         8
        .size:           4
        .value_kind:     by_value
      - .actual_access:  read_only
        .address_space:  global
        .offset:         16
        .size:           8
        .value_kind:     global_buffer
      - .actual_access:  read_only
        .address_space:  global
        .offset:         24
        .size:           8
        .value_kind:     global_buffer
      - .address_space:  global
        .offset:         32
        .size:           8
        .value_kind:     global_buffer
      - .actual_access:  read_only
        .address_space:  global
        .offset:         40
        .size:           8
        .value_kind:     global_buffer
      - .address_space:  global
        .offset:         48
        .size:           8
        .value_kind:     global_buffer
      - .actual_access:  read_only
        .address_space:  global
        .offset:         56
        .size:           8
        .value_kind:     global_buffer
      - .address_space:  global
        .offset:         64
        .size:           8
        .value_kind:     global_buffer
      - .offset:         72
        .size:           4
        .value_kind:     by_value
    .group_segment_fixed_size: 1536
    .kernarg_segment_align: 8
    .kernarg_segment_size: 76
    .language:       OpenCL C
    .language_version:
      - 2
      - 0
    .max_flat_workgroup_size: 64
    .name:           _ZN9rocsparseL26bsric0_2_8_unrolled_kernelILi64ELi32ELi8EfEEv20rocsparse_direction_iiPKiS3_PT2_S3_PiS3_S6_21rocsparse_index_base_
    .private_segment_fixed_size: 0
    .sgpr_count:     39
    .sgpr_spill_count: 0
    .symbol:         _ZN9rocsparseL26bsric0_2_8_unrolled_kernelILi64ELi32ELi8EfEEv20rocsparse_direction_iiPKiS3_PT2_S3_PiS3_S6_21rocsparse_index_base_.kd
    .uniform_work_group_size: 1
    .uses_dynamic_stack: false
    .vgpr_count:     42
    .vgpr_spill_count: 0
    .wavefront_size: 32
  - .args:
      - .offset:         0
        .size:           4
        .value_kind:     by_value
      - .offset:         4
        .size:           4
        .value_kind:     by_value
      - .offset:         8
        .size:           4
        .value_kind:     by_value
      - .actual_access:  read_only
        .address_space:  global
        .offset:         16
        .size:           8
        .value_kind:     global_buffer
      - .actual_access:  read_only
        .address_space:  global
        .offset:         24
        .size:           8
        .value_kind:     global_buffer
      - .address_space:  global
        .offset:         32
        .size:           8
        .value_kind:     global_buffer
      - .actual_access:  read_only
        .address_space:  global
        .offset:         40
        .size:           8
        .value_kind:     global_buffer
      - .address_space:  global
        .offset:         48
        .size:           8
        .value_kind:     global_buffer
      - .actual_access:  read_only
        .address_space:  global
        .offset:         56
        .size:           8
        .value_kind:     global_buffer
      - .address_space:  global
        .offset:         64
        .size:           8
        .value_kind:     global_buffer
      - .offset:         72
        .size:           4
        .value_kind:     by_value
    .group_segment_fixed_size: 4736
    .kernarg_segment_align: 8
    .kernarg_segment_size: 76
    .language:       OpenCL C
    .language_version:
      - 2
      - 0
    .max_flat_workgroup_size: 64
    .name:           _ZN9rocsparseL18bsric0_9_16_kernelILi64ELi32ELi16EfEEv20rocsparse_direction_iiPKiS3_PT2_S3_PiS3_S6_21rocsparse_index_base_
    .private_segment_fixed_size: 0
    .sgpr_count:     48
    .sgpr_spill_count: 0
    .symbol:         _ZN9rocsparseL18bsric0_9_16_kernelILi64ELi32ELi16EfEEv20rocsparse_direction_iiPKiS3_PT2_S3_PiS3_S6_21rocsparse_index_base_.kd
    .uniform_work_group_size: 1
    .uses_dynamic_stack: false
    .vgpr_count:     40
    .vgpr_spill_count: 0
    .wavefront_size: 32
  - .args:
      - .offset:         0
        .size:           4
        .value_kind:     by_value
      - .offset:         4
        .size:           4
        .value_kind:     by_value
      - .offset:         8
        .size:           4
        .value_kind:     by_value
      - .actual_access:  read_only
        .address_space:  global
        .offset:         16
        .size:           8
        .value_kind:     global_buffer
      - .actual_access:  read_only
        .address_space:  global
        .offset:         24
        .size:           8
        .value_kind:     global_buffer
      - .address_space:  global
        .offset:         32
        .size:           8
        .value_kind:     global_buffer
      - .actual_access:  read_only
        .address_space:  global
        .offset:         40
        .size:           8
        .value_kind:     global_buffer
      - .address_space:  global
        .offset:         48
        .size:           8
        .value_kind:     global_buffer
      - .actual_access:  read_only
        .address_space:  global
        .offset:         56
        .size:           8
        .value_kind:     global_buffer
      - .address_space:  global
        .offset:         64
        .size:           8
        .value_kind:     global_buffer
      - .offset:         72
        .size:           4
        .value_kind:     by_value
    .group_segment_fixed_size: 13056
    .kernarg_segment_align: 8
    .kernarg_segment_size: 76
    .language:       OpenCL C
    .language_version:
      - 2
      - 0
    .max_flat_workgroup_size: 64
    .name:           _ZN9rocsparseL19bsric0_17_32_kernelILi64ELi32ELi32EfEEv20rocsparse_direction_iiPKiS3_PT2_S3_PiS3_S6_21rocsparse_index_base_
    .private_segment_fixed_size: 0
    .sgpr_count:     49
    .sgpr_spill_count: 0
    .symbol:         _ZN9rocsparseL19bsric0_17_32_kernelILi64ELi32ELi32EfEEv20rocsparse_direction_iiPKiS3_PT2_S3_PiS3_S6_21rocsparse_index_base_.kd
    .uniform_work_group_size: 1
    .uses_dynamic_stack: false
    .vgpr_count:     36
    .vgpr_spill_count: 0
    .wavefront_size: 32
  - .args:
      - .offset:         0
        .size:           4
        .value_kind:     by_value
      - .offset:         4
        .size:           4
        .value_kind:     by_value
      - .offset:         8
        .size:           4
        .value_kind:     by_value
      - .actual_access:  read_only
        .address_space:  global
        .offset:         16
        .size:           8
        .value_kind:     global_buffer
      - .actual_access:  read_only
        .address_space:  global
        .offset:         24
        .size:           8
        .value_kind:     global_buffer
      - .address_space:  global
        .offset:         32
        .size:           8
        .value_kind:     global_buffer
      - .actual_access:  read_only
        .address_space:  global
        .offset:         40
        .size:           8
        .value_kind:     global_buffer
      - .address_space:  global
        .offset:         48
        .size:           8
        .value_kind:     global_buffer
      - .actual_access:  read_only
        .address_space:  global
        .offset:         56
        .size:           8
        .value_kind:     global_buffer
      - .address_space:  global
        .offset:         64
        .size:           8
        .value_kind:     global_buffer
      - .offset:         72
        .size:           4
        .value_kind:     by_value
    .group_segment_fixed_size: 0
    .kernarg_segment_align: 8
    .kernarg_segment_size: 76
    .language:       OpenCL C
    .language_version:
      - 2
      - 0
    .max_flat_workgroup_size: 64
    .name:           _ZN9rocsparseL23bsric0_binsearch_kernelILj64ELj64ELb0EfEEv20rocsparse_direction_iiPKiS3_PT2_S3_PiS3_S6_21rocsparse_index_base_
    .private_segment_fixed_size: 0
    .sgpr_count:     39
    .sgpr_spill_count: 0
    .symbol:         _ZN9rocsparseL23bsric0_binsearch_kernelILj64ELj64ELb0EfEEv20rocsparse_direction_iiPKiS3_PT2_S3_PiS3_S6_21rocsparse_index_base_.kd
    .uniform_work_group_size: 1
    .uses_dynamic_stack: false
    .vgpr_count:     43
    .vgpr_spill_count: 0
    .wavefront_size: 32
  - .args:
      - .offset:         0
        .size:           4
        .value_kind:     by_value
      - .offset:         4
        .size:           4
        .value_kind:     by_value
      - .offset:         8
        .size:           4
        .value_kind:     by_value
      - .actual_access:  read_only
        .address_space:  global
        .offset:         16
        .size:           8
        .value_kind:     global_buffer
      - .actual_access:  read_only
        .address_space:  global
        .offset:         24
        .size:           8
        .value_kind:     global_buffer
      - .address_space:  global
        .offset:         32
        .size:           8
        .value_kind:     global_buffer
      - .actual_access:  read_only
        .address_space:  global
        .offset:         40
        .size:           8
        .value_kind:     global_buffer
      - .address_space:  global
        .offset:         48
        .size:           8
        .value_kind:     global_buffer
      - .actual_access:  read_only
        .address_space:  global
        .offset:         56
        .size:           8
        .value_kind:     global_buffer
      - .address_space:  global
        .offset:         64
        .size:           8
        .value_kind:     global_buffer
      - .offset:         72
        .size:           4
        .value_kind:     by_value
    .group_segment_fixed_size: 1920
    .kernarg_segment_align: 8
    .kernarg_segment_size: 76
    .language:       OpenCL C
    .language_version:
      - 2
      - 0
    .max_flat_workgroup_size: 64
    .name:           _ZN9rocsparseL17bsric0_2_8_kernelILi64ELi64ELi8EfEEv20rocsparse_direction_iiPKiS3_PT2_S3_PiS3_S6_21rocsparse_index_base_
    .private_segment_fixed_size: 0
    .sgpr_count:     45
    .sgpr_spill_count: 0
    .symbol:         _ZN9rocsparseL17bsric0_2_8_kernelILi64ELi64ELi8EfEEv20rocsparse_direction_iiPKiS3_PT2_S3_PiS3_S6_21rocsparse_index_base_.kd
    .uniform_work_group_size: 1
    .uses_dynamic_stack: false
    .vgpr_count:     40
    .vgpr_spill_count: 0
    .wavefront_size: 32
  - .args:
      - .offset:         0
        .size:           4
        .value_kind:     by_value
      - .offset:         4
        .size:           4
        .value_kind:     by_value
      - .offset:         8
        .size:           4
        .value_kind:     by_value
      - .actual_access:  read_only
        .address_space:  global
        .offset:         16
        .size:           8
        .value_kind:     global_buffer
      - .actual_access:  read_only
        .address_space:  global
        .offset:         24
        .size:           8
        .value_kind:     global_buffer
      - .address_space:  global
        .offset:         32
        .size:           8
        .value_kind:     global_buffer
      - .actual_access:  read_only
        .address_space:  global
        .offset:         40
        .size:           8
        .value_kind:     global_buffer
      - .address_space:  global
        .offset:         48
        .size:           8
        .value_kind:     global_buffer
      - .actual_access:  read_only
        .address_space:  global
        .offset:         56
        .size:           8
        .value_kind:     global_buffer
      - .address_space:  global
        .offset:         64
        .size:           8
        .value_kind:     global_buffer
      - .offset:         72
        .size:           4
        .value_kind:     by_value
    .group_segment_fixed_size: 5120
    .kernarg_segment_align: 8
    .kernarg_segment_size: 76
    .language:       OpenCL C
    .language_version:
      - 2
      - 0
    .max_flat_workgroup_size: 64
    .name:           _ZN9rocsparseL18bsric0_9_16_kernelILi64ELi64ELi16EfEEv20rocsparse_direction_iiPKiS3_PT2_S3_PiS3_S6_21rocsparse_index_base_
    .private_segment_fixed_size: 0
    .sgpr_count:     48
    .sgpr_spill_count: 0
    .symbol:         _ZN9rocsparseL18bsric0_9_16_kernelILi64ELi64ELi16EfEEv20rocsparse_direction_iiPKiS3_PT2_S3_PiS3_S6_21rocsparse_index_base_.kd
    .uniform_work_group_size: 1
    .uses_dynamic_stack: false
    .vgpr_count:     40
    .vgpr_spill_count: 0
    .wavefront_size: 32
  - .args:
      - .offset:         0
        .size:           4
        .value_kind:     by_value
      - .offset:         4
        .size:           4
        .value_kind:     by_value
      - .offset:         8
        .size:           4
        .value_kind:     by_value
      - .actual_access:  read_only
        .address_space:  global
        .offset:         16
        .size:           8
        .value_kind:     global_buffer
      - .actual_access:  read_only
        .address_space:  global
        .offset:         24
        .size:           8
        .value_kind:     global_buffer
      - .address_space:  global
        .offset:         32
        .size:           8
        .value_kind:     global_buffer
      - .actual_access:  read_only
        .address_space:  global
        .offset:         40
        .size:           8
        .value_kind:     global_buffer
      - .address_space:  global
        .offset:         48
        .size:           8
        .value_kind:     global_buffer
      - .actual_access:  read_only
        .address_space:  global
        .offset:         56
        .size:           8
        .value_kind:     global_buffer
      - .address_space:  global
        .offset:         64
        .size:           8
        .value_kind:     global_buffer
      - .offset:         72
        .size:           4
        .value_kind:     by_value
    .group_segment_fixed_size: 13440
    .kernarg_segment_align: 8
    .kernarg_segment_size: 76
    .language:       OpenCL C
    .language_version:
      - 2
      - 0
    .max_flat_workgroup_size: 64
    .name:           _ZN9rocsparseL19bsric0_17_32_kernelILi64ELi64ELi32EfEEv20rocsparse_direction_iiPKiS3_PT2_S3_PiS3_S6_21rocsparse_index_base_
    .private_segment_fixed_size: 0
    .sgpr_count:     49
    .sgpr_spill_count: 0
    .symbol:         _ZN9rocsparseL19bsric0_17_32_kernelILi64ELi64ELi32EfEEv20rocsparse_direction_iiPKiS3_PT2_S3_PiS3_S6_21rocsparse_index_base_.kd
    .uniform_work_group_size: 1
    .uses_dynamic_stack: false
    .vgpr_count:     36
    .vgpr_spill_count: 0
    .wavefront_size: 32
  - .args:
      - .offset:         0
        .size:           4
        .value_kind:     by_value
      - .offset:         4
        .size:           4
        .value_kind:     by_value
      - .offset:         8
        .size:           4
        .value_kind:     by_value
      - .actual_access:  read_only
        .address_space:  global
        .offset:         16
        .size:           8
        .value_kind:     global_buffer
      - .actual_access:  read_only
        .address_space:  global
        .offset:         24
        .size:           8
        .value_kind:     global_buffer
      - .address_space:  global
        .offset:         32
        .size:           8
        .value_kind:     global_buffer
      - .actual_access:  read_only
        .address_space:  global
        .offset:         40
        .size:           8
        .value_kind:     global_buffer
      - .address_space:  global
        .offset:         48
        .size:           8
        .value_kind:     global_buffer
      - .actual_access:  read_only
        .address_space:  global
        .offset:         56
        .size:           8
        .value_kind:     global_buffer
      - .address_space:  global
        .offset:         64
        .size:           8
        .value_kind:     global_buffer
      - .offset:         72
        .size:           4
        .value_kind:     by_value
    .group_segment_fixed_size: 2688
    .kernarg_segment_align: 8
    .kernarg_segment_size: 76
    .language:       OpenCL C
    .language_version:
      - 2
      - 0
    .max_flat_workgroup_size: 64
    .name:           _ZN9rocsparseL17bsric0_2_8_kernelILi64ELi128ELi8EfEEv20rocsparse_direction_iiPKiS3_PT2_S3_PiS3_S6_21rocsparse_index_base_
    .private_segment_fixed_size: 0
    .sgpr_count:     45
    .sgpr_spill_count: 0
    .symbol:         _ZN9rocsparseL17bsric0_2_8_kernelILi64ELi128ELi8EfEEv20rocsparse_direction_iiPKiS3_PT2_S3_PiS3_S6_21rocsparse_index_base_.kd
    .uniform_work_group_size: 1
    .uses_dynamic_stack: false
    .vgpr_count:     40
    .vgpr_spill_count: 0
    .wavefront_size: 32
  - .args:
      - .offset:         0
        .size:           4
        .value_kind:     by_value
      - .offset:         4
        .size:           4
        .value_kind:     by_value
      - .offset:         8
        .size:           4
        .value_kind:     by_value
      - .actual_access:  read_only
        .address_space:  global
        .offset:         16
        .size:           8
        .value_kind:     global_buffer
      - .actual_access:  read_only
        .address_space:  global
        .offset:         24
        .size:           8
        .value_kind:     global_buffer
      - .address_space:  global
        .offset:         32
        .size:           8
        .value_kind:     global_buffer
      - .actual_access:  read_only
        .address_space:  global
        .offset:         40
        .size:           8
        .value_kind:     global_buffer
      - .address_space:  global
        .offset:         48
        .size:           8
        .value_kind:     global_buffer
      - .actual_access:  read_only
        .address_space:  global
        .offset:         56
        .size:           8
        .value_kind:     global_buffer
      - .address_space:  global
        .offset:         64
        .size:           8
        .value_kind:     global_buffer
      - .offset:         72
        .size:           4
        .value_kind:     by_value
    .group_segment_fixed_size: 5888
    .kernarg_segment_align: 8
    .kernarg_segment_size: 76
    .language:       OpenCL C
    .language_version:
      - 2
      - 0
    .max_flat_workgroup_size: 64
    .name:           _ZN9rocsparseL18bsric0_9_16_kernelILi64ELi128ELi16EfEEv20rocsparse_direction_iiPKiS3_PT2_S3_PiS3_S6_21rocsparse_index_base_
    .private_segment_fixed_size: 0
    .sgpr_count:     48
    .sgpr_spill_count: 0
    .symbol:         _ZN9rocsparseL18bsric0_9_16_kernelILi64ELi128ELi16EfEEv20rocsparse_direction_iiPKiS3_PT2_S3_PiS3_S6_21rocsparse_index_base_.kd
    .uniform_work_group_size: 1
    .uses_dynamic_stack: false
    .vgpr_count:     40
    .vgpr_spill_count: 0
    .wavefront_size: 32
  - .args:
      - .offset:         0
        .size:           4
        .value_kind:     by_value
      - .offset:         4
        .size:           4
        .value_kind:     by_value
      - .offset:         8
        .size:           4
        .value_kind:     by_value
      - .actual_access:  read_only
        .address_space:  global
        .offset:         16
        .size:           8
        .value_kind:     global_buffer
      - .actual_access:  read_only
        .address_space:  global
        .offset:         24
        .size:           8
        .value_kind:     global_buffer
      - .address_space:  global
        .offset:         32
        .size:           8
        .value_kind:     global_buffer
      - .actual_access:  read_only
        .address_space:  global
        .offset:         40
        .size:           8
        .value_kind:     global_buffer
      - .address_space:  global
        .offset:         48
        .size:           8
        .value_kind:     global_buffer
      - .actual_access:  read_only
        .address_space:  global
        .offset:         56
        .size:           8
        .value_kind:     global_buffer
      - .address_space:  global
        .offset:         64
        .size:           8
        .value_kind:     global_buffer
      - .offset:         72
        .size:           4
        .value_kind:     by_value
    .group_segment_fixed_size: 14208
    .kernarg_segment_align: 8
    .kernarg_segment_size: 76
    .language:       OpenCL C
    .language_version:
      - 2
      - 0
    .max_flat_workgroup_size: 64
    .name:           _ZN9rocsparseL19bsric0_17_32_kernelILi64ELi128ELi32EfEEv20rocsparse_direction_iiPKiS3_PT2_S3_PiS3_S6_21rocsparse_index_base_
    .private_segment_fixed_size: 0
    .sgpr_count:     49
    .sgpr_spill_count: 0
    .symbol:         _ZN9rocsparseL19bsric0_17_32_kernelILi64ELi128ELi32EfEEv20rocsparse_direction_iiPKiS3_PT2_S3_PiS3_S6_21rocsparse_index_base_.kd
    .uniform_work_group_size: 1
    .uses_dynamic_stack: false
    .vgpr_count:     36
    .vgpr_spill_count: 0
    .wavefront_size: 32
  - .args:
      - .offset:         0
        .size:           4
        .value_kind:     by_value
      - .offset:         4
        .size:           4
        .value_kind:     by_value
      - .offset:         8
        .size:           4
        .value_kind:     by_value
      - .actual_access:  read_only
        .address_space:  global
        .offset:         16
        .size:           8
        .value_kind:     global_buffer
      - .actual_access:  read_only
        .address_space:  global
        .offset:         24
        .size:           8
        .value_kind:     global_buffer
      - .address_space:  global
        .offset:         32
        .size:           8
        .value_kind:     global_buffer
      - .actual_access:  read_only
        .address_space:  global
        .offset:         40
        .size:           8
        .value_kind:     global_buffer
      - .address_space:  global
        .offset:         48
        .size:           8
        .value_kind:     global_buffer
      - .actual_access:  read_only
        .address_space:  global
        .offset:         56
        .size:           8
        .value_kind:     global_buffer
      - .address_space:  global
        .offset:         64
        .size:           8
        .value_kind:     global_buffer
      - .offset:         72
        .size:           4
        .value_kind:     by_value
    .group_segment_fixed_size: 0
    .kernarg_segment_align: 8
    .kernarg_segment_size: 76
    .language:       OpenCL C
    .language_version:
      - 2
      - 0
    .max_flat_workgroup_size: 32
    .name:           _ZN9rocsparseL23bsric0_binsearch_kernelILj32ELj32ELb0EdEEv20rocsparse_direction_iiPKiS3_PT2_S3_PiS3_S6_21rocsparse_index_base_
    .private_segment_fixed_size: 0
    .sgpr_count:     39
    .sgpr_spill_count: 0
    .symbol:         _ZN9rocsparseL23bsric0_binsearch_kernelILj32ELj32ELb0EdEEv20rocsparse_direction_iiPKiS3_PT2_S3_PiS3_S6_21rocsparse_index_base_.kd
    .uniform_work_group_size: 1
    .uses_dynamic_stack: false
    .vgpr_count:     50
    .vgpr_spill_count: 0
    .wavefront_size: 32
  - .args:
      - .offset:         0
        .size:           4
        .value_kind:     by_value
      - .offset:         4
        .size:           4
        .value_kind:     by_value
      - .offset:         8
        .size:           4
        .value_kind:     by_value
      - .actual_access:  read_only
        .address_space:  global
        .offset:         16
        .size:           8
        .value_kind:     global_buffer
      - .actual_access:  read_only
        .address_space:  global
        .offset:         24
        .size:           8
        .value_kind:     global_buffer
      - .address_space:  global
        .offset:         32
        .size:           8
        .value_kind:     global_buffer
      - .actual_access:  read_only
        .address_space:  global
        .offset:         40
        .size:           8
        .value_kind:     global_buffer
      - .address_space:  global
        .offset:         48
        .size:           8
        .value_kind:     global_buffer
      - .actual_access:  read_only
        .address_space:  global
        .offset:         56
        .size:           8
        .value_kind:     global_buffer
      - .address_space:  global
        .offset:         64
        .size:           8
        .value_kind:     global_buffer
      - .offset:         72
        .size:           4
        .value_kind:     by_value
    .group_segment_fixed_size: 0
    .kernarg_segment_align: 8
    .kernarg_segment_size: 76
    .language:       OpenCL C
    .language_version:
      - 2
      - 0
    .max_flat_workgroup_size: 64
    .name:           _ZN9rocsparseL23bsric0_binsearch_kernelILj64ELj64ELb1EdEEv20rocsparse_direction_iiPKiS3_PT2_S3_PiS3_S6_21rocsparse_index_base_
    .private_segment_fixed_size: 0
    .sgpr_count:     39
    .sgpr_spill_count: 0
    .symbol:         _ZN9rocsparseL23bsric0_binsearch_kernelILj64ELj64ELb1EdEEv20rocsparse_direction_iiPKiS3_PT2_S3_PiS3_S6_21rocsparse_index_base_.kd
    .uniform_work_group_size: 1
    .uses_dynamic_stack: false
    .vgpr_count:     50
    .vgpr_spill_count: 0
    .wavefront_size: 32
  - .args:
      - .offset:         0
        .size:           4
        .value_kind:     by_value
      - .offset:         4
        .size:           4
        .value_kind:     by_value
      - .offset:         8
        .size:           4
        .value_kind:     by_value
      - .actual_access:  read_only
        .address_space:  global
        .offset:         16
        .size:           8
        .value_kind:     global_buffer
      - .actual_access:  read_only
        .address_space:  global
        .offset:         24
        .size:           8
        .value_kind:     global_buffer
      - .address_space:  global
        .offset:         32
        .size:           8
        .value_kind:     global_buffer
      - .actual_access:  read_only
        .address_space:  global
        .offset:         40
        .size:           8
        .value_kind:     global_buffer
      - .address_space:  global
        .offset:         48
        .size:           8
        .value_kind:     global_buffer
      - .actual_access:  read_only
        .address_space:  global
        .offset:         56
        .size:           8
        .value_kind:     global_buffer
      - .address_space:  global
        .offset:         64
        .size:           8
        .value_kind:     global_buffer
      - .offset:         72
        .size:           4
        .value_kind:     by_value
    .group_segment_fixed_size: 448
    .kernarg_segment_align: 8
    .kernarg_segment_size: 76
    .language:       OpenCL C
    .language_version:
      - 2
      - 0
    .max_flat_workgroup_size: 1
    .name:           _ZN9rocsparseL26bsric0_2_8_unrolled_kernelILi1ELi32ELi1EdEEv20rocsparse_direction_iiPKiS3_PT2_S3_PiS3_S6_21rocsparse_index_base_
    .private_segment_fixed_size: 0
    .sgpr_count:     56
    .sgpr_spill_count: 0
    .symbol:         _ZN9rocsparseL26bsric0_2_8_unrolled_kernelILi1ELi32ELi1EdEEv20rocsparse_direction_iiPKiS3_PT2_S3_PiS3_S6_21rocsparse_index_base_.kd
    .uniform_work_group_size: 1
    .uses_dynamic_stack: false
    .vgpr_count:     54
    .vgpr_spill_count: 0
    .wavefront_size: 32
  - .args:
      - .offset:         0
        .size:           4
        .value_kind:     by_value
      - .offset:         4
        .size:           4
        .value_kind:     by_value
      - .offset:         8
        .size:           4
        .value_kind:     by_value
      - .actual_access:  read_only
        .address_space:  global
        .offset:         16
        .size:           8
        .value_kind:     global_buffer
      - .actual_access:  read_only
        .address_space:  global
        .offset:         24
        .size:           8
        .value_kind:     global_buffer
      - .address_space:  global
        .offset:         32
        .size:           8
        .value_kind:     global_buffer
      - .actual_access:  read_only
        .address_space:  global
        .offset:         40
        .size:           8
        .value_kind:     global_buffer
      - .address_space:  global
        .offset:         48
        .size:           8
        .value_kind:     global_buffer
      - .actual_access:  read_only
        .address_space:  global
        .offset:         56
        .size:           8
        .value_kind:     global_buffer
      - .address_space:  global
        .offset:         64
        .size:           8
        .value_kind:     global_buffer
      - .offset:         72
        .size:           4
        .value_kind:     by_value
    .group_segment_fixed_size: 576
    .kernarg_segment_align: 8
    .kernarg_segment_size: 76
    .language:       OpenCL C
    .language_version:
      - 2
      - 0
    .max_flat_workgroup_size: 4
    .name:           _ZN9rocsparseL26bsric0_2_8_unrolled_kernelILi4ELi32ELi2EdEEv20rocsparse_direction_iiPKiS3_PT2_S3_PiS3_S6_21rocsparse_index_base_
    .private_segment_fixed_size: 0
    .sgpr_count:     39
    .sgpr_spill_count: 0
    .symbol:         _ZN9rocsparseL26bsric0_2_8_unrolled_kernelILi4ELi32ELi2EdEEv20rocsparse_direction_iiPKiS3_PT2_S3_PiS3_S6_21rocsparse_index_base_.kd
    .uniform_work_group_size: 1
    .uses_dynamic_stack: false
    .vgpr_count:     42
    .vgpr_spill_count: 0
    .wavefront_size: 32
  - .args:
      - .offset:         0
        .size:           4
        .value_kind:     by_value
      - .offset:         4
        .size:           4
        .value_kind:     by_value
      - .offset:         8
        .size:           4
        .value_kind:     by_value
      - .actual_access:  read_only
        .address_space:  global
        .offset:         16
        .size:           8
        .value_kind:     global_buffer
      - .actual_access:  read_only
        .address_space:  global
        .offset:         24
        .size:           8
        .value_kind:     global_buffer
      - .address_space:  global
        .offset:         32
        .size:           8
        .value_kind:     global_buffer
      - .actual_access:  read_only
        .address_space:  global
        .offset:         40
        .size:           8
        .value_kind:     global_buffer
      - .address_space:  global
        .offset:         48
        .size:           8
        .value_kind:     global_buffer
      - .actual_access:  read_only
        .address_space:  global
        .offset:         56
        .size:           8
        .value_kind:     global_buffer
      - .address_space:  global
        .offset:         64
        .size:           8
        .value_kind:     global_buffer
      - .offset:         72
        .size:           4
        .value_kind:     by_value
    .group_segment_fixed_size: 768
    .kernarg_segment_align: 8
    .kernarg_segment_size: 76
    .language:       OpenCL C
    .language_version:
      - 2
      - 0
    .max_flat_workgroup_size: 9
    .name:           _ZN9rocsparseL26bsric0_2_8_unrolled_kernelILi9ELi32ELi3EdEEv20rocsparse_direction_iiPKiS3_PT2_S3_PiS3_S6_21rocsparse_index_base_
    .private_segment_fixed_size: 0
    .sgpr_count:     39
    .sgpr_spill_count: 0
    .symbol:         _ZN9rocsparseL26bsric0_2_8_unrolled_kernelILi9ELi32ELi3EdEEv20rocsparse_direction_iiPKiS3_PT2_S3_PiS3_S6_21rocsparse_index_base_.kd
    .uniform_work_group_size: 1
    .uses_dynamic_stack: false
    .vgpr_count:     44
    .vgpr_spill_count: 0
    .wavefront_size: 32
  - .args:
      - .offset:         0
        .size:           4
        .value_kind:     by_value
      - .offset:         4
        .size:           4
        .value_kind:     by_value
      - .offset:         8
        .size:           4
        .value_kind:     by_value
      - .actual_access:  read_only
        .address_space:  global
        .offset:         16
        .size:           8
        .value_kind:     global_buffer
      - .actual_access:  read_only
        .address_space:  global
        .offset:         24
        .size:           8
        .value_kind:     global_buffer
      - .address_space:  global
        .offset:         32
        .size:           8
        .value_kind:     global_buffer
      - .actual_access:  read_only
        .address_space:  global
        .offset:         40
        .size:           8
        .value_kind:     global_buffer
      - .address_space:  global
        .offset:         48
        .size:           8
        .value_kind:     global_buffer
      - .actual_access:  read_only
        .address_space:  global
        .offset:         56
        .size:           8
        .value_kind:     global_buffer
      - .address_space:  global
        .offset:         64
        .size:           8
        .value_kind:     global_buffer
      - .offset:         72
        .size:           4
        .value_kind:     by_value
    .group_segment_fixed_size: 1024
    .kernarg_segment_align: 8
    .kernarg_segment_size: 76
    .language:       OpenCL C
    .language_version:
      - 2
      - 0
    .max_flat_workgroup_size: 16
    .name:           _ZN9rocsparseL26bsric0_2_8_unrolled_kernelILi16ELi32ELi4EdEEv20rocsparse_direction_iiPKiS3_PT2_S3_PiS3_S6_21rocsparse_index_base_
    .private_segment_fixed_size: 0
    .sgpr_count:     39
    .sgpr_spill_count: 0
    .symbol:         _ZN9rocsparseL26bsric0_2_8_unrolled_kernelILi16ELi32ELi4EdEEv20rocsparse_direction_iiPKiS3_PT2_S3_PiS3_S6_21rocsparse_index_base_.kd
    .uniform_work_group_size: 1
    .uses_dynamic_stack: false
    .vgpr_count:     42
    .vgpr_spill_count: 0
    .wavefront_size: 32
  - .args:
      - .offset:         0
        .size:           4
        .value_kind:     by_value
      - .offset:         4
        .size:           4
        .value_kind:     by_value
      - .offset:         8
        .size:           4
        .value_kind:     by_value
      - .actual_access:  read_only
        .address_space:  global
        .offset:         16
        .size:           8
        .value_kind:     global_buffer
      - .actual_access:  read_only
        .address_space:  global
        .offset:         24
        .size:           8
        .value_kind:     global_buffer
      - .address_space:  global
        .offset:         32
        .size:           8
        .value_kind:     global_buffer
      - .actual_access:  read_only
        .address_space:  global
        .offset:         40
        .size:           8
        .value_kind:     global_buffer
      - .address_space:  global
        .offset:         48
        .size:           8
        .value_kind:     global_buffer
      - .actual_access:  read_only
        .address_space:  global
        .offset:         56
        .size:           8
        .value_kind:     global_buffer
      - .address_space:  global
        .offset:         64
        .size:           8
        .value_kind:     global_buffer
      - .offset:         72
        .size:           4
        .value_kind:     by_value
    .group_segment_fixed_size: 1344
    .kernarg_segment_align: 8
    .kernarg_segment_size: 76
    .language:       OpenCL C
    .language_version:
      - 2
      - 0
    .max_flat_workgroup_size: 25
    .name:           _ZN9rocsparseL26bsric0_2_8_unrolled_kernelILi25ELi32ELi5EdEEv20rocsparse_direction_iiPKiS3_PT2_S3_PiS3_S6_21rocsparse_index_base_
    .private_segment_fixed_size: 0
    .sgpr_count:     39
    .sgpr_spill_count: 0
    .symbol:         _ZN9rocsparseL26bsric0_2_8_unrolled_kernelILi25ELi32ELi5EdEEv20rocsparse_direction_iiPKiS3_PT2_S3_PiS3_S6_21rocsparse_index_base_.kd
    .uniform_work_group_size: 1
    .uses_dynamic_stack: false
    .vgpr_count:     48
    .vgpr_spill_count: 0
    .wavefront_size: 32
  - .args:
      - .offset:         0
        .size:           4
        .value_kind:     by_value
      - .offset:         4
        .size:           4
        .value_kind:     by_value
      - .offset:         8
        .size:           4
        .value_kind:     by_value
      - .actual_access:  read_only
        .address_space:  global
        .offset:         16
        .size:           8
        .value_kind:     global_buffer
      - .actual_access:  read_only
        .address_space:  global
        .offset:         24
        .size:           8
        .value_kind:     global_buffer
      - .address_space:  global
        .offset:         32
        .size:           8
        .value_kind:     global_buffer
      - .actual_access:  read_only
        .address_space:  global
        .offset:         40
        .size:           8
        .value_kind:     global_buffer
      - .address_space:  global
        .offset:         48
        .size:           8
        .value_kind:     global_buffer
      - .actual_access:  read_only
        .address_space:  global
        .offset:         56
        .size:           8
        .value_kind:     global_buffer
      - .address_space:  global
        .offset:         64
        .size:           8
        .value_kind:     global_buffer
      - .offset:         72
        .size:           4
        .value_kind:     by_value
    .group_segment_fixed_size: 1728
    .kernarg_segment_align: 8
    .kernarg_segment_size: 76
    .language:       OpenCL C
    .language_version:
      - 2
      - 0
    .max_flat_workgroup_size: 36
    .name:           _ZN9rocsparseL26bsric0_2_8_unrolled_kernelILi36ELi32ELi6EdEEv20rocsparse_direction_iiPKiS3_PT2_S3_PiS3_S6_21rocsparse_index_base_
    .private_segment_fixed_size: 0
    .sgpr_count:     39
    .sgpr_spill_count: 0
    .symbol:         _ZN9rocsparseL26bsric0_2_8_unrolled_kernelILi36ELi32ELi6EdEEv20rocsparse_direction_iiPKiS3_PT2_S3_PiS3_S6_21rocsparse_index_base_.kd
    .uniform_work_group_size: 1
    .uses_dynamic_stack: false
    .vgpr_count:     48
    .vgpr_spill_count: 0
    .wavefront_size: 32
  - .args:
      - .offset:         0
        .size:           4
        .value_kind:     by_value
      - .offset:         4
        .size:           4
        .value_kind:     by_value
      - .offset:         8
        .size:           4
        .value_kind:     by_value
      - .actual_access:  read_only
        .address_space:  global
        .offset:         16
        .size:           8
        .value_kind:     global_buffer
      - .actual_access:  read_only
        .address_space:  global
        .offset:         24
        .size:           8
        .value_kind:     global_buffer
      - .address_space:  global
        .offset:         32
        .size:           8
        .value_kind:     global_buffer
      - .actual_access:  read_only
        .address_space:  global
        .offset:         40
        .size:           8
        .value_kind:     global_buffer
      - .address_space:  global
        .offset:         48
        .size:           8
        .value_kind:     global_buffer
      - .actual_access:  read_only
        .address_space:  global
        .offset:         56
        .size:           8
        .value_kind:     global_buffer
      - .address_space:  global
        .offset:         64
        .size:           8
        .value_kind:     global_buffer
      - .offset:         72
        .size:           4
        .value_kind:     by_value
    .group_segment_fixed_size: 2176
    .kernarg_segment_align: 8
    .kernarg_segment_size: 76
    .language:       OpenCL C
    .language_version:
      - 2
      - 0
    .max_flat_workgroup_size: 49
    .name:           _ZN9rocsparseL26bsric0_2_8_unrolled_kernelILi49ELi32ELi7EdEEv20rocsparse_direction_iiPKiS3_PT2_S3_PiS3_S6_21rocsparse_index_base_
    .private_segment_fixed_size: 0
    .sgpr_count:     39
    .sgpr_spill_count: 0
    .symbol:         _ZN9rocsparseL26bsric0_2_8_unrolled_kernelILi49ELi32ELi7EdEEv20rocsparse_direction_iiPKiS3_PT2_S3_PiS3_S6_21rocsparse_index_base_.kd
    .uniform_work_group_size: 1
    .uses_dynamic_stack: false
    .vgpr_count:     56
    .vgpr_spill_count: 0
    .wavefront_size: 32
  - .args:
      - .offset:         0
        .size:           4
        .value_kind:     by_value
      - .offset:         4
        .size:           4
        .value_kind:     by_value
      - .offset:         8
        .size:           4
        .value_kind:     by_value
      - .actual_access:  read_only
        .address_space:  global
        .offset:         16
        .size:           8
        .value_kind:     global_buffer
      - .actual_access:  read_only
        .address_space:  global
        .offset:         24
        .size:           8
        .value_kind:     global_buffer
      - .address_space:  global
        .offset:         32
        .size:           8
        .value_kind:     global_buffer
      - .actual_access:  read_only
        .address_space:  global
        .offset:         40
        .size:           8
        .value_kind:     global_buffer
      - .address_space:  global
        .offset:         48
        .size:           8
        .value_kind:     global_buffer
      - .actual_access:  read_only
        .address_space:  global
        .offset:         56
        .size:           8
        .value_kind:     global_buffer
      - .address_space:  global
        .offset:         64
        .size:           8
        .value_kind:     global_buffer
      - .offset:         72
        .size:           4
        .value_kind:     by_value
    .group_segment_fixed_size: 2688
    .kernarg_segment_align: 8
    .kernarg_segment_size: 76
    .language:       OpenCL C
    .language_version:
      - 2
      - 0
    .max_flat_workgroup_size: 64
    .name:           _ZN9rocsparseL26bsric0_2_8_unrolled_kernelILi64ELi32ELi8EdEEv20rocsparse_direction_iiPKiS3_PT2_S3_PiS3_S6_21rocsparse_index_base_
    .private_segment_fixed_size: 0
    .sgpr_count:     39
    .sgpr_spill_count: 0
    .symbol:         _ZN9rocsparseL26bsric0_2_8_unrolled_kernelILi64ELi32ELi8EdEEv20rocsparse_direction_iiPKiS3_PT2_S3_PiS3_S6_21rocsparse_index_base_.kd
    .uniform_work_group_size: 1
    .uses_dynamic_stack: false
    .vgpr_count:     58
    .vgpr_spill_count: 0
    .wavefront_size: 32
  - .args:
      - .offset:         0
        .size:           4
        .value_kind:     by_value
      - .offset:         4
        .size:           4
        .value_kind:     by_value
      - .offset:         8
        .size:           4
        .value_kind:     by_value
      - .actual_access:  read_only
        .address_space:  global
        .offset:         16
        .size:           8
        .value_kind:     global_buffer
      - .actual_access:  read_only
        .address_space:  global
        .offset:         24
        .size:           8
        .value_kind:     global_buffer
      - .address_space:  global
        .offset:         32
        .size:           8
        .value_kind:     global_buffer
      - .actual_access:  read_only
        .address_space:  global
        .offset:         40
        .size:           8
        .value_kind:     global_buffer
      - .address_space:  global
        .offset:         48
        .size:           8
        .value_kind:     global_buffer
      - .actual_access:  read_only
        .address_space:  global
        .offset:         56
        .size:           8
        .value_kind:     global_buffer
      - .address_space:  global
        .offset:         64
        .size:           8
        .value_kind:     global_buffer
      - .offset:         72
        .size:           4
        .value_kind:     by_value
    .group_segment_fixed_size: 9088
    .kernarg_segment_align: 8
    .kernarg_segment_size: 76
    .language:       OpenCL C
    .language_version:
      - 2
      - 0
    .max_flat_workgroup_size: 64
    .name:           _ZN9rocsparseL18bsric0_9_16_kernelILi64ELi32ELi16EdEEv20rocsparse_direction_iiPKiS3_PT2_S3_PiS3_S6_21rocsparse_index_base_
    .private_segment_fixed_size: 0
    .sgpr_count:     46
    .sgpr_spill_count: 0
    .symbol:         _ZN9rocsparseL18bsric0_9_16_kernelILi64ELi32ELi16EdEEv20rocsparse_direction_iiPKiS3_PT2_S3_PiS3_S6_21rocsparse_index_base_.kd
    .uniform_work_group_size: 1
    .uses_dynamic_stack: false
    .vgpr_count:     32
    .vgpr_spill_count: 0
    .wavefront_size: 32
  - .args:
      - .offset:         0
        .size:           4
        .value_kind:     by_value
      - .offset:         4
        .size:           4
        .value_kind:     by_value
      - .offset:         8
        .size:           4
        .value_kind:     by_value
      - .actual_access:  read_only
        .address_space:  global
        .offset:         16
        .size:           8
        .value_kind:     global_buffer
      - .actual_access:  read_only
        .address_space:  global
        .offset:         24
        .size:           8
        .value_kind:     global_buffer
      - .address_space:  global
        .offset:         32
        .size:           8
        .value_kind:     global_buffer
      - .actual_access:  read_only
        .address_space:  global
        .offset:         40
        .size:           8
        .value_kind:     global_buffer
      - .address_space:  global
        .offset:         48
        .size:           8
        .value_kind:     global_buffer
      - .actual_access:  read_only
        .address_space:  global
        .offset:         56
        .size:           8
        .value_kind:     global_buffer
      - .address_space:  global
        .offset:         64
        .size:           8
        .value_kind:     global_buffer
      - .offset:         72
        .size:           4
        .value_kind:     by_value
    .group_segment_fixed_size: 25728
    .kernarg_segment_align: 8
    .kernarg_segment_size: 76
    .language:       OpenCL C
    .language_version:
      - 2
      - 0
    .max_flat_workgroup_size: 64
    .name:           _ZN9rocsparseL19bsric0_17_32_kernelILi64ELi32ELi32EdEEv20rocsparse_direction_iiPKiS3_PT2_S3_PiS3_S6_21rocsparse_index_base_
    .private_segment_fixed_size: 0
    .sgpr_count:     47
    .sgpr_spill_count: 0
    .symbol:         _ZN9rocsparseL19bsric0_17_32_kernelILi64ELi32ELi32EdEEv20rocsparse_direction_iiPKiS3_PT2_S3_PiS3_S6_21rocsparse_index_base_.kd
    .uniform_work_group_size: 1
    .uses_dynamic_stack: false
    .vgpr_count:     30
    .vgpr_spill_count: 0
    .wavefront_size: 32
  - .args:
      - .offset:         0
        .size:           4
        .value_kind:     by_value
      - .offset:         4
        .size:           4
        .value_kind:     by_value
      - .offset:         8
        .size:           4
        .value_kind:     by_value
      - .actual_access:  read_only
        .address_space:  global
        .offset:         16
        .size:           8
        .value_kind:     global_buffer
      - .actual_access:  read_only
        .address_space:  global
        .offset:         24
        .size:           8
        .value_kind:     global_buffer
      - .address_space:  global
        .offset:         32
        .size:           8
        .value_kind:     global_buffer
      - .actual_access:  read_only
        .address_space:  global
        .offset:         40
        .size:           8
        .value_kind:     global_buffer
      - .address_space:  global
        .offset:         48
        .size:           8
        .value_kind:     global_buffer
      - .actual_access:  read_only
        .address_space:  global
        .offset:         56
        .size:           8
        .value_kind:     global_buffer
      - .address_space:  global
        .offset:         64
        .size:           8
        .value_kind:     global_buffer
      - .offset:         72
        .size:           4
        .value_kind:     by_value
    .group_segment_fixed_size: 0
    .kernarg_segment_align: 8
    .kernarg_segment_size: 76
    .language:       OpenCL C
    .language_version:
      - 2
      - 0
    .max_flat_workgroup_size: 64
    .name:           _ZN9rocsparseL23bsric0_binsearch_kernelILj64ELj64ELb0EdEEv20rocsparse_direction_iiPKiS3_PT2_S3_PiS3_S6_21rocsparse_index_base_
    .private_segment_fixed_size: 0
    .sgpr_count:     39
    .sgpr_spill_count: 0
    .symbol:         _ZN9rocsparseL23bsric0_binsearch_kernelILj64ELj64ELb0EdEEv20rocsparse_direction_iiPKiS3_PT2_S3_PiS3_S6_21rocsparse_index_base_.kd
    .uniform_work_group_size: 1
    .uses_dynamic_stack: false
    .vgpr_count:     50
    .vgpr_spill_count: 0
    .wavefront_size: 32
  - .args:
      - .offset:         0
        .size:           4
        .value_kind:     by_value
      - .offset:         4
        .size:           4
        .value_kind:     by_value
      - .offset:         8
        .size:           4
        .value_kind:     by_value
      - .actual_access:  read_only
        .address_space:  global
        .offset:         16
        .size:           8
        .value_kind:     global_buffer
      - .actual_access:  read_only
        .address_space:  global
        .offset:         24
        .size:           8
        .value_kind:     global_buffer
      - .address_space:  global
        .offset:         32
        .size:           8
        .value_kind:     global_buffer
      - .actual_access:  read_only
        .address_space:  global
        .offset:         40
        .size:           8
        .value_kind:     global_buffer
      - .address_space:  global
        .offset:         48
        .size:           8
        .value_kind:     global_buffer
      - .actual_access:  read_only
        .address_space:  global
        .offset:         56
        .size:           8
        .value_kind:     global_buffer
      - .address_space:  global
        .offset:         64
        .size:           8
        .value_kind:     global_buffer
      - .offset:         72
        .size:           4
        .value_kind:     by_value
    .group_segment_fixed_size: 3072
    .kernarg_segment_align: 8
    .kernarg_segment_size: 76
    .language:       OpenCL C
    .language_version:
      - 2
      - 0
    .max_flat_workgroup_size: 64
    .name:           _ZN9rocsparseL17bsric0_2_8_kernelILi64ELi64ELi8EdEEv20rocsparse_direction_iiPKiS3_PT2_S3_PiS3_S6_21rocsparse_index_base_
    .private_segment_fixed_size: 0
    .sgpr_count:     45
    .sgpr_spill_count: 0
    .symbol:         _ZN9rocsparseL17bsric0_2_8_kernelILi64ELi64ELi8EdEEv20rocsparse_direction_iiPKiS3_PT2_S3_PiS3_S6_21rocsparse_index_base_.kd
    .uniform_work_group_size: 1
    .uses_dynamic_stack: false
    .vgpr_count:     41
    .vgpr_spill_count: 0
    .wavefront_size: 32
  - .args:
      - .offset:         0
        .size:           4
        .value_kind:     by_value
      - .offset:         4
        .size:           4
        .value_kind:     by_value
      - .offset:         8
        .size:           4
        .value_kind:     by_value
      - .actual_access:  read_only
        .address_space:  global
        .offset:         16
        .size:           8
        .value_kind:     global_buffer
      - .actual_access:  read_only
        .address_space:  global
        .offset:         24
        .size:           8
        .value_kind:     global_buffer
      - .address_space:  global
        .offset:         32
        .size:           8
        .value_kind:     global_buffer
      - .actual_access:  read_only
        .address_space:  global
        .offset:         40
        .size:           8
        .value_kind:     global_buffer
      - .address_space:  global
        .offset:         48
        .size:           8
        .value_kind:     global_buffer
      - .actual_access:  read_only
        .address_space:  global
        .offset:         56
        .size:           8
        .value_kind:     global_buffer
      - .address_space:  global
        .offset:         64
        .size:           8
        .value_kind:     global_buffer
      - .offset:         72
        .size:           4
        .value_kind:     by_value
    .group_segment_fixed_size: 9472
    .kernarg_segment_align: 8
    .kernarg_segment_size: 76
    .language:       OpenCL C
    .language_version:
      - 2
      - 0
    .max_flat_workgroup_size: 64
    .name:           _ZN9rocsparseL18bsric0_9_16_kernelILi64ELi64ELi16EdEEv20rocsparse_direction_iiPKiS3_PT2_S3_PiS3_S6_21rocsparse_index_base_
    .private_segment_fixed_size: 0
    .sgpr_count:     46
    .sgpr_spill_count: 0
    .symbol:         _ZN9rocsparseL18bsric0_9_16_kernelILi64ELi64ELi16EdEEv20rocsparse_direction_iiPKiS3_PT2_S3_PiS3_S6_21rocsparse_index_base_.kd
    .uniform_work_group_size: 1
    .uses_dynamic_stack: false
    .vgpr_count:     32
    .vgpr_spill_count: 0
    .wavefront_size: 32
  - .args:
      - .offset:         0
        .size:           4
        .value_kind:     by_value
      - .offset:         4
        .size:           4
        .value_kind:     by_value
      - .offset:         8
        .size:           4
        .value_kind:     by_value
      - .actual_access:  read_only
        .address_space:  global
        .offset:         16
        .size:           8
        .value_kind:     global_buffer
      - .actual_access:  read_only
        .address_space:  global
        .offset:         24
        .size:           8
        .value_kind:     global_buffer
      - .address_space:  global
        .offset:         32
        .size:           8
        .value_kind:     global_buffer
      - .actual_access:  read_only
        .address_space:  global
        .offset:         40
        .size:           8
        .value_kind:     global_buffer
      - .address_space:  global
        .offset:         48
        .size:           8
        .value_kind:     global_buffer
      - .actual_access:  read_only
        .address_space:  global
        .offset:         56
        .size:           8
        .value_kind:     global_buffer
      - .address_space:  global
        .offset:         64
        .size:           8
        .value_kind:     global_buffer
      - .offset:         72
        .size:           4
        .value_kind:     by_value
    .group_segment_fixed_size: 26112
    .kernarg_segment_align: 8
    .kernarg_segment_size: 76
    .language:       OpenCL C
    .language_version:
      - 2
      - 0
    .max_flat_workgroup_size: 64
    .name:           _ZN9rocsparseL19bsric0_17_32_kernelILi64ELi64ELi32EdEEv20rocsparse_direction_iiPKiS3_PT2_S3_PiS3_S6_21rocsparse_index_base_
    .private_segment_fixed_size: 0
    .sgpr_count:     47
    .sgpr_spill_count: 0
    .symbol:         _ZN9rocsparseL19bsric0_17_32_kernelILi64ELi64ELi32EdEEv20rocsparse_direction_iiPKiS3_PT2_S3_PiS3_S6_21rocsparse_index_base_.kd
    .uniform_work_group_size: 1
    .uses_dynamic_stack: false
    .vgpr_count:     30
    .vgpr_spill_count: 0
    .wavefront_size: 32
  - .args:
      - .offset:         0
        .size:           4
        .value_kind:     by_value
      - .offset:         4
        .size:           4
        .value_kind:     by_value
      - .offset:         8
        .size:           4
        .value_kind:     by_value
      - .actual_access:  read_only
        .address_space:  global
        .offset:         16
        .size:           8
        .value_kind:     global_buffer
      - .actual_access:  read_only
        .address_space:  global
        .offset:         24
        .size:           8
        .value_kind:     global_buffer
      - .address_space:  global
        .offset:         32
        .size:           8
        .value_kind:     global_buffer
      - .actual_access:  read_only
        .address_space:  global
        .offset:         40
        .size:           8
        .value_kind:     global_buffer
      - .address_space:  global
        .offset:         48
        .size:           8
        .value_kind:     global_buffer
      - .actual_access:  read_only
        .address_space:  global
        .offset:         56
        .size:           8
        .value_kind:     global_buffer
      - .address_space:  global
        .offset:         64
        .size:           8
        .value_kind:     global_buffer
      - .offset:         72
        .size:           4
        .value_kind:     by_value
    .group_segment_fixed_size: 3840
    .kernarg_segment_align: 8
    .kernarg_segment_size: 76
    .language:       OpenCL C
    .language_version:
      - 2
      - 0
    .max_flat_workgroup_size: 64
    .name:           _ZN9rocsparseL17bsric0_2_8_kernelILi64ELi128ELi8EdEEv20rocsparse_direction_iiPKiS3_PT2_S3_PiS3_S6_21rocsparse_index_base_
    .private_segment_fixed_size: 0
    .sgpr_count:     45
    .sgpr_spill_count: 0
    .symbol:         _ZN9rocsparseL17bsric0_2_8_kernelILi64ELi128ELi8EdEEv20rocsparse_direction_iiPKiS3_PT2_S3_PiS3_S6_21rocsparse_index_base_.kd
    .uniform_work_group_size: 1
    .uses_dynamic_stack: false
    .vgpr_count:     41
    .vgpr_spill_count: 0
    .wavefront_size: 32
  - .args:
      - .offset:         0
        .size:           4
        .value_kind:     by_value
      - .offset:         4
        .size:           4
        .value_kind:     by_value
      - .offset:         8
        .size:           4
        .value_kind:     by_value
      - .actual_access:  read_only
        .address_space:  global
        .offset:         16
        .size:           8
        .value_kind:     global_buffer
      - .actual_access:  read_only
        .address_space:  global
        .offset:         24
        .size:           8
        .value_kind:     global_buffer
      - .address_space:  global
        .offset:         32
        .size:           8
        .value_kind:     global_buffer
      - .actual_access:  read_only
        .address_space:  global
        .offset:         40
        .size:           8
        .value_kind:     global_buffer
      - .address_space:  global
        .offset:         48
        .size:           8
        .value_kind:     global_buffer
      - .actual_access:  read_only
        .address_space:  global
        .offset:         56
        .size:           8
        .value_kind:     global_buffer
      - .address_space:  global
        .offset:         64
        .size:           8
        .value_kind:     global_buffer
      - .offset:         72
        .size:           4
        .value_kind:     by_value
    .group_segment_fixed_size: 10240
    .kernarg_segment_align: 8
    .kernarg_segment_size: 76
    .language:       OpenCL C
    .language_version:
      - 2
      - 0
    .max_flat_workgroup_size: 64
    .name:           _ZN9rocsparseL18bsric0_9_16_kernelILi64ELi128ELi16EdEEv20rocsparse_direction_iiPKiS3_PT2_S3_PiS3_S6_21rocsparse_index_base_
    .private_segment_fixed_size: 0
    .sgpr_count:     46
    .sgpr_spill_count: 0
    .symbol:         _ZN9rocsparseL18bsric0_9_16_kernelILi64ELi128ELi16EdEEv20rocsparse_direction_iiPKiS3_PT2_S3_PiS3_S6_21rocsparse_index_base_.kd
    .uniform_work_group_size: 1
    .uses_dynamic_stack: false
    .vgpr_count:     32
    .vgpr_spill_count: 0
    .wavefront_size: 32
  - .args:
      - .offset:         0
        .size:           4
        .value_kind:     by_value
      - .offset:         4
        .size:           4
        .value_kind:     by_value
      - .offset:         8
        .size:           4
        .value_kind:     by_value
      - .actual_access:  read_only
        .address_space:  global
        .offset:         16
        .size:           8
        .value_kind:     global_buffer
      - .actual_access:  read_only
        .address_space:  global
        .offset:         24
        .size:           8
        .value_kind:     global_buffer
      - .address_space:  global
        .offset:         32
        .size:           8
        .value_kind:     global_buffer
      - .actual_access:  read_only
        .address_space:  global
        .offset:         40
        .size:           8
        .value_kind:     global_buffer
      - .address_space:  global
        .offset:         48
        .size:           8
        .value_kind:     global_buffer
      - .actual_access:  read_only
        .address_space:  global
        .offset:         56
        .size:           8
        .value_kind:     global_buffer
      - .address_space:  global
        .offset:         64
        .size:           8
        .value_kind:     global_buffer
      - .offset:         72
        .size:           4
        .value_kind:     by_value
    .group_segment_fixed_size: 26880
    .kernarg_segment_align: 8
    .kernarg_segment_size: 76
    .language:       OpenCL C
    .language_version:
      - 2
      - 0
    .max_flat_workgroup_size: 64
    .name:           _ZN9rocsparseL19bsric0_17_32_kernelILi64ELi128ELi32EdEEv20rocsparse_direction_iiPKiS3_PT2_S3_PiS3_S6_21rocsparse_index_base_
    .private_segment_fixed_size: 0
    .sgpr_count:     47
    .sgpr_spill_count: 0
    .symbol:         _ZN9rocsparseL19bsric0_17_32_kernelILi64ELi128ELi32EdEEv20rocsparse_direction_iiPKiS3_PT2_S3_PiS3_S6_21rocsparse_index_base_.kd
    .uniform_work_group_size: 1
    .uses_dynamic_stack: false
    .vgpr_count:     30
    .vgpr_spill_count: 0
    .wavefront_size: 32
  - .args:
      - .offset:         0
        .size:           4
        .value_kind:     by_value
      - .offset:         4
        .size:           4
        .value_kind:     by_value
      - .offset:         8
        .size:           4
        .value_kind:     by_value
      - .actual_access:  read_only
        .address_space:  global
        .offset:         16
        .size:           8
        .value_kind:     global_buffer
      - .actual_access:  read_only
        .address_space:  global
        .offset:         24
        .size:           8
        .value_kind:     global_buffer
      - .address_space:  global
        .offset:         32
        .size:           8
        .value_kind:     global_buffer
      - .actual_access:  read_only
        .address_space:  global
        .offset:         40
        .size:           8
        .value_kind:     global_buffer
      - .address_space:  global
        .offset:         48
        .size:           8
        .value_kind:     global_buffer
      - .actual_access:  read_only
        .address_space:  global
        .offset:         56
        .size:           8
        .value_kind:     global_buffer
      - .address_space:  global
        .offset:         64
        .size:           8
        .value_kind:     global_buffer
      - .offset:         72
        .size:           4
        .value_kind:     by_value
    .group_segment_fixed_size: 0
    .kernarg_segment_align: 8
    .kernarg_segment_size: 76
    .language:       OpenCL C
    .language_version:
      - 2
      - 0
    .max_flat_workgroup_size: 32
    .name:           _ZN9rocsparseL23bsric0_binsearch_kernelILj32ELj32ELb0E21rocsparse_complex_numIfEEEv20rocsparse_direction_iiPKiS5_PT2_S5_PiS5_S8_21rocsparse_index_base_
    .private_segment_fixed_size: 0
    .sgpr_count:     39
    .sgpr_spill_count: 0
    .symbol:         _ZN9rocsparseL23bsric0_binsearch_kernelILj32ELj32ELb0E21rocsparse_complex_numIfEEEv20rocsparse_direction_iiPKiS5_PT2_S5_PiS5_S8_21rocsparse_index_base_.kd
    .uniform_work_group_size: 1
    .uses_dynamic_stack: false
    .vgpr_count:     50
    .vgpr_spill_count: 0
    .wavefront_size: 32
  - .args:
      - .offset:         0
        .size:           4
        .value_kind:     by_value
      - .offset:         4
        .size:           4
        .value_kind:     by_value
      - .offset:         8
        .size:           4
        .value_kind:     by_value
      - .actual_access:  read_only
        .address_space:  global
        .offset:         16
        .size:           8
        .value_kind:     global_buffer
      - .actual_access:  read_only
        .address_space:  global
        .offset:         24
        .size:           8
        .value_kind:     global_buffer
      - .address_space:  global
        .offset:         32
        .size:           8
        .value_kind:     global_buffer
      - .actual_access:  read_only
        .address_space:  global
        .offset:         40
        .size:           8
        .value_kind:     global_buffer
      - .address_space:  global
        .offset:         48
        .size:           8
        .value_kind:     global_buffer
      - .actual_access:  read_only
        .address_space:  global
        .offset:         56
        .size:           8
        .value_kind:     global_buffer
      - .address_space:  global
        .offset:         64
        .size:           8
        .value_kind:     global_buffer
      - .offset:         72
        .size:           4
        .value_kind:     by_value
    .group_segment_fixed_size: 0
    .kernarg_segment_align: 8
    .kernarg_segment_size: 76
    .language:       OpenCL C
    .language_version:
      - 2
      - 0
    .max_flat_workgroup_size: 64
    .name:           _ZN9rocsparseL23bsric0_binsearch_kernelILj64ELj64ELb1E21rocsparse_complex_numIfEEEv20rocsparse_direction_iiPKiS5_PT2_S5_PiS5_S8_21rocsparse_index_base_
    .private_segment_fixed_size: 0
    .sgpr_count:     39
    .sgpr_spill_count: 0
    .symbol:         _ZN9rocsparseL23bsric0_binsearch_kernelILj64ELj64ELb1E21rocsparse_complex_numIfEEEv20rocsparse_direction_iiPKiS5_PT2_S5_PiS5_S8_21rocsparse_index_base_.kd
    .uniform_work_group_size: 1
    .uses_dynamic_stack: false
    .vgpr_count:     50
    .vgpr_spill_count: 0
    .wavefront_size: 32
  - .args:
      - .offset:         0
        .size:           4
        .value_kind:     by_value
      - .offset:         4
        .size:           4
        .value_kind:     by_value
      - .offset:         8
        .size:           4
        .value_kind:     by_value
      - .actual_access:  read_only
        .address_space:  global
        .offset:         16
        .size:           8
        .value_kind:     global_buffer
      - .actual_access:  read_only
        .address_space:  global
        .offset:         24
        .size:           8
        .value_kind:     global_buffer
      - .address_space:  global
        .offset:         32
        .size:           8
        .value_kind:     global_buffer
      - .actual_access:  read_only
        .address_space:  global
        .offset:         40
        .size:           8
        .value_kind:     global_buffer
      - .address_space:  global
        .offset:         48
        .size:           8
        .value_kind:     global_buffer
      - .actual_access:  read_only
        .address_space:  global
        .offset:         56
        .size:           8
        .value_kind:     global_buffer
      - .address_space:  global
        .offset:         64
        .size:           8
        .value_kind:     global_buffer
      - .offset:         72
        .size:           4
        .value_kind:     by_value
    .group_segment_fixed_size: 448
    .kernarg_segment_align: 8
    .kernarg_segment_size: 76
    .language:       OpenCL C
    .language_version:
      - 2
      - 0
    .max_flat_workgroup_size: 1
    .name:           _ZN9rocsparseL26bsric0_2_8_unrolled_kernelILi1ELi32ELi1E21rocsparse_complex_numIfEEEv20rocsparse_direction_iiPKiS5_PT2_S5_PiS5_S8_21rocsparse_index_base_
    .private_segment_fixed_size: 0
    .sgpr_count:     56
    .sgpr_spill_count: 0
    .symbol:         _ZN9rocsparseL26bsric0_2_8_unrolled_kernelILi1ELi32ELi1E21rocsparse_complex_numIfEEEv20rocsparse_direction_iiPKiS5_PT2_S5_PiS5_S8_21rocsparse_index_base_.kd
    .uniform_work_group_size: 1
    .uses_dynamic_stack: false
    .vgpr_count:     54
    .vgpr_spill_count: 0
    .wavefront_size: 32
  - .args:
      - .offset:         0
        .size:           4
        .value_kind:     by_value
      - .offset:         4
        .size:           4
        .value_kind:     by_value
      - .offset:         8
        .size:           4
        .value_kind:     by_value
      - .actual_access:  read_only
        .address_space:  global
        .offset:         16
        .size:           8
        .value_kind:     global_buffer
      - .actual_access:  read_only
        .address_space:  global
        .offset:         24
        .size:           8
        .value_kind:     global_buffer
      - .address_space:  global
        .offset:         32
        .size:           8
        .value_kind:     global_buffer
      - .actual_access:  read_only
        .address_space:  global
        .offset:         40
        .size:           8
        .value_kind:     global_buffer
      - .address_space:  global
        .offset:         48
        .size:           8
        .value_kind:     global_buffer
      - .actual_access:  read_only
        .address_space:  global
        .offset:         56
        .size:           8
        .value_kind:     global_buffer
      - .address_space:  global
        .offset:         64
        .size:           8
        .value_kind:     global_buffer
      - .offset:         72
        .size:           4
        .value_kind:     by_value
    .group_segment_fixed_size: 576
    .kernarg_segment_align: 8
    .kernarg_segment_size: 76
    .language:       OpenCL C
    .language_version:
      - 2
      - 0
    .max_flat_workgroup_size: 4
    .name:           _ZN9rocsparseL26bsric0_2_8_unrolled_kernelILi4ELi32ELi2E21rocsparse_complex_numIfEEEv20rocsparse_direction_iiPKiS5_PT2_S5_PiS5_S8_21rocsparse_index_base_
    .private_segment_fixed_size: 0
    .sgpr_count:     39
    .sgpr_spill_count: 0
    .symbol:         _ZN9rocsparseL26bsric0_2_8_unrolled_kernelILi4ELi32ELi2E21rocsparse_complex_numIfEEEv20rocsparse_direction_iiPKiS5_PT2_S5_PiS5_S8_21rocsparse_index_base_.kd
    .uniform_work_group_size: 1
    .uses_dynamic_stack: false
    .vgpr_count:     42
    .vgpr_spill_count: 0
    .wavefront_size: 32
  - .args:
      - .offset:         0
        .size:           4
        .value_kind:     by_value
      - .offset:         4
        .size:           4
        .value_kind:     by_value
      - .offset:         8
        .size:           4
        .value_kind:     by_value
      - .actual_access:  read_only
        .address_space:  global
        .offset:         16
        .size:           8
        .value_kind:     global_buffer
      - .actual_access:  read_only
        .address_space:  global
        .offset:         24
        .size:           8
        .value_kind:     global_buffer
      - .address_space:  global
        .offset:         32
        .size:           8
        .value_kind:     global_buffer
      - .actual_access:  read_only
        .address_space:  global
        .offset:         40
        .size:           8
        .value_kind:     global_buffer
      - .address_space:  global
        .offset:         48
        .size:           8
        .value_kind:     global_buffer
      - .actual_access:  read_only
        .address_space:  global
        .offset:         56
        .size:           8
        .value_kind:     global_buffer
      - .address_space:  global
        .offset:         64
        .size:           8
        .value_kind:     global_buffer
      - .offset:         72
        .size:           4
        .value_kind:     by_value
    .group_segment_fixed_size: 768
    .kernarg_segment_align: 8
    .kernarg_segment_size: 76
    .language:       OpenCL C
    .language_version:
      - 2
      - 0
    .max_flat_workgroup_size: 9
    .name:           _ZN9rocsparseL26bsric0_2_8_unrolled_kernelILi9ELi32ELi3E21rocsparse_complex_numIfEEEv20rocsparse_direction_iiPKiS5_PT2_S5_PiS5_S8_21rocsparse_index_base_
    .private_segment_fixed_size: 0
    .sgpr_count:     39
    .sgpr_spill_count: 0
    .symbol:         _ZN9rocsparseL26bsric0_2_8_unrolled_kernelILi9ELi32ELi3E21rocsparse_complex_numIfEEEv20rocsparse_direction_iiPKiS5_PT2_S5_PiS5_S8_21rocsparse_index_base_.kd
    .uniform_work_group_size: 1
    .uses_dynamic_stack: false
    .vgpr_count:     44
    .vgpr_spill_count: 0
    .wavefront_size: 32
  - .args:
      - .offset:         0
        .size:           4
        .value_kind:     by_value
      - .offset:         4
        .size:           4
        .value_kind:     by_value
      - .offset:         8
        .size:           4
        .value_kind:     by_value
      - .actual_access:  read_only
        .address_space:  global
        .offset:         16
        .size:           8
        .value_kind:     global_buffer
      - .actual_access:  read_only
        .address_space:  global
        .offset:         24
        .size:           8
        .value_kind:     global_buffer
      - .address_space:  global
        .offset:         32
        .size:           8
        .value_kind:     global_buffer
      - .actual_access:  read_only
        .address_space:  global
        .offset:         40
        .size:           8
        .value_kind:     global_buffer
      - .address_space:  global
        .offset:         48
        .size:           8
        .value_kind:     global_buffer
      - .actual_access:  read_only
        .address_space:  global
        .offset:         56
        .size:           8
        .value_kind:     global_buffer
      - .address_space:  global
        .offset:         64
        .size:           8
        .value_kind:     global_buffer
      - .offset:         72
        .size:           4
        .value_kind:     by_value
    .group_segment_fixed_size: 1024
    .kernarg_segment_align: 8
    .kernarg_segment_size: 76
    .language:       OpenCL C
    .language_version:
      - 2
      - 0
    .max_flat_workgroup_size: 16
    .name:           _ZN9rocsparseL26bsric0_2_8_unrolled_kernelILi16ELi32ELi4E21rocsparse_complex_numIfEEEv20rocsparse_direction_iiPKiS5_PT2_S5_PiS5_S8_21rocsparse_index_base_
    .private_segment_fixed_size: 0
    .sgpr_count:     39
    .sgpr_spill_count: 0
    .symbol:         _ZN9rocsparseL26bsric0_2_8_unrolled_kernelILi16ELi32ELi4E21rocsparse_complex_numIfEEEv20rocsparse_direction_iiPKiS5_PT2_S5_PiS5_S8_21rocsparse_index_base_.kd
    .uniform_work_group_size: 1
    .uses_dynamic_stack: false
    .vgpr_count:     43
    .vgpr_spill_count: 0
    .wavefront_size: 32
  - .args:
      - .offset:         0
        .size:           4
        .value_kind:     by_value
      - .offset:         4
        .size:           4
        .value_kind:     by_value
      - .offset:         8
        .size:           4
        .value_kind:     by_value
      - .actual_access:  read_only
        .address_space:  global
        .offset:         16
        .size:           8
        .value_kind:     global_buffer
      - .actual_access:  read_only
        .address_space:  global
        .offset:         24
        .size:           8
        .value_kind:     global_buffer
      - .address_space:  global
        .offset:         32
        .size:           8
        .value_kind:     global_buffer
      - .actual_access:  read_only
        .address_space:  global
        .offset:         40
        .size:           8
        .value_kind:     global_buffer
      - .address_space:  global
        .offset:         48
        .size:           8
        .value_kind:     global_buffer
      - .actual_access:  read_only
        .address_space:  global
        .offset:         56
        .size:           8
        .value_kind:     global_buffer
      - .address_space:  global
        .offset:         64
        .size:           8
        .value_kind:     global_buffer
      - .offset:         72
        .size:           4
        .value_kind:     by_value
    .group_segment_fixed_size: 1344
    .kernarg_segment_align: 8
    .kernarg_segment_size: 76
    .language:       OpenCL C
    .language_version:
      - 2
      - 0
    .max_flat_workgroup_size: 25
    .name:           _ZN9rocsparseL26bsric0_2_8_unrolled_kernelILi25ELi32ELi5E21rocsparse_complex_numIfEEEv20rocsparse_direction_iiPKiS5_PT2_S5_PiS5_S8_21rocsparse_index_base_
    .private_segment_fixed_size: 0
    .sgpr_count:     39
    .sgpr_spill_count: 0
    .symbol:         _ZN9rocsparseL26bsric0_2_8_unrolled_kernelILi25ELi32ELi5E21rocsparse_complex_numIfEEEv20rocsparse_direction_iiPKiS5_PT2_S5_PiS5_S8_21rocsparse_index_base_.kd
    .uniform_work_group_size: 1
    .uses_dynamic_stack: false
    .vgpr_count:     48
    .vgpr_spill_count: 0
    .wavefront_size: 32
  - .args:
      - .offset:         0
        .size:           4
        .value_kind:     by_value
      - .offset:         4
        .size:           4
        .value_kind:     by_value
      - .offset:         8
        .size:           4
        .value_kind:     by_value
      - .actual_access:  read_only
        .address_space:  global
        .offset:         16
        .size:           8
        .value_kind:     global_buffer
      - .actual_access:  read_only
        .address_space:  global
        .offset:         24
        .size:           8
        .value_kind:     global_buffer
      - .address_space:  global
        .offset:         32
        .size:           8
        .value_kind:     global_buffer
      - .actual_access:  read_only
        .address_space:  global
        .offset:         40
        .size:           8
        .value_kind:     global_buffer
      - .address_space:  global
        .offset:         48
        .size:           8
        .value_kind:     global_buffer
      - .actual_access:  read_only
        .address_space:  global
        .offset:         56
        .size:           8
        .value_kind:     global_buffer
      - .address_space:  global
        .offset:         64
        .size:           8
        .value_kind:     global_buffer
      - .offset:         72
        .size:           4
        .value_kind:     by_value
    .group_segment_fixed_size: 1728
    .kernarg_segment_align: 8
    .kernarg_segment_size: 76
    .language:       OpenCL C
    .language_version:
      - 2
      - 0
    .max_flat_workgroup_size: 36
    .name:           _ZN9rocsparseL26bsric0_2_8_unrolled_kernelILi36ELi32ELi6E21rocsparse_complex_numIfEEEv20rocsparse_direction_iiPKiS5_PT2_S5_PiS5_S8_21rocsparse_index_base_
    .private_segment_fixed_size: 0
    .sgpr_count:     39
    .sgpr_spill_count: 0
    .symbol:         _ZN9rocsparseL26bsric0_2_8_unrolled_kernelILi36ELi32ELi6E21rocsparse_complex_numIfEEEv20rocsparse_direction_iiPKiS5_PT2_S5_PiS5_S8_21rocsparse_index_base_.kd
    .uniform_work_group_size: 1
    .uses_dynamic_stack: false
    .vgpr_count:     48
    .vgpr_spill_count: 0
    .wavefront_size: 32
  - .args:
      - .offset:         0
        .size:           4
        .value_kind:     by_value
      - .offset:         4
        .size:           4
        .value_kind:     by_value
      - .offset:         8
        .size:           4
        .value_kind:     by_value
      - .actual_access:  read_only
        .address_space:  global
        .offset:         16
        .size:           8
        .value_kind:     global_buffer
      - .actual_access:  read_only
        .address_space:  global
        .offset:         24
        .size:           8
        .value_kind:     global_buffer
      - .address_space:  global
        .offset:         32
        .size:           8
        .value_kind:     global_buffer
      - .actual_access:  read_only
        .address_space:  global
        .offset:         40
        .size:           8
        .value_kind:     global_buffer
      - .address_space:  global
        .offset:         48
        .size:           8
        .value_kind:     global_buffer
      - .actual_access:  read_only
        .address_space:  global
        .offset:         56
        .size:           8
        .value_kind:     global_buffer
      - .address_space:  global
        .offset:         64
        .size:           8
        .value_kind:     global_buffer
      - .offset:         72
        .size:           4
        .value_kind:     by_value
    .group_segment_fixed_size: 2176
    .kernarg_segment_align: 8
    .kernarg_segment_size: 76
    .language:       OpenCL C
    .language_version:
      - 2
      - 0
    .max_flat_workgroup_size: 49
    .name:           _ZN9rocsparseL26bsric0_2_8_unrolled_kernelILi49ELi32ELi7E21rocsparse_complex_numIfEEEv20rocsparse_direction_iiPKiS5_PT2_S5_PiS5_S8_21rocsparse_index_base_
    .private_segment_fixed_size: 0
    .sgpr_count:     39
    .sgpr_spill_count: 0
    .symbol:         _ZN9rocsparseL26bsric0_2_8_unrolled_kernelILi49ELi32ELi7E21rocsparse_complex_numIfEEEv20rocsparse_direction_iiPKiS5_PT2_S5_PiS5_S8_21rocsparse_index_base_.kd
    .uniform_work_group_size: 1
    .uses_dynamic_stack: false
    .vgpr_count:     56
    .vgpr_spill_count: 0
    .wavefront_size: 32
  - .args:
      - .offset:         0
        .size:           4
        .value_kind:     by_value
      - .offset:         4
        .size:           4
        .value_kind:     by_value
      - .offset:         8
        .size:           4
        .value_kind:     by_value
      - .actual_access:  read_only
        .address_space:  global
        .offset:         16
        .size:           8
        .value_kind:     global_buffer
      - .actual_access:  read_only
        .address_space:  global
        .offset:         24
        .size:           8
        .value_kind:     global_buffer
      - .address_space:  global
        .offset:         32
        .size:           8
        .value_kind:     global_buffer
      - .actual_access:  read_only
        .address_space:  global
        .offset:         40
        .size:           8
        .value_kind:     global_buffer
      - .address_space:  global
        .offset:         48
        .size:           8
        .value_kind:     global_buffer
      - .actual_access:  read_only
        .address_space:  global
        .offset:         56
        .size:           8
        .value_kind:     global_buffer
      - .address_space:  global
        .offset:         64
        .size:           8
        .value_kind:     global_buffer
      - .offset:         72
        .size:           4
        .value_kind:     by_value
    .group_segment_fixed_size: 2688
    .kernarg_segment_align: 8
    .kernarg_segment_size: 76
    .language:       OpenCL C
    .language_version:
      - 2
      - 0
    .max_flat_workgroup_size: 64
    .name:           _ZN9rocsparseL26bsric0_2_8_unrolled_kernelILi64ELi32ELi8E21rocsparse_complex_numIfEEEv20rocsparse_direction_iiPKiS5_PT2_S5_PiS5_S8_21rocsparse_index_base_
    .private_segment_fixed_size: 0
    .sgpr_count:     39
    .sgpr_spill_count: 0
    .symbol:         _ZN9rocsparseL26bsric0_2_8_unrolled_kernelILi64ELi32ELi8E21rocsparse_complex_numIfEEEv20rocsparse_direction_iiPKiS5_PT2_S5_PiS5_S8_21rocsparse_index_base_.kd
    .uniform_work_group_size: 1
    .uses_dynamic_stack: false
    .vgpr_count:     58
    .vgpr_spill_count: 0
    .wavefront_size: 32
  - .args:
      - .offset:         0
        .size:           4
        .value_kind:     by_value
      - .offset:         4
        .size:           4
        .value_kind:     by_value
      - .offset:         8
        .size:           4
        .value_kind:     by_value
      - .actual_access:  read_only
        .address_space:  global
        .offset:         16
        .size:           8
        .value_kind:     global_buffer
      - .actual_access:  read_only
        .address_space:  global
        .offset:         24
        .size:           8
        .value_kind:     global_buffer
      - .address_space:  global
        .offset:         32
        .size:           8
        .value_kind:     global_buffer
      - .actual_access:  read_only
        .address_space:  global
        .offset:         40
        .size:           8
        .value_kind:     global_buffer
      - .address_space:  global
        .offset:         48
        .size:           8
        .value_kind:     global_buffer
      - .actual_access:  read_only
        .address_space:  global
        .offset:         56
        .size:           8
        .value_kind:     global_buffer
      - .address_space:  global
        .offset:         64
        .size:           8
        .value_kind:     global_buffer
      - .offset:         72
        .size:           4
        .value_kind:     by_value
    .group_segment_fixed_size: 9088
    .kernarg_segment_align: 8
    .kernarg_segment_size: 76
    .language:       OpenCL C
    .language_version:
      - 2
      - 0
    .max_flat_workgroup_size: 64
    .name:           _ZN9rocsparseL18bsric0_9_16_kernelILi64ELi32ELi16E21rocsparse_complex_numIfEEEv20rocsparse_direction_iiPKiS5_PT2_S5_PiS5_S8_21rocsparse_index_base_
    .private_segment_fixed_size: 0
    .sgpr_count:     48
    .sgpr_spill_count: 0
    .symbol:         _ZN9rocsparseL18bsric0_9_16_kernelILi64ELi32ELi16E21rocsparse_complex_numIfEEEv20rocsparse_direction_iiPKiS5_PT2_S5_PiS5_S8_21rocsparse_index_base_.kd
    .uniform_work_group_size: 1
    .uses_dynamic_stack: false
    .vgpr_count:     46
    .vgpr_spill_count: 0
    .wavefront_size: 32
  - .args:
      - .offset:         0
        .size:           4
        .value_kind:     by_value
      - .offset:         4
        .size:           4
        .value_kind:     by_value
      - .offset:         8
        .size:           4
        .value_kind:     by_value
      - .actual_access:  read_only
        .address_space:  global
        .offset:         16
        .size:           8
        .value_kind:     global_buffer
      - .actual_access:  read_only
        .address_space:  global
        .offset:         24
        .size:           8
        .value_kind:     global_buffer
      - .address_space:  global
        .offset:         32
        .size:           8
        .value_kind:     global_buffer
      - .actual_access:  read_only
        .address_space:  global
        .offset:         40
        .size:           8
        .value_kind:     global_buffer
      - .address_space:  global
        .offset:         48
        .size:           8
        .value_kind:     global_buffer
      - .actual_access:  read_only
        .address_space:  global
        .offset:         56
        .size:           8
        .value_kind:     global_buffer
      - .address_space:  global
        .offset:         64
        .size:           8
        .value_kind:     global_buffer
      - .offset:         72
        .size:           4
        .value_kind:     by_value
    .group_segment_fixed_size: 25728
    .kernarg_segment_align: 8
    .kernarg_segment_size: 76
    .language:       OpenCL C
    .language_version:
      - 2
      - 0
    .max_flat_workgroup_size: 64
    .name:           _ZN9rocsparseL19bsric0_17_32_kernelILi64ELi32ELi32E21rocsparse_complex_numIfEEEv20rocsparse_direction_iiPKiS5_PT2_S5_PiS5_S8_21rocsparse_index_base_
    .private_segment_fixed_size: 0
    .sgpr_count:     49
    .sgpr_spill_count: 0
    .symbol:         _ZN9rocsparseL19bsric0_17_32_kernelILi64ELi32ELi32E21rocsparse_complex_numIfEEEv20rocsparse_direction_iiPKiS5_PT2_S5_PiS5_S8_21rocsparse_index_base_.kd
    .uniform_work_group_size: 1
    .uses_dynamic_stack: false
    .vgpr_count:     48
    .vgpr_spill_count: 0
    .wavefront_size: 32
  - .args:
      - .offset:         0
        .size:           4
        .value_kind:     by_value
      - .offset:         4
        .size:           4
        .value_kind:     by_value
      - .offset:         8
        .size:           4
        .value_kind:     by_value
      - .actual_access:  read_only
        .address_space:  global
        .offset:         16
        .size:           8
        .value_kind:     global_buffer
      - .actual_access:  read_only
        .address_space:  global
        .offset:         24
        .size:           8
        .value_kind:     global_buffer
      - .address_space:  global
        .offset:         32
        .size:           8
        .value_kind:     global_buffer
      - .actual_access:  read_only
        .address_space:  global
        .offset:         40
        .size:           8
        .value_kind:     global_buffer
      - .address_space:  global
        .offset:         48
        .size:           8
        .value_kind:     global_buffer
      - .actual_access:  read_only
        .address_space:  global
        .offset:         56
        .size:           8
        .value_kind:     global_buffer
      - .address_space:  global
        .offset:         64
        .size:           8
        .value_kind:     global_buffer
      - .offset:         72
        .size:           4
        .value_kind:     by_value
    .group_segment_fixed_size: 0
    .kernarg_segment_align: 8
    .kernarg_segment_size: 76
    .language:       OpenCL C
    .language_version:
      - 2
      - 0
    .max_flat_workgroup_size: 64
    .name:           _ZN9rocsparseL23bsric0_binsearch_kernelILj64ELj64ELb0E21rocsparse_complex_numIfEEEv20rocsparse_direction_iiPKiS5_PT2_S5_PiS5_S8_21rocsparse_index_base_
    .private_segment_fixed_size: 0
    .sgpr_count:     39
    .sgpr_spill_count: 0
    .symbol:         _ZN9rocsparseL23bsric0_binsearch_kernelILj64ELj64ELb0E21rocsparse_complex_numIfEEEv20rocsparse_direction_iiPKiS5_PT2_S5_PiS5_S8_21rocsparse_index_base_.kd
    .uniform_work_group_size: 1
    .uses_dynamic_stack: false
    .vgpr_count:     50
    .vgpr_spill_count: 0
    .wavefront_size: 32
  - .args:
      - .offset:         0
        .size:           4
        .value_kind:     by_value
      - .offset:         4
        .size:           4
        .value_kind:     by_value
      - .offset:         8
        .size:           4
        .value_kind:     by_value
      - .actual_access:  read_only
        .address_space:  global
        .offset:         16
        .size:           8
        .value_kind:     global_buffer
      - .actual_access:  read_only
        .address_space:  global
        .offset:         24
        .size:           8
        .value_kind:     global_buffer
      - .address_space:  global
        .offset:         32
        .size:           8
        .value_kind:     global_buffer
      - .actual_access:  read_only
        .address_space:  global
        .offset:         40
        .size:           8
        .value_kind:     global_buffer
      - .address_space:  global
        .offset:         48
        .size:           8
        .value_kind:     global_buffer
      - .actual_access:  read_only
        .address_space:  global
        .offset:         56
        .size:           8
        .value_kind:     global_buffer
      - .address_space:  global
        .offset:         64
        .size:           8
        .value_kind:     global_buffer
      - .offset:         72
        .size:           4
        .value_kind:     by_value
    .group_segment_fixed_size: 3072
    .kernarg_segment_align: 8
    .kernarg_segment_size: 76
    .language:       OpenCL C
    .language_version:
      - 2
      - 0
    .max_flat_workgroup_size: 64
    .name:           _ZN9rocsparseL17bsric0_2_8_kernelILi64ELi64ELi8E21rocsparse_complex_numIfEEEv20rocsparse_direction_iiPKiS5_PT2_S5_PiS5_S8_21rocsparse_index_base_
    .private_segment_fixed_size: 0
    .sgpr_count:     45
    .sgpr_spill_count: 0
    .symbol:         _ZN9rocsparseL17bsric0_2_8_kernelILi64ELi64ELi8E21rocsparse_complex_numIfEEEv20rocsparse_direction_iiPKiS5_PT2_S5_PiS5_S8_21rocsparse_index_base_.kd
    .uniform_work_group_size: 1
    .uses_dynamic_stack: false
    .vgpr_count:     41
    .vgpr_spill_count: 0
    .wavefront_size: 32
  - .args:
      - .offset:         0
        .size:           4
        .value_kind:     by_value
      - .offset:         4
        .size:           4
        .value_kind:     by_value
      - .offset:         8
        .size:           4
        .value_kind:     by_value
      - .actual_access:  read_only
        .address_space:  global
        .offset:         16
        .size:           8
        .value_kind:     global_buffer
      - .actual_access:  read_only
        .address_space:  global
        .offset:         24
        .size:           8
        .value_kind:     global_buffer
      - .address_space:  global
        .offset:         32
        .size:           8
        .value_kind:     global_buffer
      - .actual_access:  read_only
        .address_space:  global
        .offset:         40
        .size:           8
        .value_kind:     global_buffer
      - .address_space:  global
        .offset:         48
        .size:           8
        .value_kind:     global_buffer
      - .actual_access:  read_only
        .address_space:  global
        .offset:         56
        .size:           8
        .value_kind:     global_buffer
      - .address_space:  global
        .offset:         64
        .size:           8
        .value_kind:     global_buffer
      - .offset:         72
        .size:           4
        .value_kind:     by_value
    .group_segment_fixed_size: 9472
    .kernarg_segment_align: 8
    .kernarg_segment_size: 76
    .language:       OpenCL C
    .language_version:
      - 2
      - 0
    .max_flat_workgroup_size: 64
    .name:           _ZN9rocsparseL18bsric0_9_16_kernelILi64ELi64ELi16E21rocsparse_complex_numIfEEEv20rocsparse_direction_iiPKiS5_PT2_S5_PiS5_S8_21rocsparse_index_base_
    .private_segment_fixed_size: 0
    .sgpr_count:     48
    .sgpr_spill_count: 0
    .symbol:         _ZN9rocsparseL18bsric0_9_16_kernelILi64ELi64ELi16E21rocsparse_complex_numIfEEEv20rocsparse_direction_iiPKiS5_PT2_S5_PiS5_S8_21rocsparse_index_base_.kd
    .uniform_work_group_size: 1
    .uses_dynamic_stack: false
    .vgpr_count:     46
    .vgpr_spill_count: 0
    .wavefront_size: 32
  - .args:
      - .offset:         0
        .size:           4
        .value_kind:     by_value
      - .offset:         4
        .size:           4
        .value_kind:     by_value
      - .offset:         8
        .size:           4
        .value_kind:     by_value
      - .actual_access:  read_only
        .address_space:  global
        .offset:         16
        .size:           8
        .value_kind:     global_buffer
      - .actual_access:  read_only
        .address_space:  global
        .offset:         24
        .size:           8
        .value_kind:     global_buffer
      - .address_space:  global
        .offset:         32
        .size:           8
        .value_kind:     global_buffer
      - .actual_access:  read_only
        .address_space:  global
        .offset:         40
        .size:           8
        .value_kind:     global_buffer
      - .address_space:  global
        .offset:         48
        .size:           8
        .value_kind:     global_buffer
      - .actual_access:  read_only
        .address_space:  global
        .offset:         56
        .size:           8
        .value_kind:     global_buffer
      - .address_space:  global
        .offset:         64
        .size:           8
        .value_kind:     global_buffer
      - .offset:         72
        .size:           4
        .value_kind:     by_value
    .group_segment_fixed_size: 26112
    .kernarg_segment_align: 8
    .kernarg_segment_size: 76
    .language:       OpenCL C
    .language_version:
      - 2
      - 0
    .max_flat_workgroup_size: 64
    .name:           _ZN9rocsparseL19bsric0_17_32_kernelILi64ELi64ELi32E21rocsparse_complex_numIfEEEv20rocsparse_direction_iiPKiS5_PT2_S5_PiS5_S8_21rocsparse_index_base_
    .private_segment_fixed_size: 0
    .sgpr_count:     49
    .sgpr_spill_count: 0
    .symbol:         _ZN9rocsparseL19bsric0_17_32_kernelILi64ELi64ELi32E21rocsparse_complex_numIfEEEv20rocsparse_direction_iiPKiS5_PT2_S5_PiS5_S8_21rocsparse_index_base_.kd
    .uniform_work_group_size: 1
    .uses_dynamic_stack: false
    .vgpr_count:     48
    .vgpr_spill_count: 0
    .wavefront_size: 32
  - .args:
      - .offset:         0
        .size:           4
        .value_kind:     by_value
      - .offset:         4
        .size:           4
        .value_kind:     by_value
      - .offset:         8
        .size:           4
        .value_kind:     by_value
      - .actual_access:  read_only
        .address_space:  global
        .offset:         16
        .size:           8
        .value_kind:     global_buffer
      - .actual_access:  read_only
        .address_space:  global
        .offset:         24
        .size:           8
        .value_kind:     global_buffer
      - .address_space:  global
        .offset:         32
        .size:           8
        .value_kind:     global_buffer
      - .actual_access:  read_only
        .address_space:  global
        .offset:         40
        .size:           8
        .value_kind:     global_buffer
      - .address_space:  global
        .offset:         48
        .size:           8
        .value_kind:     global_buffer
      - .actual_access:  read_only
        .address_space:  global
        .offset:         56
        .size:           8
        .value_kind:     global_buffer
      - .address_space:  global
        .offset:         64
        .size:           8
        .value_kind:     global_buffer
      - .offset:         72
        .size:           4
        .value_kind:     by_value
    .group_segment_fixed_size: 3840
    .kernarg_segment_align: 8
    .kernarg_segment_size: 76
    .language:       OpenCL C
    .language_version:
      - 2
      - 0
    .max_flat_workgroup_size: 64
    .name:           _ZN9rocsparseL17bsric0_2_8_kernelILi64ELi128ELi8E21rocsparse_complex_numIfEEEv20rocsparse_direction_iiPKiS5_PT2_S5_PiS5_S8_21rocsparse_index_base_
    .private_segment_fixed_size: 0
    .sgpr_count:     45
    .sgpr_spill_count: 0
    .symbol:         _ZN9rocsparseL17bsric0_2_8_kernelILi64ELi128ELi8E21rocsparse_complex_numIfEEEv20rocsparse_direction_iiPKiS5_PT2_S5_PiS5_S8_21rocsparse_index_base_.kd
    .uniform_work_group_size: 1
    .uses_dynamic_stack: false
    .vgpr_count:     41
    .vgpr_spill_count: 0
    .wavefront_size: 32
  - .args:
      - .offset:         0
        .size:           4
        .value_kind:     by_value
      - .offset:         4
        .size:           4
        .value_kind:     by_value
      - .offset:         8
        .size:           4
        .value_kind:     by_value
      - .actual_access:  read_only
        .address_space:  global
        .offset:         16
        .size:           8
        .value_kind:     global_buffer
      - .actual_access:  read_only
        .address_space:  global
        .offset:         24
        .size:           8
        .value_kind:     global_buffer
      - .address_space:  global
        .offset:         32
        .size:           8
        .value_kind:     global_buffer
      - .actual_access:  read_only
        .address_space:  global
        .offset:         40
        .size:           8
        .value_kind:     global_buffer
      - .address_space:  global
        .offset:         48
        .size:           8
        .value_kind:     global_buffer
      - .actual_access:  read_only
        .address_space:  global
        .offset:         56
        .size:           8
        .value_kind:     global_buffer
      - .address_space:  global
        .offset:         64
        .size:           8
        .value_kind:     global_buffer
      - .offset:         72
        .size:           4
        .value_kind:     by_value
    .group_segment_fixed_size: 10240
    .kernarg_segment_align: 8
    .kernarg_segment_size: 76
    .language:       OpenCL C
    .language_version:
      - 2
      - 0
    .max_flat_workgroup_size: 64
    .name:           _ZN9rocsparseL18bsric0_9_16_kernelILi64ELi128ELi16E21rocsparse_complex_numIfEEEv20rocsparse_direction_iiPKiS5_PT2_S5_PiS5_S8_21rocsparse_index_base_
    .private_segment_fixed_size: 0
    .sgpr_count:     48
    .sgpr_spill_count: 0
    .symbol:         _ZN9rocsparseL18bsric0_9_16_kernelILi64ELi128ELi16E21rocsparse_complex_numIfEEEv20rocsparse_direction_iiPKiS5_PT2_S5_PiS5_S8_21rocsparse_index_base_.kd
    .uniform_work_group_size: 1
    .uses_dynamic_stack: false
    .vgpr_count:     46
    .vgpr_spill_count: 0
    .wavefront_size: 32
  - .args:
      - .offset:         0
        .size:           4
        .value_kind:     by_value
      - .offset:         4
        .size:           4
        .value_kind:     by_value
      - .offset:         8
        .size:           4
        .value_kind:     by_value
      - .actual_access:  read_only
        .address_space:  global
        .offset:         16
        .size:           8
        .value_kind:     global_buffer
      - .actual_access:  read_only
        .address_space:  global
        .offset:         24
        .size:           8
        .value_kind:     global_buffer
      - .address_space:  global
        .offset:         32
        .size:           8
        .value_kind:     global_buffer
      - .actual_access:  read_only
        .address_space:  global
        .offset:         40
        .size:           8
        .value_kind:     global_buffer
      - .address_space:  global
        .offset:         48
        .size:           8
        .value_kind:     global_buffer
      - .actual_access:  read_only
        .address_space:  global
        .offset:         56
        .size:           8
        .value_kind:     global_buffer
      - .address_space:  global
        .offset:         64
        .size:           8
        .value_kind:     global_buffer
      - .offset:         72
        .size:           4
        .value_kind:     by_value
    .group_segment_fixed_size: 26880
    .kernarg_segment_align: 8
    .kernarg_segment_size: 76
    .language:       OpenCL C
    .language_version:
      - 2
      - 0
    .max_flat_workgroup_size: 64
    .name:           _ZN9rocsparseL19bsric0_17_32_kernelILi64ELi128ELi32E21rocsparse_complex_numIfEEEv20rocsparse_direction_iiPKiS5_PT2_S5_PiS5_S8_21rocsparse_index_base_
    .private_segment_fixed_size: 0
    .sgpr_count:     49
    .sgpr_spill_count: 0
    .symbol:         _ZN9rocsparseL19bsric0_17_32_kernelILi64ELi128ELi32E21rocsparse_complex_numIfEEEv20rocsparse_direction_iiPKiS5_PT2_S5_PiS5_S8_21rocsparse_index_base_.kd
    .uniform_work_group_size: 1
    .uses_dynamic_stack: false
    .vgpr_count:     48
    .vgpr_spill_count: 0
    .wavefront_size: 32
  - .args:
      - .offset:         0
        .size:           4
        .value_kind:     by_value
      - .offset:         4
        .size:           4
        .value_kind:     by_value
      - .offset:         8
        .size:           4
        .value_kind:     by_value
      - .actual_access:  read_only
        .address_space:  global
        .offset:         16
        .size:           8
        .value_kind:     global_buffer
      - .actual_access:  read_only
        .address_space:  global
        .offset:         24
        .size:           8
        .value_kind:     global_buffer
      - .address_space:  global
        .offset:         32
        .size:           8
        .value_kind:     global_buffer
      - .actual_access:  read_only
        .address_space:  global
        .offset:         40
        .size:           8
        .value_kind:     global_buffer
      - .address_space:  global
        .offset:         48
        .size:           8
        .value_kind:     global_buffer
      - .actual_access:  read_only
        .address_space:  global
        .offset:         56
        .size:           8
        .value_kind:     global_buffer
      - .address_space:  global
        .offset:         64
        .size:           8
        .value_kind:     global_buffer
      - .offset:         72
        .size:           4
        .value_kind:     by_value
    .group_segment_fixed_size: 0
    .kernarg_segment_align: 8
    .kernarg_segment_size: 76
    .language:       OpenCL C
    .language_version:
      - 2
      - 0
    .max_flat_workgroup_size: 32
    .name:           _ZN9rocsparseL23bsric0_binsearch_kernelILj32ELj32ELb0E21rocsparse_complex_numIdEEEv20rocsparse_direction_iiPKiS5_PT2_S5_PiS5_S8_21rocsparse_index_base_
    .private_segment_fixed_size: 0
    .sgpr_count:     39
    .sgpr_spill_count: 0
    .symbol:         _ZN9rocsparseL23bsric0_binsearch_kernelILj32ELj32ELb0E21rocsparse_complex_numIdEEEv20rocsparse_direction_iiPKiS5_PT2_S5_PiS5_S8_21rocsparse_index_base_.kd
    .uniform_work_group_size: 1
    .uses_dynamic_stack: false
    .vgpr_count:     62
    .vgpr_spill_count: 0
    .wavefront_size: 32
  - .args:
      - .offset:         0
        .size:           4
        .value_kind:     by_value
      - .offset:         4
        .size:           4
        .value_kind:     by_value
      - .offset:         8
        .size:           4
        .value_kind:     by_value
      - .actual_access:  read_only
        .address_space:  global
        .offset:         16
        .size:           8
        .value_kind:     global_buffer
      - .actual_access:  read_only
        .address_space:  global
        .offset:         24
        .size:           8
        .value_kind:     global_buffer
      - .address_space:  global
        .offset:         32
        .size:           8
        .value_kind:     global_buffer
      - .actual_access:  read_only
        .address_space:  global
        .offset:         40
        .size:           8
        .value_kind:     global_buffer
      - .address_space:  global
        .offset:         48
        .size:           8
        .value_kind:     global_buffer
      - .actual_access:  read_only
        .address_space:  global
        .offset:         56
        .size:           8
        .value_kind:     global_buffer
      - .address_space:  global
        .offset:         64
        .size:           8
        .value_kind:     global_buffer
      - .offset:         72
        .size:           4
        .value_kind:     by_value
    .group_segment_fixed_size: 0
    .kernarg_segment_align: 8
    .kernarg_segment_size: 76
    .language:       OpenCL C
    .language_version:
      - 2
      - 0
    .max_flat_workgroup_size: 64
    .name:           _ZN9rocsparseL23bsric0_binsearch_kernelILj64ELj64ELb1E21rocsparse_complex_numIdEEEv20rocsparse_direction_iiPKiS5_PT2_S5_PiS5_S8_21rocsparse_index_base_
    .private_segment_fixed_size: 0
    .sgpr_count:     39
    .sgpr_spill_count: 0
    .symbol:         _ZN9rocsparseL23bsric0_binsearch_kernelILj64ELj64ELb1E21rocsparse_complex_numIdEEEv20rocsparse_direction_iiPKiS5_PT2_S5_PiS5_S8_21rocsparse_index_base_.kd
    .uniform_work_group_size: 1
    .uses_dynamic_stack: false
    .vgpr_count:     62
    .vgpr_spill_count: 0
    .wavefront_size: 32
  - .args:
      - .offset:         0
        .size:           4
        .value_kind:     by_value
      - .offset:         4
        .size:           4
        .value_kind:     by_value
      - .offset:         8
        .size:           4
        .value_kind:     by_value
      - .actual_access:  read_only
        .address_space:  global
        .offset:         16
        .size:           8
        .value_kind:     global_buffer
      - .actual_access:  read_only
        .address_space:  global
        .offset:         24
        .size:           8
        .value_kind:     global_buffer
      - .address_space:  global
        .offset:         32
        .size:           8
        .value_kind:     global_buffer
      - .actual_access:  read_only
        .address_space:  global
        .offset:         40
        .size:           8
        .value_kind:     global_buffer
      - .address_space:  global
        .offset:         48
        .size:           8
        .value_kind:     global_buffer
      - .actual_access:  read_only
        .address_space:  global
        .offset:         56
        .size:           8
        .value_kind:     global_buffer
      - .address_space:  global
        .offset:         64
        .size:           8
        .value_kind:     global_buffer
      - .offset:         72
        .size:           4
        .value_kind:     by_value
    .group_segment_fixed_size: 512
    .kernarg_segment_align: 8
    .kernarg_segment_size: 76
    .language:       OpenCL C
    .language_version:
      - 2
      - 0
    .max_flat_workgroup_size: 1
    .name:           _ZN9rocsparseL26bsric0_2_8_unrolled_kernelILi1ELi32ELi1E21rocsparse_complex_numIdEEEv20rocsparse_direction_iiPKiS5_PT2_S5_PiS5_S8_21rocsparse_index_base_
    .private_segment_fixed_size: 0
    .sgpr_count:     56
    .sgpr_spill_count: 0
    .symbol:         _ZN9rocsparseL26bsric0_2_8_unrolled_kernelILi1ELi32ELi1E21rocsparse_complex_numIdEEEv20rocsparse_direction_iiPKiS5_PT2_S5_PiS5_S8_21rocsparse_index_base_.kd
    .uniform_work_group_size: 1
    .uses_dynamic_stack: false
    .vgpr_count:     50
    .vgpr_spill_count: 0
    .wavefront_size: 32
  - .args:
      - .offset:         0
        .size:           4
        .value_kind:     by_value
      - .offset:         4
        .size:           4
        .value_kind:     by_value
      - .offset:         8
        .size:           4
        .value_kind:     by_value
      - .actual_access:  read_only
        .address_space:  global
        .offset:         16
        .size:           8
        .value_kind:     global_buffer
      - .actual_access:  read_only
        .address_space:  global
        .offset:         24
        .size:           8
        .value_kind:     global_buffer
      - .address_space:  global
        .offset:         32
        .size:           8
        .value_kind:     global_buffer
      - .actual_access:  read_only
        .address_space:  global
        .offset:         40
        .size:           8
        .value_kind:     global_buffer
      - .address_space:  global
        .offset:         48
        .size:           8
        .value_kind:     global_buffer
      - .actual_access:  read_only
        .address_space:  global
        .offset:         56
        .size:           8
        .value_kind:     global_buffer
      - .address_space:  global
        .offset:         64
        .size:           8
        .value_kind:     global_buffer
      - .offset:         72
        .size:           4
        .value_kind:     by_value
    .group_segment_fixed_size: 768
    .kernarg_segment_align: 8
    .kernarg_segment_size: 76
    .language:       OpenCL C
    .language_version:
      - 2
      - 0
    .max_flat_workgroup_size: 4
    .name:           _ZN9rocsparseL26bsric0_2_8_unrolled_kernelILi4ELi32ELi2E21rocsparse_complex_numIdEEEv20rocsparse_direction_iiPKiS5_PT2_S5_PiS5_S8_21rocsparse_index_base_
    .private_segment_fixed_size: 0
    .sgpr_count:     39
    .sgpr_spill_count: 0
    .symbol:         _ZN9rocsparseL26bsric0_2_8_unrolled_kernelILi4ELi32ELi2E21rocsparse_complex_numIdEEEv20rocsparse_direction_iiPKiS5_PT2_S5_PiS5_S8_21rocsparse_index_base_.kd
    .uniform_work_group_size: 1
    .uses_dynamic_stack: false
    .vgpr_count:     50
    .vgpr_spill_count: 0
    .wavefront_size: 32
  - .args:
      - .offset:         0
        .size:           4
        .value_kind:     by_value
      - .offset:         4
        .size:           4
        .value_kind:     by_value
      - .offset:         8
        .size:           4
        .value_kind:     by_value
      - .actual_access:  read_only
        .address_space:  global
        .offset:         16
        .size:           8
        .value_kind:     global_buffer
      - .actual_access:  read_only
        .address_space:  global
        .offset:         24
        .size:           8
        .value_kind:     global_buffer
      - .address_space:  global
        .offset:         32
        .size:           8
        .value_kind:     global_buffer
      - .actual_access:  read_only
        .address_space:  global
        .offset:         40
        .size:           8
        .value_kind:     global_buffer
      - .address_space:  global
        .offset:         48
        .size:           8
        .value_kind:     global_buffer
      - .actual_access:  read_only
        .address_space:  global
        .offset:         56
        .size:           8
        .value_kind:     global_buffer
      - .address_space:  global
        .offset:         64
        .size:           8
        .value_kind:     global_buffer
      - .offset:         72
        .size:           4
        .value_kind:     by_value
    .group_segment_fixed_size: 1152
    .kernarg_segment_align: 8
    .kernarg_segment_size: 76
    .language:       OpenCL C
    .language_version:
      - 2
      - 0
    .max_flat_workgroup_size: 9
    .name:           _ZN9rocsparseL26bsric0_2_8_unrolled_kernelILi9ELi32ELi3E21rocsparse_complex_numIdEEEv20rocsparse_direction_iiPKiS5_PT2_S5_PiS5_S8_21rocsparse_index_base_
    .private_segment_fixed_size: 0
    .sgpr_count:     39
    .sgpr_spill_count: 0
    .symbol:         _ZN9rocsparseL26bsric0_2_8_unrolled_kernelILi9ELi32ELi3E21rocsparse_complex_numIdEEEv20rocsparse_direction_iiPKiS5_PT2_S5_PiS5_S8_21rocsparse_index_base_.kd
    .uniform_work_group_size: 1
    .uses_dynamic_stack: false
    .vgpr_count:     52
    .vgpr_spill_count: 0
    .wavefront_size: 32
  - .args:
      - .offset:         0
        .size:           4
        .value_kind:     by_value
      - .offset:         4
        .size:           4
        .value_kind:     by_value
      - .offset:         8
        .size:           4
        .value_kind:     by_value
      - .actual_access:  read_only
        .address_space:  global
        .offset:         16
        .size:           8
        .value_kind:     global_buffer
      - .actual_access:  read_only
        .address_space:  global
        .offset:         24
        .size:           8
        .value_kind:     global_buffer
      - .address_space:  global
        .offset:         32
        .size:           8
        .value_kind:     global_buffer
      - .actual_access:  read_only
        .address_space:  global
        .offset:         40
        .size:           8
        .value_kind:     global_buffer
      - .address_space:  global
        .offset:         48
        .size:           8
        .value_kind:     global_buffer
      - .actual_access:  read_only
        .address_space:  global
        .offset:         56
        .size:           8
        .value_kind:     global_buffer
      - .address_space:  global
        .offset:         64
        .size:           8
        .value_kind:     global_buffer
      - .offset:         72
        .size:           4
        .value_kind:     by_value
    .group_segment_fixed_size: 1664
    .kernarg_segment_align: 8
    .kernarg_segment_size: 76
    .language:       OpenCL C
    .language_version:
      - 2
      - 0
    .max_flat_workgroup_size: 16
    .name:           _ZN9rocsparseL26bsric0_2_8_unrolled_kernelILi16ELi32ELi4E21rocsparse_complex_numIdEEEv20rocsparse_direction_iiPKiS5_PT2_S5_PiS5_S8_21rocsparse_index_base_
    .private_segment_fixed_size: 0
    .sgpr_count:     39
    .sgpr_spill_count: 0
    .symbol:         _ZN9rocsparseL26bsric0_2_8_unrolled_kernelILi16ELi32ELi4E21rocsparse_complex_numIdEEEv20rocsparse_direction_iiPKiS5_PT2_S5_PiS5_S8_21rocsparse_index_base_.kd
    .uniform_work_group_size: 1
    .uses_dynamic_stack: false
    .vgpr_count:     62
    .vgpr_spill_count: 0
    .wavefront_size: 32
  - .args:
      - .offset:         0
        .size:           4
        .value_kind:     by_value
      - .offset:         4
        .size:           4
        .value_kind:     by_value
      - .offset:         8
        .size:           4
        .value_kind:     by_value
      - .actual_access:  read_only
        .address_space:  global
        .offset:         16
        .size:           8
        .value_kind:     global_buffer
      - .actual_access:  read_only
        .address_space:  global
        .offset:         24
        .size:           8
        .value_kind:     global_buffer
      - .address_space:  global
        .offset:         32
        .size:           8
        .value_kind:     global_buffer
      - .actual_access:  read_only
        .address_space:  global
        .offset:         40
        .size:           8
        .value_kind:     global_buffer
      - .address_space:  global
        .offset:         48
        .size:           8
        .value_kind:     global_buffer
      - .actual_access:  read_only
        .address_space:  global
        .offset:         56
        .size:           8
        .value_kind:     global_buffer
      - .address_space:  global
        .offset:         64
        .size:           8
        .value_kind:     global_buffer
      - .offset:         72
        .size:           4
        .value_kind:     by_value
    .group_segment_fixed_size: 2304
    .kernarg_segment_align: 8
    .kernarg_segment_size: 76
    .language:       OpenCL C
    .language_version:
      - 2
      - 0
    .max_flat_workgroup_size: 25
    .name:           _ZN9rocsparseL26bsric0_2_8_unrolled_kernelILi25ELi32ELi5E21rocsparse_complex_numIdEEEv20rocsparse_direction_iiPKiS5_PT2_S5_PiS5_S8_21rocsparse_index_base_
    .private_segment_fixed_size: 0
    .sgpr_count:     39
    .sgpr_spill_count: 0
    .symbol:         _ZN9rocsparseL26bsric0_2_8_unrolled_kernelILi25ELi32ELi5E21rocsparse_complex_numIdEEEv20rocsparse_direction_iiPKiS5_PT2_S5_PiS5_S8_21rocsparse_index_base_.kd
    .uniform_work_group_size: 1
    .uses_dynamic_stack: false
    .vgpr_count:     68
    .vgpr_spill_count: 0
    .wavefront_size: 32
  - .args:
      - .offset:         0
        .size:           4
        .value_kind:     by_value
      - .offset:         4
        .size:           4
        .value_kind:     by_value
      - .offset:         8
        .size:           4
        .value_kind:     by_value
      - .actual_access:  read_only
        .address_space:  global
        .offset:         16
        .size:           8
        .value_kind:     global_buffer
      - .actual_access:  read_only
        .address_space:  global
        .offset:         24
        .size:           8
        .value_kind:     global_buffer
      - .address_space:  global
        .offset:         32
        .size:           8
        .value_kind:     global_buffer
      - .actual_access:  read_only
        .address_space:  global
        .offset:         40
        .size:           8
        .value_kind:     global_buffer
      - .address_space:  global
        .offset:         48
        .size:           8
        .value_kind:     global_buffer
      - .actual_access:  read_only
        .address_space:  global
        .offset:         56
        .size:           8
        .value_kind:     global_buffer
      - .address_space:  global
        .offset:         64
        .size:           8
        .value_kind:     global_buffer
      - .offset:         72
        .size:           4
        .value_kind:     by_value
    .group_segment_fixed_size: 3072
    .kernarg_segment_align: 8
    .kernarg_segment_size: 76
    .language:       OpenCL C
    .language_version:
      - 2
      - 0
    .max_flat_workgroup_size: 36
    .name:           _ZN9rocsparseL26bsric0_2_8_unrolled_kernelILi36ELi32ELi6E21rocsparse_complex_numIdEEEv20rocsparse_direction_iiPKiS5_PT2_S5_PiS5_S8_21rocsparse_index_base_
    .private_segment_fixed_size: 0
    .sgpr_count:     39
    .sgpr_spill_count: 0
    .symbol:         _ZN9rocsparseL26bsric0_2_8_unrolled_kernelILi36ELi32ELi6E21rocsparse_complex_numIdEEEv20rocsparse_direction_iiPKiS5_PT2_S5_PiS5_S8_21rocsparse_index_base_.kd
    .uniform_work_group_size: 1
    .uses_dynamic_stack: false
    .vgpr_count:     76
    .vgpr_spill_count: 0
    .wavefront_size: 32
  - .args:
      - .offset:         0
        .size:           4
        .value_kind:     by_value
      - .offset:         4
        .size:           4
        .value_kind:     by_value
      - .offset:         8
        .size:           4
        .value_kind:     by_value
      - .actual_access:  read_only
        .address_space:  global
        .offset:         16
        .size:           8
        .value_kind:     global_buffer
      - .actual_access:  read_only
        .address_space:  global
        .offset:         24
        .size:           8
        .value_kind:     global_buffer
      - .address_space:  global
        .offset:         32
        .size:           8
        .value_kind:     global_buffer
      - .actual_access:  read_only
        .address_space:  global
        .offset:         40
        .size:           8
        .value_kind:     global_buffer
      - .address_space:  global
        .offset:         48
        .size:           8
        .value_kind:     global_buffer
      - .actual_access:  read_only
        .address_space:  global
        .offset:         56
        .size:           8
        .value_kind:     global_buffer
      - .address_space:  global
        .offset:         64
        .size:           8
        .value_kind:     global_buffer
      - .offset:         72
        .size:           4
        .value_kind:     by_value
    .group_segment_fixed_size: 3968
    .kernarg_segment_align: 8
    .kernarg_segment_size: 76
    .language:       OpenCL C
    .language_version:
      - 2
      - 0
    .max_flat_workgroup_size: 49
    .name:           _ZN9rocsparseL26bsric0_2_8_unrolled_kernelILi49ELi32ELi7E21rocsparse_complex_numIdEEEv20rocsparse_direction_iiPKiS5_PT2_S5_PiS5_S8_21rocsparse_index_base_
    .private_segment_fixed_size: 0
    .sgpr_count:     39
    .sgpr_spill_count: 0
    .symbol:         _ZN9rocsparseL26bsric0_2_8_unrolled_kernelILi49ELi32ELi7E21rocsparse_complex_numIdEEEv20rocsparse_direction_iiPKiS5_PT2_S5_PiS5_S8_21rocsparse_index_base_.kd
    .uniform_work_group_size: 1
    .uses_dynamic_stack: false
    .vgpr_count:     78
    .vgpr_spill_count: 0
    .wavefront_size: 32
  - .args:
      - .offset:         0
        .size:           4
        .value_kind:     by_value
      - .offset:         4
        .size:           4
        .value_kind:     by_value
      - .offset:         8
        .size:           4
        .value_kind:     by_value
      - .actual_access:  read_only
        .address_space:  global
        .offset:         16
        .size:           8
        .value_kind:     global_buffer
      - .actual_access:  read_only
        .address_space:  global
        .offset:         24
        .size:           8
        .value_kind:     global_buffer
      - .address_space:  global
        .offset:         32
        .size:           8
        .value_kind:     global_buffer
      - .actual_access:  read_only
        .address_space:  global
        .offset:         40
        .size:           8
        .value_kind:     global_buffer
      - .address_space:  global
        .offset:         48
        .size:           8
        .value_kind:     global_buffer
      - .actual_access:  read_only
        .address_space:  global
        .offset:         56
        .size:           8
        .value_kind:     global_buffer
      - .address_space:  global
        .offset:         64
        .size:           8
        .value_kind:     global_buffer
      - .offset:         72
        .size:           4
        .value_kind:     by_value
    .group_segment_fixed_size: 4992
    .kernarg_segment_align: 8
    .kernarg_segment_size: 76
    .language:       OpenCL C
    .language_version:
      - 2
      - 0
    .max_flat_workgroup_size: 64
    .name:           _ZN9rocsparseL26bsric0_2_8_unrolled_kernelILi64ELi32ELi8E21rocsparse_complex_numIdEEEv20rocsparse_direction_iiPKiS5_PT2_S5_PiS5_S8_21rocsparse_index_base_
    .private_segment_fixed_size: 0
    .sgpr_count:     39
    .sgpr_spill_count: 0
    .symbol:         _ZN9rocsparseL26bsric0_2_8_unrolled_kernelILi64ELi32ELi8E21rocsparse_complex_numIdEEEv20rocsparse_direction_iiPKiS5_PT2_S5_PiS5_S8_21rocsparse_index_base_.kd
    .uniform_work_group_size: 1
    .uses_dynamic_stack: false
    .vgpr_count:     81
    .vgpr_spill_count: 0
    .wavefront_size: 32
  - .args:
      - .offset:         0
        .size:           4
        .value_kind:     by_value
      - .offset:         4
        .size:           4
        .value_kind:     by_value
      - .offset:         8
        .size:           4
        .value_kind:     by_value
      - .actual_access:  read_only
        .address_space:  global
        .offset:         16
        .size:           8
        .value_kind:     global_buffer
      - .actual_access:  read_only
        .address_space:  global
        .offset:         24
        .size:           8
        .value_kind:     global_buffer
      - .address_space:  global
        .offset:         32
        .size:           8
        .value_kind:     global_buffer
      - .actual_access:  read_only
        .address_space:  global
        .offset:         40
        .size:           8
        .value_kind:     global_buffer
      - .address_space:  global
        .offset:         48
        .size:           8
        .value_kind:     global_buffer
      - .actual_access:  read_only
        .address_space:  global
        .offset:         56
        .size:           8
        .value_kind:     global_buffer
      - .address_space:  global
        .offset:         64
        .size:           8
        .value_kind:     global_buffer
      - .offset:         72
        .size:           4
        .value_kind:     by_value
    .group_segment_fixed_size: 17792
    .kernarg_segment_align: 8
    .kernarg_segment_size: 76
    .language:       OpenCL C
    .language_version:
      - 2
      - 0
    .max_flat_workgroup_size: 64
    .name:           _ZN9rocsparseL18bsric0_9_16_kernelILi64ELi32ELi16E21rocsparse_complex_numIdEEEv20rocsparse_direction_iiPKiS5_PT2_S5_PiS5_S8_21rocsparse_index_base_
    .private_segment_fixed_size: 0
    .sgpr_count:     46
    .sgpr_spill_count: 0
    .symbol:         _ZN9rocsparseL18bsric0_9_16_kernelILi64ELi32ELi16E21rocsparse_complex_numIdEEEv20rocsparse_direction_iiPKiS5_PT2_S5_PiS5_S8_21rocsparse_index_base_.kd
    .uniform_work_group_size: 1
    .uses_dynamic_stack: false
    .vgpr_count:     42
    .vgpr_spill_count: 0
    .wavefront_size: 32
  - .args:
      - .offset:         0
        .size:           4
        .value_kind:     by_value
      - .offset:         4
        .size:           4
        .value_kind:     by_value
      - .offset:         8
        .size:           4
        .value_kind:     by_value
      - .actual_access:  read_only
        .address_space:  global
        .offset:         16
        .size:           8
        .value_kind:     global_buffer
      - .actual_access:  read_only
        .address_space:  global
        .offset:         24
        .size:           8
        .value_kind:     global_buffer
      - .address_space:  global
        .offset:         32
        .size:           8
        .value_kind:     global_buffer
      - .actual_access:  read_only
        .address_space:  global
        .offset:         40
        .size:           8
        .value_kind:     global_buffer
      - .address_space:  global
        .offset:         48
        .size:           8
        .value_kind:     global_buffer
      - .actual_access:  read_only
        .address_space:  global
        .offset:         56
        .size:           8
        .value_kind:     global_buffer
      - .address_space:  global
        .offset:         64
        .size:           8
        .value_kind:     global_buffer
      - .offset:         72
        .size:           4
        .value_kind:     by_value
    .group_segment_fixed_size: 51072
    .kernarg_segment_align: 8
    .kernarg_segment_size: 76
    .language:       OpenCL C
    .language_version:
      - 2
      - 0
    .max_flat_workgroup_size: 64
    .name:           _ZN9rocsparseL19bsric0_17_32_kernelILi64ELi32ELi32E21rocsparse_complex_numIdEEEv20rocsparse_direction_iiPKiS5_PT2_S5_PiS5_S8_21rocsparse_index_base_
    .private_segment_fixed_size: 0
    .sgpr_count:     47
    .sgpr_spill_count: 0
    .symbol:         _ZN9rocsparseL19bsric0_17_32_kernelILi64ELi32ELi32E21rocsparse_complex_numIdEEEv20rocsparse_direction_iiPKiS5_PT2_S5_PiS5_S8_21rocsparse_index_base_.kd
    .uniform_work_group_size: 1
    .uses_dynamic_stack: false
    .vgpr_count:     38
    .vgpr_spill_count: 0
    .wavefront_size: 32
  - .args:
      - .offset:         0
        .size:           4
        .value_kind:     by_value
      - .offset:         4
        .size:           4
        .value_kind:     by_value
      - .offset:         8
        .size:           4
        .value_kind:     by_value
      - .actual_access:  read_only
        .address_space:  global
        .offset:         16
        .size:           8
        .value_kind:     global_buffer
      - .actual_access:  read_only
        .address_space:  global
        .offset:         24
        .size:           8
        .value_kind:     global_buffer
      - .address_space:  global
        .offset:         32
        .size:           8
        .value_kind:     global_buffer
      - .actual_access:  read_only
        .address_space:  global
        .offset:         40
        .size:           8
        .value_kind:     global_buffer
      - .address_space:  global
        .offset:         48
        .size:           8
        .value_kind:     global_buffer
      - .actual_access:  read_only
        .address_space:  global
        .offset:         56
        .size:           8
        .value_kind:     global_buffer
      - .address_space:  global
        .offset:         64
        .size:           8
        .value_kind:     global_buffer
      - .offset:         72
        .size:           4
        .value_kind:     by_value
    .group_segment_fixed_size: 0
    .kernarg_segment_align: 8
    .kernarg_segment_size: 76
    .language:       OpenCL C
    .language_version:
      - 2
      - 0
    .max_flat_workgroup_size: 64
    .name:           _ZN9rocsparseL23bsric0_binsearch_kernelILj64ELj64ELb0E21rocsparse_complex_numIdEEEv20rocsparse_direction_iiPKiS5_PT2_S5_PiS5_S8_21rocsparse_index_base_
    .private_segment_fixed_size: 0
    .sgpr_count:     39
    .sgpr_spill_count: 0
    .symbol:         _ZN9rocsparseL23bsric0_binsearch_kernelILj64ELj64ELb0E21rocsparse_complex_numIdEEEv20rocsparse_direction_iiPKiS5_PT2_S5_PiS5_S8_21rocsparse_index_base_.kd
    .uniform_work_group_size: 1
    .uses_dynamic_stack: false
    .vgpr_count:     62
    .vgpr_spill_count: 0
    .wavefront_size: 32
  - .args:
      - .offset:         0
        .size:           4
        .value_kind:     by_value
      - .offset:         4
        .size:           4
        .value_kind:     by_value
      - .offset:         8
        .size:           4
        .value_kind:     by_value
      - .actual_access:  read_only
        .address_space:  global
        .offset:         16
        .size:           8
        .value_kind:     global_buffer
      - .actual_access:  read_only
        .address_space:  global
        .offset:         24
        .size:           8
        .value_kind:     global_buffer
      - .address_space:  global
        .offset:         32
        .size:           8
        .value_kind:     global_buffer
      - .actual_access:  read_only
        .address_space:  global
        .offset:         40
        .size:           8
        .value_kind:     global_buffer
      - .address_space:  global
        .offset:         48
        .size:           8
        .value_kind:     global_buffer
      - .actual_access:  read_only
        .address_space:  global
        .offset:         56
        .size:           8
        .value_kind:     global_buffer
      - .address_space:  global
        .offset:         64
        .size:           8
        .value_kind:     global_buffer
      - .offset:         72
        .size:           4
        .value_kind:     by_value
    .group_segment_fixed_size: 5376
    .kernarg_segment_align: 8
    .kernarg_segment_size: 76
    .language:       OpenCL C
    .language_version:
      - 2
      - 0
    .max_flat_workgroup_size: 64
    .name:           _ZN9rocsparseL17bsric0_2_8_kernelILi64ELi64ELi8E21rocsparse_complex_numIdEEEv20rocsparse_direction_iiPKiS5_PT2_S5_PiS5_S8_21rocsparse_index_base_
    .private_segment_fixed_size: 0
    .sgpr_count:     45
    .sgpr_spill_count: 0
    .symbol:         _ZN9rocsparseL17bsric0_2_8_kernelILi64ELi64ELi8E21rocsparse_complex_numIdEEEv20rocsparse_direction_iiPKiS5_PT2_S5_PiS5_S8_21rocsparse_index_base_.kd
    .uniform_work_group_size: 1
    .uses_dynamic_stack: false
    .vgpr_count:     40
    .vgpr_spill_count: 0
    .wavefront_size: 32
  - .args:
      - .offset:         0
        .size:           4
        .value_kind:     by_value
      - .offset:         4
        .size:           4
        .value_kind:     by_value
      - .offset:         8
        .size:           4
        .value_kind:     by_value
      - .actual_access:  read_only
        .address_space:  global
        .offset:         16
        .size:           8
        .value_kind:     global_buffer
      - .actual_access:  read_only
        .address_space:  global
        .offset:         24
        .size:           8
        .value_kind:     global_buffer
      - .address_space:  global
        .offset:         32
        .size:           8
        .value_kind:     global_buffer
      - .actual_access:  read_only
        .address_space:  global
        .offset:         40
        .size:           8
        .value_kind:     global_buffer
      - .address_space:  global
        .offset:         48
        .size:           8
        .value_kind:     global_buffer
      - .actual_access:  read_only
        .address_space:  global
        .offset:         56
        .size:           8
        .value_kind:     global_buffer
      - .address_space:  global
        .offset:         64
        .size:           8
        .value_kind:     global_buffer
      - .offset:         72
        .size:           4
        .value_kind:     by_value
    .group_segment_fixed_size: 18176
    .kernarg_segment_align: 8
    .kernarg_segment_size: 76
    .language:       OpenCL C
    .language_version:
      - 2
      - 0
    .max_flat_workgroup_size: 64
    .name:           _ZN9rocsparseL18bsric0_9_16_kernelILi64ELi64ELi16E21rocsparse_complex_numIdEEEv20rocsparse_direction_iiPKiS5_PT2_S5_PiS5_S8_21rocsparse_index_base_
    .private_segment_fixed_size: 0
    .sgpr_count:     46
    .sgpr_spill_count: 0
    .symbol:         _ZN9rocsparseL18bsric0_9_16_kernelILi64ELi64ELi16E21rocsparse_complex_numIdEEEv20rocsparse_direction_iiPKiS5_PT2_S5_PiS5_S8_21rocsparse_index_base_.kd
    .uniform_work_group_size: 1
    .uses_dynamic_stack: false
    .vgpr_count:     42
    .vgpr_spill_count: 0
    .wavefront_size: 32
  - .args:
      - .offset:         0
        .size:           4
        .value_kind:     by_value
      - .offset:         4
        .size:           4
        .value_kind:     by_value
      - .offset:         8
        .size:           4
        .value_kind:     by_value
      - .actual_access:  read_only
        .address_space:  global
        .offset:         16
        .size:           8
        .value_kind:     global_buffer
      - .actual_access:  read_only
        .address_space:  global
        .offset:         24
        .size:           8
        .value_kind:     global_buffer
      - .address_space:  global
        .offset:         32
        .size:           8
        .value_kind:     global_buffer
      - .actual_access:  read_only
        .address_space:  global
        .offset:         40
        .size:           8
        .value_kind:     global_buffer
      - .address_space:  global
        .offset:         48
        .size:           8
        .value_kind:     global_buffer
      - .actual_access:  read_only
        .address_space:  global
        .offset:         56
        .size:           8
        .value_kind:     global_buffer
      - .address_space:  global
        .offset:         64
        .size:           8
        .value_kind:     global_buffer
      - .offset:         72
        .size:           4
        .value_kind:     by_value
    .group_segment_fixed_size: 51456
    .kernarg_segment_align: 8
    .kernarg_segment_size: 76
    .language:       OpenCL C
    .language_version:
      - 2
      - 0
    .max_flat_workgroup_size: 64
    .name:           _ZN9rocsparseL19bsric0_17_32_kernelILi64ELi64ELi32E21rocsparse_complex_numIdEEEv20rocsparse_direction_iiPKiS5_PT2_S5_PiS5_S8_21rocsparse_index_base_
    .private_segment_fixed_size: 0
    .sgpr_count:     47
    .sgpr_spill_count: 0
    .symbol:         _ZN9rocsparseL19bsric0_17_32_kernelILi64ELi64ELi32E21rocsparse_complex_numIdEEEv20rocsparse_direction_iiPKiS5_PT2_S5_PiS5_S8_21rocsparse_index_base_.kd
    .uniform_work_group_size: 1
    .uses_dynamic_stack: false
    .vgpr_count:     38
    .vgpr_spill_count: 0
    .wavefront_size: 32
  - .args:
      - .offset:         0
        .size:           4
        .value_kind:     by_value
      - .offset:         4
        .size:           4
        .value_kind:     by_value
      - .offset:         8
        .size:           4
        .value_kind:     by_value
      - .actual_access:  read_only
        .address_space:  global
        .offset:         16
        .size:           8
        .value_kind:     global_buffer
      - .actual_access:  read_only
        .address_space:  global
        .offset:         24
        .size:           8
        .value_kind:     global_buffer
      - .address_space:  global
        .offset:         32
        .size:           8
        .value_kind:     global_buffer
      - .actual_access:  read_only
        .address_space:  global
        .offset:         40
        .size:           8
        .value_kind:     global_buffer
      - .address_space:  global
        .offset:         48
        .size:           8
        .value_kind:     global_buffer
      - .actual_access:  read_only
        .address_space:  global
        .offset:         56
        .size:           8
        .value_kind:     global_buffer
      - .address_space:  global
        .offset:         64
        .size:           8
        .value_kind:     global_buffer
      - .offset:         72
        .size:           4
        .value_kind:     by_value
    .group_segment_fixed_size: 6144
    .kernarg_segment_align: 8
    .kernarg_segment_size: 76
    .language:       OpenCL C
    .language_version:
      - 2
      - 0
    .max_flat_workgroup_size: 64
    .name:           _ZN9rocsparseL17bsric0_2_8_kernelILi64ELi128ELi8E21rocsparse_complex_numIdEEEv20rocsparse_direction_iiPKiS5_PT2_S5_PiS5_S8_21rocsparse_index_base_
    .private_segment_fixed_size: 0
    .sgpr_count:     45
    .sgpr_spill_count: 0
    .symbol:         _ZN9rocsparseL17bsric0_2_8_kernelILi64ELi128ELi8E21rocsparse_complex_numIdEEEv20rocsparse_direction_iiPKiS5_PT2_S5_PiS5_S8_21rocsparse_index_base_.kd
    .uniform_work_group_size: 1
    .uses_dynamic_stack: false
    .vgpr_count:     40
    .vgpr_spill_count: 0
    .wavefront_size: 32
  - .args:
      - .offset:         0
        .size:           4
        .value_kind:     by_value
      - .offset:         4
        .size:           4
        .value_kind:     by_value
      - .offset:         8
        .size:           4
        .value_kind:     by_value
      - .actual_access:  read_only
        .address_space:  global
        .offset:         16
        .size:           8
        .value_kind:     global_buffer
      - .actual_access:  read_only
        .address_space:  global
        .offset:         24
        .size:           8
        .value_kind:     global_buffer
      - .address_space:  global
        .offset:         32
        .size:           8
        .value_kind:     global_buffer
      - .actual_access:  read_only
        .address_space:  global
        .offset:         40
        .size:           8
        .value_kind:     global_buffer
      - .address_space:  global
        .offset:         48
        .size:           8
        .value_kind:     global_buffer
      - .actual_access:  read_only
        .address_space:  global
        .offset:         56
        .size:           8
        .value_kind:     global_buffer
      - .address_space:  global
        .offset:         64
        .size:           8
        .value_kind:     global_buffer
      - .offset:         72
        .size:           4
        .value_kind:     by_value
    .group_segment_fixed_size: 18944
    .kernarg_segment_align: 8
    .kernarg_segment_size: 76
    .language:       OpenCL C
    .language_version:
      - 2
      - 0
    .max_flat_workgroup_size: 64
    .name:           _ZN9rocsparseL18bsric0_9_16_kernelILi64ELi128ELi16E21rocsparse_complex_numIdEEEv20rocsparse_direction_iiPKiS5_PT2_S5_PiS5_S8_21rocsparse_index_base_
    .private_segment_fixed_size: 0
    .sgpr_count:     46
    .sgpr_spill_count: 0
    .symbol:         _ZN9rocsparseL18bsric0_9_16_kernelILi64ELi128ELi16E21rocsparse_complex_numIdEEEv20rocsparse_direction_iiPKiS5_PT2_S5_PiS5_S8_21rocsparse_index_base_.kd
    .uniform_work_group_size: 1
    .uses_dynamic_stack: false
    .vgpr_count:     42
    .vgpr_spill_count: 0
    .wavefront_size: 32
  - .args:
      - .offset:         0
        .size:           4
        .value_kind:     by_value
      - .offset:         4
        .size:           4
        .value_kind:     by_value
      - .offset:         8
        .size:           4
        .value_kind:     by_value
      - .actual_access:  read_only
        .address_space:  global
        .offset:         16
        .size:           8
        .value_kind:     global_buffer
      - .actual_access:  read_only
        .address_space:  global
        .offset:         24
        .size:           8
        .value_kind:     global_buffer
      - .address_space:  global
        .offset:         32
        .size:           8
        .value_kind:     global_buffer
      - .actual_access:  read_only
        .address_space:  global
        .offset:         40
        .size:           8
        .value_kind:     global_buffer
      - .address_space:  global
        .offset:         48
        .size:           8
        .value_kind:     global_buffer
      - .actual_access:  read_only
        .address_space:  global
        .offset:         56
        .size:           8
        .value_kind:     global_buffer
      - .address_space:  global
        .offset:         64
        .size:           8
        .value_kind:     global_buffer
      - .offset:         72
        .size:           4
        .value_kind:     by_value
    .group_segment_fixed_size: 52224
    .kernarg_segment_align: 8
    .kernarg_segment_size: 76
    .language:       OpenCL C
    .language_version:
      - 2
      - 0
    .max_flat_workgroup_size: 64
    .name:           _ZN9rocsparseL19bsric0_17_32_kernelILi64ELi128ELi32E21rocsparse_complex_numIdEEEv20rocsparse_direction_iiPKiS5_PT2_S5_PiS5_S8_21rocsparse_index_base_
    .private_segment_fixed_size: 0
    .sgpr_count:     47
    .sgpr_spill_count: 0
    .symbol:         _ZN9rocsparseL19bsric0_17_32_kernelILi64ELi128ELi32E21rocsparse_complex_numIdEEEv20rocsparse_direction_iiPKiS5_PT2_S5_PiS5_S8_21rocsparse_index_base_.kd
    .uniform_work_group_size: 1
    .uses_dynamic_stack: false
    .vgpr_count:     38
    .vgpr_spill_count: 0
    .wavefront_size: 32
amdhsa.target:   amdgcn-amd-amdhsa--gfx1250
amdhsa.version:
  - 1
  - 2
...

	.end_amdgpu_metadata
